;; amdgpu-corpus repo=ROCm/rocSPARSE kind=compiled arch=gfx90a opt=O3
	.text
	.amdgcn_target "amdgcn-amd-amdhsa--gfx90a"
	.amdhsa_code_object_version 6
	.section	.text._ZN9rocsparseL21csrmvn_general_kernelILj256ELj2EiiffffEEvbT2_NS_24const_host_device_scalarIT6_EEPKT1_S7_PKS1_PKT3_PKT4_S4_PT5_21rocsparse_index_base_b,"axG",@progbits,_ZN9rocsparseL21csrmvn_general_kernelILj256ELj2EiiffffEEvbT2_NS_24const_host_device_scalarIT6_EEPKT1_S7_PKS1_PKT3_PKT4_S4_PT5_21rocsparse_index_base_b,comdat
	.globl	_ZN9rocsparseL21csrmvn_general_kernelILj256ELj2EiiffffEEvbT2_NS_24const_host_device_scalarIT6_EEPKT1_S7_PKS1_PKT3_PKT4_S4_PT5_21rocsparse_index_base_b ; -- Begin function _ZN9rocsparseL21csrmvn_general_kernelILj256ELj2EiiffffEEvbT2_NS_24const_host_device_scalarIT6_EEPKT1_S7_PKS1_PKT3_PKT4_S4_PT5_21rocsparse_index_base_b
	.p2align	8
	.type	_ZN9rocsparseL21csrmvn_general_kernelILj256ELj2EiiffffEEvbT2_NS_24const_host_device_scalarIT6_EEPKT1_S7_PKS1_PKT3_PKT4_S4_PT5_21rocsparse_index_base_b,@function
_ZN9rocsparseL21csrmvn_general_kernelILj256ELj2EiiffffEEvbT2_NS_24const_host_device_scalarIT6_EEPKT1_S7_PKS1_PKT3_PKT4_S4_PT5_21rocsparse_index_base_b: ; @_ZN9rocsparseL21csrmvn_general_kernelILj256ELj2EiiffffEEvbT2_NS_24const_host_device_scalarIT6_EEPKT1_S7_PKS1_PKT3_PKT4_S4_PT5_21rocsparse_index_base_b
; %bb.0:
	s_load_dwordx2 s[20:21], s[4:5], 0x48
	s_load_dwordx4 s[16:19], s[4:5], 0x8
	s_load_dwordx2 s[22:23], s[4:5], 0x38
	s_waitcnt lgkmcnt(0)
	s_bitcmp1_b32 s21, 0
	s_cselect_b64 s[2:3], -1, 0
	s_xor_b64 s[0:1], s[2:3], -1
	s_and_b64 vcc, exec, s[2:3]
	s_cbranch_vccnz .LBB0_2
; %bb.1:
	s_load_dword s16, s[16:17], 0x0
.LBB0_2:
	s_andn2_b64 vcc, exec, s[0:1]
	s_cbranch_vccnz .LBB0_4
; %bb.3:
	s_load_dword s22, s[22:23], 0x0
.LBB0_4:
	s_waitcnt lgkmcnt(0)
	v_cmp_neq_f32_e64 s[0:1], s16, 0
	v_cmp_neq_f32_e64 s[2:3], s22, 1.0
	s_or_b64 s[0:1], s[0:1], s[2:3]
	s_andn2_b64 vcc, exec, s[0:1]
	s_cbranch_vccnz .LBB0_16
; %bb.5:
	s_load_dword s17, s[4:5], 0x4
	v_lshl_or_b32 v1, s6, 8, v0
	v_lshrrev_b32_e32 v2, 1, v1
	s_waitcnt lgkmcnt(0)
	v_cmp_gt_i32_e32 vcc, s17, v2
	s_and_saveexec_b64 s[0:1], vcc
	s_cbranch_execz .LBB0_16
; %bb.6:
	s_load_dword s0, s[4:5], 0x50
	s_load_dwordx2 s[6:7], s[4:5], 0x40
	s_load_dwordx8 s[8:15], s[4:5], 0x18
	s_ashr_i32 s21, s20, 31
	v_and_b32_e32 v0, 1, v0
	s_waitcnt lgkmcnt(0)
	s_lshl_b32 s23, s0, 7
	s_lshl_b64 s[0:1], s[20:21], 2
	s_sub_u32 s21, s14, s0
	v_cmp_neq_f32_e64 s[2:3], s22, 0
	v_subrev_u32_e32 v6, s20, v0
	s_subb_u32 s26, s15, s1
	v_cmp_eq_u32_e64 s[0:1], 1, v0
	v_cndmask_b32_e64 v0, 0, 1, s[2:3]
	s_mov_b64 s[14:15], 0
	v_mov_b32_e32 v7, s19
	v_mov_b32_e32 v8, s9
	v_cmp_ne_u32_e64 s[2:3], 1, v0
	s_branch .LBB0_9
.LBB0_7:                                ;   in Loop: Header=BB0_9 Depth=1
	global_store_dword v[0:1], v3, off
.LBB0_8:                                ;   in Loop: Header=BB0_9 Depth=1
	s_or_b64 exec, exec, s[24:25]
	v_add_u32_e32 v2, s23, v2
	v_cmp_le_i32_e32 vcc, s17, v2
	s_or_b64 s[14:15], vcc, s[14:15]
	s_andn2_b64 exec, exec, s[14:15]
	s_cbranch_execz .LBB0_16
.LBB0_9:                                ; =>This Loop Header: Depth=1
                                        ;     Child Loop BB0_11 Depth 2
	v_ashrrev_i32_e32 v3, 31, v2
	v_lshlrev_b64 v[0:1], 2, v[2:3]
	v_add_co_u32_e32 v4, vcc, s18, v0
	v_addc_co_u32_e32 v5, vcc, v7, v1, vcc
	v_add_co_u32_e32 v10, vcc, s8, v0
	v_addc_co_u32_e32 v11, vcc, v8, v1, vcc
	global_load_dword v3, v[10:11], off
	global_load_dword v12, v[4:5], off
	s_waitcnt vmcnt(1)
	v_subrev_u32_e32 v9, s20, v3
	s_waitcnt vmcnt(0)
	v_add_u32_e32 v4, v12, v6
	v_cmp_lt_i32_e32 vcc, v4, v9
	v_mov_b32_e32 v3, 0
	s_and_saveexec_b64 s[4:5], vcc
	s_cbranch_execz .LBB0_13
; %bb.10:                               ;   in Loop: Header=BB0_9 Depth=1
	s_mov_b64 s[24:25], 0
	v_mov_b32_e32 v3, 0
.LBB0_11:                               ;   Parent Loop BB0_9 Depth=1
                                        ; =>  This Inner Loop Header: Depth=2
	v_ashrrev_i32_e32 v5, 31, v4
	v_lshlrev_b64 v[10:11], 2, v[4:5]
	v_mov_b32_e32 v5, s11
	v_add_co_u32_e32 v12, vcc, s10, v10
	v_addc_co_u32_e32 v13, vcc, v5, v11, vcc
	global_load_dword v12, v[12:13], off
	v_mov_b32_e32 v5, s13
	v_add_co_u32_e32 v10, vcc, s12, v10
	v_addc_co_u32_e32 v11, vcc, v5, v11, vcc
	global_load_dword v5, v[10:11], off
	v_mov_b32_e32 v14, s26
	v_add_u32_e32 v4, 2, v4
	s_waitcnt vmcnt(1)
	v_ashrrev_i32_e32 v13, 31, v12
	v_lshlrev_b64 v[10:11], 2, v[12:13]
	v_add_co_u32_e32 v10, vcc, s21, v10
	v_addc_co_u32_e32 v11, vcc, v14, v11, vcc
	global_load_dword v10, v[10:11], off
	s_waitcnt vmcnt(1)
	v_mul_f32_e32 v5, s16, v5
	v_cmp_ge_i32_e32 vcc, v4, v9
	s_or_b64 s[24:25], vcc, s[24:25]
	s_waitcnt vmcnt(0)
	v_fmac_f32_e32 v3, v5, v10
	s_andn2_b64 exec, exec, s[24:25]
	s_cbranch_execnz .LBB0_11
; %bb.12:                               ;   in Loop: Header=BB0_9 Depth=1
	s_or_b64 exec, exec, s[24:25]
.LBB0_13:                               ;   in Loop: Header=BB0_9 Depth=1
	s_or_b64 exec, exec, s[4:5]
	v_mov_b32_dpp v4, v3 row_shr:1 row_mask:0xf bank_mask:0xf
	s_and_saveexec_b64 s[24:25], s[0:1]
	s_cbranch_execz .LBB0_8
; %bb.14:                               ;   in Loop: Header=BB0_9 Depth=1
	v_add_f32_e32 v3, v3, v4
	v_mov_b32_e32 v4, s7
	v_add_co_u32_e64 v0, s[4:5], s6, v0
	s_and_b64 vcc, exec, s[2:3]
	v_addc_co_u32_e64 v1, s[4:5], v4, v1, s[4:5]
	s_cbranch_vccnz .LBB0_7
; %bb.15:                               ;   in Loop: Header=BB0_9 Depth=1
	global_load_dword v4, v[0:1], off
	s_waitcnt vmcnt(0)
	v_fmac_f32_e32 v3, s22, v4
	s_branch .LBB0_7
.LBB0_16:
	s_endpgm
	.section	.rodata,"a",@progbits
	.p2align	6, 0x0
	.amdhsa_kernel _ZN9rocsparseL21csrmvn_general_kernelILj256ELj2EiiffffEEvbT2_NS_24const_host_device_scalarIT6_EEPKT1_S7_PKS1_PKT3_PKT4_S4_PT5_21rocsparse_index_base_b
		.amdhsa_group_segment_fixed_size 0
		.amdhsa_private_segment_fixed_size 0
		.amdhsa_kernarg_size 336
		.amdhsa_user_sgpr_count 6
		.amdhsa_user_sgpr_private_segment_buffer 1
		.amdhsa_user_sgpr_dispatch_ptr 0
		.amdhsa_user_sgpr_queue_ptr 0
		.amdhsa_user_sgpr_kernarg_segment_ptr 1
		.amdhsa_user_sgpr_dispatch_id 0
		.amdhsa_user_sgpr_flat_scratch_init 0
		.amdhsa_user_sgpr_kernarg_preload_length 0
		.amdhsa_user_sgpr_kernarg_preload_offset 0
		.amdhsa_user_sgpr_private_segment_size 0
		.amdhsa_uses_dynamic_stack 0
		.amdhsa_system_sgpr_private_segment_wavefront_offset 0
		.amdhsa_system_sgpr_workgroup_id_x 1
		.amdhsa_system_sgpr_workgroup_id_y 0
		.amdhsa_system_sgpr_workgroup_id_z 0
		.amdhsa_system_sgpr_workgroup_info 0
		.amdhsa_system_vgpr_workitem_id 0
		.amdhsa_next_free_vgpr 15
		.amdhsa_next_free_sgpr 27
		.amdhsa_accum_offset 16
		.amdhsa_reserve_vcc 1
		.amdhsa_reserve_flat_scratch 0
		.amdhsa_float_round_mode_32 0
		.amdhsa_float_round_mode_16_64 0
		.amdhsa_float_denorm_mode_32 3
		.amdhsa_float_denorm_mode_16_64 3
		.amdhsa_dx10_clamp 1
		.amdhsa_ieee_mode 1
		.amdhsa_fp16_overflow 0
		.amdhsa_tg_split 0
		.amdhsa_exception_fp_ieee_invalid_op 0
		.amdhsa_exception_fp_denorm_src 0
		.amdhsa_exception_fp_ieee_div_zero 0
		.amdhsa_exception_fp_ieee_overflow 0
		.amdhsa_exception_fp_ieee_underflow 0
		.amdhsa_exception_fp_ieee_inexact 0
		.amdhsa_exception_int_div_zero 0
	.end_amdhsa_kernel
	.section	.text._ZN9rocsparseL21csrmvn_general_kernelILj256ELj2EiiffffEEvbT2_NS_24const_host_device_scalarIT6_EEPKT1_S7_PKS1_PKT3_PKT4_S4_PT5_21rocsparse_index_base_b,"axG",@progbits,_ZN9rocsparseL21csrmvn_general_kernelILj256ELj2EiiffffEEvbT2_NS_24const_host_device_scalarIT6_EEPKT1_S7_PKS1_PKT3_PKT4_S4_PT5_21rocsparse_index_base_b,comdat
.Lfunc_end0:
	.size	_ZN9rocsparseL21csrmvn_general_kernelILj256ELj2EiiffffEEvbT2_NS_24const_host_device_scalarIT6_EEPKT1_S7_PKS1_PKT3_PKT4_S4_PT5_21rocsparse_index_base_b, .Lfunc_end0-_ZN9rocsparseL21csrmvn_general_kernelILj256ELj2EiiffffEEvbT2_NS_24const_host_device_scalarIT6_EEPKT1_S7_PKS1_PKT3_PKT4_S4_PT5_21rocsparse_index_base_b
                                        ; -- End function
	.section	.AMDGPU.csdata,"",@progbits
; Kernel info:
; codeLenInByte = 564
; NumSgprs: 31
; NumVgprs: 15
; NumAgprs: 0
; TotalNumVgprs: 15
; ScratchSize: 0
; MemoryBound: 0
; FloatMode: 240
; IeeeMode: 1
; LDSByteSize: 0 bytes/workgroup (compile time only)
; SGPRBlocks: 3
; VGPRBlocks: 1
; NumSGPRsForWavesPerEU: 31
; NumVGPRsForWavesPerEU: 15
; AccumOffset: 16
; Occupancy: 8
; WaveLimiterHint : 1
; COMPUTE_PGM_RSRC2:SCRATCH_EN: 0
; COMPUTE_PGM_RSRC2:USER_SGPR: 6
; COMPUTE_PGM_RSRC2:TRAP_HANDLER: 0
; COMPUTE_PGM_RSRC2:TGID_X_EN: 1
; COMPUTE_PGM_RSRC2:TGID_Y_EN: 0
; COMPUTE_PGM_RSRC2:TGID_Z_EN: 0
; COMPUTE_PGM_RSRC2:TIDIG_COMP_CNT: 0
; COMPUTE_PGM_RSRC3_GFX90A:ACCUM_OFFSET: 3
; COMPUTE_PGM_RSRC3_GFX90A:TG_SPLIT: 0
	.section	.text._ZN9rocsparseL21csrmvn_general_kernelILj256ELj4EiiffffEEvbT2_NS_24const_host_device_scalarIT6_EEPKT1_S7_PKS1_PKT3_PKT4_S4_PT5_21rocsparse_index_base_b,"axG",@progbits,_ZN9rocsparseL21csrmvn_general_kernelILj256ELj4EiiffffEEvbT2_NS_24const_host_device_scalarIT6_EEPKT1_S7_PKS1_PKT3_PKT4_S4_PT5_21rocsparse_index_base_b,comdat
	.globl	_ZN9rocsparseL21csrmvn_general_kernelILj256ELj4EiiffffEEvbT2_NS_24const_host_device_scalarIT6_EEPKT1_S7_PKS1_PKT3_PKT4_S4_PT5_21rocsparse_index_base_b ; -- Begin function _ZN9rocsparseL21csrmvn_general_kernelILj256ELj4EiiffffEEvbT2_NS_24const_host_device_scalarIT6_EEPKT1_S7_PKS1_PKT3_PKT4_S4_PT5_21rocsparse_index_base_b
	.p2align	8
	.type	_ZN9rocsparseL21csrmvn_general_kernelILj256ELj4EiiffffEEvbT2_NS_24const_host_device_scalarIT6_EEPKT1_S7_PKS1_PKT3_PKT4_S4_PT5_21rocsparse_index_base_b,@function
_ZN9rocsparseL21csrmvn_general_kernelILj256ELj4EiiffffEEvbT2_NS_24const_host_device_scalarIT6_EEPKT1_S7_PKS1_PKT3_PKT4_S4_PT5_21rocsparse_index_base_b: ; @_ZN9rocsparseL21csrmvn_general_kernelILj256ELj4EiiffffEEvbT2_NS_24const_host_device_scalarIT6_EEPKT1_S7_PKS1_PKT3_PKT4_S4_PT5_21rocsparse_index_base_b
; %bb.0:
	s_load_dwordx2 s[20:21], s[4:5], 0x48
	s_load_dwordx4 s[16:19], s[4:5], 0x8
	s_load_dwordx2 s[22:23], s[4:5], 0x38
	s_waitcnt lgkmcnt(0)
	s_bitcmp1_b32 s21, 0
	s_cselect_b64 s[2:3], -1, 0
	s_xor_b64 s[0:1], s[2:3], -1
	s_and_b64 vcc, exec, s[2:3]
	s_cbranch_vccnz .LBB1_2
; %bb.1:
	s_load_dword s16, s[16:17], 0x0
.LBB1_2:
	s_andn2_b64 vcc, exec, s[0:1]
	s_cbranch_vccnz .LBB1_4
; %bb.3:
	s_load_dword s22, s[22:23], 0x0
.LBB1_4:
	s_waitcnt lgkmcnt(0)
	v_cmp_neq_f32_e64 s[0:1], s16, 0
	v_cmp_neq_f32_e64 s[2:3], s22, 1.0
	s_or_b64 s[0:1], s[0:1], s[2:3]
	s_andn2_b64 vcc, exec, s[0:1]
	s_cbranch_vccnz .LBB1_16
; %bb.5:
	s_load_dword s17, s[4:5], 0x4
	v_lshl_or_b32 v1, s6, 8, v0
	v_lshrrev_b32_e32 v2, 2, v1
	s_waitcnt lgkmcnt(0)
	v_cmp_gt_i32_e32 vcc, s17, v2
	s_and_saveexec_b64 s[0:1], vcc
	s_cbranch_execz .LBB1_16
; %bb.6:
	s_load_dword s0, s[4:5], 0x50
	s_load_dwordx2 s[6:7], s[4:5], 0x40
	s_load_dwordx8 s[8:15], s[4:5], 0x18
	s_ashr_i32 s21, s20, 31
	v_and_b32_e32 v0, 3, v0
	s_waitcnt lgkmcnt(0)
	s_lshl_b32 s23, s0, 6
	s_lshl_b64 s[0:1], s[20:21], 2
	s_sub_u32 s21, s14, s0
	v_cmp_neq_f32_e64 s[2:3], s22, 0
	v_subrev_u32_e32 v6, s20, v0
	s_subb_u32 s26, s15, s1
	v_cmp_eq_u32_e64 s[0:1], 3, v0
	v_cndmask_b32_e64 v0, 0, 1, s[2:3]
	s_mov_b64 s[14:15], 0
	v_mov_b32_e32 v7, s19
	v_mov_b32_e32 v8, s9
	v_cmp_ne_u32_e64 s[2:3], 1, v0
	s_branch .LBB1_9
.LBB1_7:                                ;   in Loop: Header=BB1_9 Depth=1
	global_store_dword v[0:1], v3, off
.LBB1_8:                                ;   in Loop: Header=BB1_9 Depth=1
	s_or_b64 exec, exec, s[24:25]
	v_add_u32_e32 v2, s23, v2
	v_cmp_le_i32_e32 vcc, s17, v2
	s_or_b64 s[14:15], vcc, s[14:15]
	s_andn2_b64 exec, exec, s[14:15]
	s_cbranch_execz .LBB1_16
.LBB1_9:                                ; =>This Loop Header: Depth=1
                                        ;     Child Loop BB1_11 Depth 2
	v_ashrrev_i32_e32 v3, 31, v2
	v_lshlrev_b64 v[0:1], 2, v[2:3]
	v_add_co_u32_e32 v4, vcc, s18, v0
	v_addc_co_u32_e32 v5, vcc, v7, v1, vcc
	v_add_co_u32_e32 v10, vcc, s8, v0
	v_addc_co_u32_e32 v11, vcc, v8, v1, vcc
	global_load_dword v3, v[10:11], off
	global_load_dword v12, v[4:5], off
	s_waitcnt vmcnt(1)
	v_subrev_u32_e32 v9, s20, v3
	s_waitcnt vmcnt(0)
	v_add_u32_e32 v4, v12, v6
	v_cmp_lt_i32_e32 vcc, v4, v9
	v_mov_b32_e32 v3, 0
	s_and_saveexec_b64 s[4:5], vcc
	s_cbranch_execz .LBB1_13
; %bb.10:                               ;   in Loop: Header=BB1_9 Depth=1
	s_mov_b64 s[24:25], 0
	v_mov_b32_e32 v3, 0
.LBB1_11:                               ;   Parent Loop BB1_9 Depth=1
                                        ; =>  This Inner Loop Header: Depth=2
	v_ashrrev_i32_e32 v5, 31, v4
	v_lshlrev_b64 v[10:11], 2, v[4:5]
	v_mov_b32_e32 v5, s11
	v_add_co_u32_e32 v12, vcc, s10, v10
	v_addc_co_u32_e32 v13, vcc, v5, v11, vcc
	global_load_dword v12, v[12:13], off
	v_mov_b32_e32 v5, s13
	v_add_co_u32_e32 v10, vcc, s12, v10
	v_addc_co_u32_e32 v11, vcc, v5, v11, vcc
	global_load_dword v5, v[10:11], off
	v_mov_b32_e32 v14, s26
	v_add_u32_e32 v4, 4, v4
	s_waitcnt vmcnt(1)
	v_ashrrev_i32_e32 v13, 31, v12
	v_lshlrev_b64 v[10:11], 2, v[12:13]
	v_add_co_u32_e32 v10, vcc, s21, v10
	v_addc_co_u32_e32 v11, vcc, v14, v11, vcc
	global_load_dword v10, v[10:11], off
	s_waitcnt vmcnt(1)
	v_mul_f32_e32 v5, s16, v5
	v_cmp_ge_i32_e32 vcc, v4, v9
	s_or_b64 s[24:25], vcc, s[24:25]
	s_waitcnt vmcnt(0)
	v_fmac_f32_e32 v3, v5, v10
	s_andn2_b64 exec, exec, s[24:25]
	s_cbranch_execnz .LBB1_11
; %bb.12:                               ;   in Loop: Header=BB1_9 Depth=1
	s_or_b64 exec, exec, s[24:25]
.LBB1_13:                               ;   in Loop: Header=BB1_9 Depth=1
	s_or_b64 exec, exec, s[4:5]
	v_mov_b32_dpp v4, v3 row_shr:1 row_mask:0xf bank_mask:0xf
	v_add_f32_e32 v3, v3, v4
	s_nop 1
	v_mov_b32_dpp v4, v3 row_shr:2 row_mask:0xf bank_mask:0xf
	s_and_saveexec_b64 s[24:25], s[0:1]
	s_cbranch_execz .LBB1_8
; %bb.14:                               ;   in Loop: Header=BB1_9 Depth=1
	v_add_f32_e32 v3, v3, v4
	v_mov_b32_e32 v4, s7
	v_add_co_u32_e64 v0, s[4:5], s6, v0
	s_and_b64 vcc, exec, s[2:3]
	v_addc_co_u32_e64 v1, s[4:5], v4, v1, s[4:5]
	s_cbranch_vccnz .LBB1_7
; %bb.15:                               ;   in Loop: Header=BB1_9 Depth=1
	global_load_dword v4, v[0:1], off
	s_waitcnt vmcnt(0)
	v_fmac_f32_e32 v3, s22, v4
	s_branch .LBB1_7
.LBB1_16:
	s_endpgm
	.section	.rodata,"a",@progbits
	.p2align	6, 0x0
	.amdhsa_kernel _ZN9rocsparseL21csrmvn_general_kernelILj256ELj4EiiffffEEvbT2_NS_24const_host_device_scalarIT6_EEPKT1_S7_PKS1_PKT3_PKT4_S4_PT5_21rocsparse_index_base_b
		.amdhsa_group_segment_fixed_size 0
		.amdhsa_private_segment_fixed_size 0
		.amdhsa_kernarg_size 336
		.amdhsa_user_sgpr_count 6
		.amdhsa_user_sgpr_private_segment_buffer 1
		.amdhsa_user_sgpr_dispatch_ptr 0
		.amdhsa_user_sgpr_queue_ptr 0
		.amdhsa_user_sgpr_kernarg_segment_ptr 1
		.amdhsa_user_sgpr_dispatch_id 0
		.amdhsa_user_sgpr_flat_scratch_init 0
		.amdhsa_user_sgpr_kernarg_preload_length 0
		.amdhsa_user_sgpr_kernarg_preload_offset 0
		.amdhsa_user_sgpr_private_segment_size 0
		.amdhsa_uses_dynamic_stack 0
		.amdhsa_system_sgpr_private_segment_wavefront_offset 0
		.amdhsa_system_sgpr_workgroup_id_x 1
		.amdhsa_system_sgpr_workgroup_id_y 0
		.amdhsa_system_sgpr_workgroup_id_z 0
		.amdhsa_system_sgpr_workgroup_info 0
		.amdhsa_system_vgpr_workitem_id 0
		.amdhsa_next_free_vgpr 15
		.amdhsa_next_free_sgpr 27
		.amdhsa_accum_offset 16
		.amdhsa_reserve_vcc 1
		.amdhsa_reserve_flat_scratch 0
		.amdhsa_float_round_mode_32 0
		.amdhsa_float_round_mode_16_64 0
		.amdhsa_float_denorm_mode_32 3
		.amdhsa_float_denorm_mode_16_64 3
		.amdhsa_dx10_clamp 1
		.amdhsa_ieee_mode 1
		.amdhsa_fp16_overflow 0
		.amdhsa_tg_split 0
		.amdhsa_exception_fp_ieee_invalid_op 0
		.amdhsa_exception_fp_denorm_src 0
		.amdhsa_exception_fp_ieee_div_zero 0
		.amdhsa_exception_fp_ieee_overflow 0
		.amdhsa_exception_fp_ieee_underflow 0
		.amdhsa_exception_fp_ieee_inexact 0
		.amdhsa_exception_int_div_zero 0
	.end_amdhsa_kernel
	.section	.text._ZN9rocsparseL21csrmvn_general_kernelILj256ELj4EiiffffEEvbT2_NS_24const_host_device_scalarIT6_EEPKT1_S7_PKS1_PKT3_PKT4_S4_PT5_21rocsparse_index_base_b,"axG",@progbits,_ZN9rocsparseL21csrmvn_general_kernelILj256ELj4EiiffffEEvbT2_NS_24const_host_device_scalarIT6_EEPKT1_S7_PKS1_PKT3_PKT4_S4_PT5_21rocsparse_index_base_b,comdat
.Lfunc_end1:
	.size	_ZN9rocsparseL21csrmvn_general_kernelILj256ELj4EiiffffEEvbT2_NS_24const_host_device_scalarIT6_EEPKT1_S7_PKS1_PKT3_PKT4_S4_PT5_21rocsparse_index_base_b, .Lfunc_end1-_ZN9rocsparseL21csrmvn_general_kernelILj256ELj4EiiffffEEvbT2_NS_24const_host_device_scalarIT6_EEPKT1_S7_PKS1_PKT3_PKT4_S4_PT5_21rocsparse_index_base_b
                                        ; -- End function
	.section	.AMDGPU.csdata,"",@progbits
; Kernel info:
; codeLenInByte = 580
; NumSgprs: 31
; NumVgprs: 15
; NumAgprs: 0
; TotalNumVgprs: 15
; ScratchSize: 0
; MemoryBound: 0
; FloatMode: 240
; IeeeMode: 1
; LDSByteSize: 0 bytes/workgroup (compile time only)
; SGPRBlocks: 3
; VGPRBlocks: 1
; NumSGPRsForWavesPerEU: 31
; NumVGPRsForWavesPerEU: 15
; AccumOffset: 16
; Occupancy: 8
; WaveLimiterHint : 1
; COMPUTE_PGM_RSRC2:SCRATCH_EN: 0
; COMPUTE_PGM_RSRC2:USER_SGPR: 6
; COMPUTE_PGM_RSRC2:TRAP_HANDLER: 0
; COMPUTE_PGM_RSRC2:TGID_X_EN: 1
; COMPUTE_PGM_RSRC2:TGID_Y_EN: 0
; COMPUTE_PGM_RSRC2:TGID_Z_EN: 0
; COMPUTE_PGM_RSRC2:TIDIG_COMP_CNT: 0
; COMPUTE_PGM_RSRC3_GFX90A:ACCUM_OFFSET: 3
; COMPUTE_PGM_RSRC3_GFX90A:TG_SPLIT: 0
	.section	.text._ZN9rocsparseL21csrmvn_general_kernelILj256ELj8EiiffffEEvbT2_NS_24const_host_device_scalarIT6_EEPKT1_S7_PKS1_PKT3_PKT4_S4_PT5_21rocsparse_index_base_b,"axG",@progbits,_ZN9rocsparseL21csrmvn_general_kernelILj256ELj8EiiffffEEvbT2_NS_24const_host_device_scalarIT6_EEPKT1_S7_PKS1_PKT3_PKT4_S4_PT5_21rocsparse_index_base_b,comdat
	.globl	_ZN9rocsparseL21csrmvn_general_kernelILj256ELj8EiiffffEEvbT2_NS_24const_host_device_scalarIT6_EEPKT1_S7_PKS1_PKT3_PKT4_S4_PT5_21rocsparse_index_base_b ; -- Begin function _ZN9rocsparseL21csrmvn_general_kernelILj256ELj8EiiffffEEvbT2_NS_24const_host_device_scalarIT6_EEPKT1_S7_PKS1_PKT3_PKT4_S4_PT5_21rocsparse_index_base_b
	.p2align	8
	.type	_ZN9rocsparseL21csrmvn_general_kernelILj256ELj8EiiffffEEvbT2_NS_24const_host_device_scalarIT6_EEPKT1_S7_PKS1_PKT3_PKT4_S4_PT5_21rocsparse_index_base_b,@function
_ZN9rocsparseL21csrmvn_general_kernelILj256ELj8EiiffffEEvbT2_NS_24const_host_device_scalarIT6_EEPKT1_S7_PKS1_PKT3_PKT4_S4_PT5_21rocsparse_index_base_b: ; @_ZN9rocsparseL21csrmvn_general_kernelILj256ELj8EiiffffEEvbT2_NS_24const_host_device_scalarIT6_EEPKT1_S7_PKS1_PKT3_PKT4_S4_PT5_21rocsparse_index_base_b
; %bb.0:
	s_load_dwordx2 s[20:21], s[4:5], 0x48
	s_load_dwordx4 s[16:19], s[4:5], 0x8
	s_load_dwordx2 s[22:23], s[4:5], 0x38
	s_waitcnt lgkmcnt(0)
	s_bitcmp1_b32 s21, 0
	s_cselect_b64 s[2:3], -1, 0
	s_xor_b64 s[0:1], s[2:3], -1
	s_and_b64 vcc, exec, s[2:3]
	s_cbranch_vccnz .LBB2_2
; %bb.1:
	s_load_dword s16, s[16:17], 0x0
.LBB2_2:
	s_andn2_b64 vcc, exec, s[0:1]
	s_cbranch_vccnz .LBB2_4
; %bb.3:
	s_load_dword s22, s[22:23], 0x0
.LBB2_4:
	s_waitcnt lgkmcnt(0)
	v_cmp_neq_f32_e64 s[0:1], s16, 0
	v_cmp_neq_f32_e64 s[2:3], s22, 1.0
	s_or_b64 s[0:1], s[0:1], s[2:3]
	s_andn2_b64 vcc, exec, s[0:1]
	s_cbranch_vccnz .LBB2_16
; %bb.5:
	s_load_dword s17, s[4:5], 0x4
	v_lshl_or_b32 v1, s6, 8, v0
	v_lshrrev_b32_e32 v2, 3, v1
	s_waitcnt lgkmcnt(0)
	v_cmp_gt_i32_e32 vcc, s17, v2
	s_and_saveexec_b64 s[0:1], vcc
	s_cbranch_execz .LBB2_16
; %bb.6:
	s_load_dword s0, s[4:5], 0x50
	s_load_dwordx2 s[6:7], s[4:5], 0x40
	s_load_dwordx8 s[8:15], s[4:5], 0x18
	s_ashr_i32 s21, s20, 31
	v_and_b32_e32 v0, 7, v0
	s_waitcnt lgkmcnt(0)
	s_lshl_b32 s23, s0, 5
	s_lshl_b64 s[0:1], s[20:21], 2
	s_sub_u32 s21, s14, s0
	v_cmp_neq_f32_e64 s[2:3], s22, 0
	v_subrev_u32_e32 v6, s20, v0
	s_subb_u32 s26, s15, s1
	v_cmp_eq_u32_e64 s[0:1], 7, v0
	v_cndmask_b32_e64 v0, 0, 1, s[2:3]
	s_mov_b64 s[14:15], 0
	v_mov_b32_e32 v7, s19
	v_mov_b32_e32 v8, s9
	v_cmp_ne_u32_e64 s[2:3], 1, v0
	s_branch .LBB2_9
.LBB2_7:                                ;   in Loop: Header=BB2_9 Depth=1
	global_store_dword v[0:1], v3, off
.LBB2_8:                                ;   in Loop: Header=BB2_9 Depth=1
	s_or_b64 exec, exec, s[24:25]
	v_add_u32_e32 v2, s23, v2
	v_cmp_le_i32_e32 vcc, s17, v2
	s_or_b64 s[14:15], vcc, s[14:15]
	s_andn2_b64 exec, exec, s[14:15]
	s_cbranch_execz .LBB2_16
.LBB2_9:                                ; =>This Loop Header: Depth=1
                                        ;     Child Loop BB2_11 Depth 2
	v_ashrrev_i32_e32 v3, 31, v2
	v_lshlrev_b64 v[0:1], 2, v[2:3]
	v_add_co_u32_e32 v4, vcc, s18, v0
	v_addc_co_u32_e32 v5, vcc, v7, v1, vcc
	v_add_co_u32_e32 v10, vcc, s8, v0
	v_addc_co_u32_e32 v11, vcc, v8, v1, vcc
	global_load_dword v3, v[10:11], off
	global_load_dword v12, v[4:5], off
	s_waitcnt vmcnt(1)
	v_subrev_u32_e32 v9, s20, v3
	s_waitcnt vmcnt(0)
	v_add_u32_e32 v4, v12, v6
	v_cmp_lt_i32_e32 vcc, v4, v9
	v_mov_b32_e32 v3, 0
	s_and_saveexec_b64 s[4:5], vcc
	s_cbranch_execz .LBB2_13
; %bb.10:                               ;   in Loop: Header=BB2_9 Depth=1
	s_mov_b64 s[24:25], 0
	v_mov_b32_e32 v3, 0
.LBB2_11:                               ;   Parent Loop BB2_9 Depth=1
                                        ; =>  This Inner Loop Header: Depth=2
	v_ashrrev_i32_e32 v5, 31, v4
	v_lshlrev_b64 v[10:11], 2, v[4:5]
	v_mov_b32_e32 v5, s11
	v_add_co_u32_e32 v12, vcc, s10, v10
	v_addc_co_u32_e32 v13, vcc, v5, v11, vcc
	global_load_dword v12, v[12:13], off
	v_mov_b32_e32 v5, s13
	v_add_co_u32_e32 v10, vcc, s12, v10
	v_addc_co_u32_e32 v11, vcc, v5, v11, vcc
	global_load_dword v5, v[10:11], off
	v_mov_b32_e32 v14, s26
	v_add_u32_e32 v4, 8, v4
	s_waitcnt vmcnt(1)
	v_ashrrev_i32_e32 v13, 31, v12
	v_lshlrev_b64 v[10:11], 2, v[12:13]
	v_add_co_u32_e32 v10, vcc, s21, v10
	v_addc_co_u32_e32 v11, vcc, v14, v11, vcc
	global_load_dword v10, v[10:11], off
	s_waitcnt vmcnt(1)
	v_mul_f32_e32 v5, s16, v5
	v_cmp_ge_i32_e32 vcc, v4, v9
	s_or_b64 s[24:25], vcc, s[24:25]
	s_waitcnt vmcnt(0)
	v_fmac_f32_e32 v3, v5, v10
	s_andn2_b64 exec, exec, s[24:25]
	s_cbranch_execnz .LBB2_11
; %bb.12:                               ;   in Loop: Header=BB2_9 Depth=1
	s_or_b64 exec, exec, s[24:25]
.LBB2_13:                               ;   in Loop: Header=BB2_9 Depth=1
	s_or_b64 exec, exec, s[4:5]
	v_mov_b32_dpp v4, v3 row_shr:1 row_mask:0xf bank_mask:0xf
	v_add_f32_e32 v3, v3, v4
	s_nop 1
	v_mov_b32_dpp v4, v3 row_shr:2 row_mask:0xf bank_mask:0xf
	v_add_f32_e32 v3, v3, v4
	s_nop 1
	v_mov_b32_dpp v4, v3 row_shr:4 row_mask:0xf bank_mask:0xe
	s_and_saveexec_b64 s[24:25], s[0:1]
	s_cbranch_execz .LBB2_8
; %bb.14:                               ;   in Loop: Header=BB2_9 Depth=1
	v_add_f32_e32 v3, v3, v4
	v_mov_b32_e32 v4, s7
	v_add_co_u32_e64 v0, s[4:5], s6, v0
	s_and_b64 vcc, exec, s[2:3]
	v_addc_co_u32_e64 v1, s[4:5], v4, v1, s[4:5]
	s_cbranch_vccnz .LBB2_7
; %bb.15:                               ;   in Loop: Header=BB2_9 Depth=1
	global_load_dword v4, v[0:1], off
	s_waitcnt vmcnt(0)
	v_fmac_f32_e32 v3, s22, v4
	s_branch .LBB2_7
.LBB2_16:
	s_endpgm
	.section	.rodata,"a",@progbits
	.p2align	6, 0x0
	.amdhsa_kernel _ZN9rocsparseL21csrmvn_general_kernelILj256ELj8EiiffffEEvbT2_NS_24const_host_device_scalarIT6_EEPKT1_S7_PKS1_PKT3_PKT4_S4_PT5_21rocsparse_index_base_b
		.amdhsa_group_segment_fixed_size 0
		.amdhsa_private_segment_fixed_size 0
		.amdhsa_kernarg_size 336
		.amdhsa_user_sgpr_count 6
		.amdhsa_user_sgpr_private_segment_buffer 1
		.amdhsa_user_sgpr_dispatch_ptr 0
		.amdhsa_user_sgpr_queue_ptr 0
		.amdhsa_user_sgpr_kernarg_segment_ptr 1
		.amdhsa_user_sgpr_dispatch_id 0
		.amdhsa_user_sgpr_flat_scratch_init 0
		.amdhsa_user_sgpr_kernarg_preload_length 0
		.amdhsa_user_sgpr_kernarg_preload_offset 0
		.amdhsa_user_sgpr_private_segment_size 0
		.amdhsa_uses_dynamic_stack 0
		.amdhsa_system_sgpr_private_segment_wavefront_offset 0
		.amdhsa_system_sgpr_workgroup_id_x 1
		.amdhsa_system_sgpr_workgroup_id_y 0
		.amdhsa_system_sgpr_workgroup_id_z 0
		.amdhsa_system_sgpr_workgroup_info 0
		.amdhsa_system_vgpr_workitem_id 0
		.amdhsa_next_free_vgpr 15
		.amdhsa_next_free_sgpr 27
		.amdhsa_accum_offset 16
		.amdhsa_reserve_vcc 1
		.amdhsa_reserve_flat_scratch 0
		.amdhsa_float_round_mode_32 0
		.amdhsa_float_round_mode_16_64 0
		.amdhsa_float_denorm_mode_32 3
		.amdhsa_float_denorm_mode_16_64 3
		.amdhsa_dx10_clamp 1
		.amdhsa_ieee_mode 1
		.amdhsa_fp16_overflow 0
		.amdhsa_tg_split 0
		.amdhsa_exception_fp_ieee_invalid_op 0
		.amdhsa_exception_fp_denorm_src 0
		.amdhsa_exception_fp_ieee_div_zero 0
		.amdhsa_exception_fp_ieee_overflow 0
		.amdhsa_exception_fp_ieee_underflow 0
		.amdhsa_exception_fp_ieee_inexact 0
		.amdhsa_exception_int_div_zero 0
	.end_amdhsa_kernel
	.section	.text._ZN9rocsparseL21csrmvn_general_kernelILj256ELj8EiiffffEEvbT2_NS_24const_host_device_scalarIT6_EEPKT1_S7_PKS1_PKT3_PKT4_S4_PT5_21rocsparse_index_base_b,"axG",@progbits,_ZN9rocsparseL21csrmvn_general_kernelILj256ELj8EiiffffEEvbT2_NS_24const_host_device_scalarIT6_EEPKT1_S7_PKS1_PKT3_PKT4_S4_PT5_21rocsparse_index_base_b,comdat
.Lfunc_end2:
	.size	_ZN9rocsparseL21csrmvn_general_kernelILj256ELj8EiiffffEEvbT2_NS_24const_host_device_scalarIT6_EEPKT1_S7_PKS1_PKT3_PKT4_S4_PT5_21rocsparse_index_base_b, .Lfunc_end2-_ZN9rocsparseL21csrmvn_general_kernelILj256ELj8EiiffffEEvbT2_NS_24const_host_device_scalarIT6_EEPKT1_S7_PKS1_PKT3_PKT4_S4_PT5_21rocsparse_index_base_b
                                        ; -- End function
	.section	.AMDGPU.csdata,"",@progbits
; Kernel info:
; codeLenInByte = 596
; NumSgprs: 31
; NumVgprs: 15
; NumAgprs: 0
; TotalNumVgprs: 15
; ScratchSize: 0
; MemoryBound: 0
; FloatMode: 240
; IeeeMode: 1
; LDSByteSize: 0 bytes/workgroup (compile time only)
; SGPRBlocks: 3
; VGPRBlocks: 1
; NumSGPRsForWavesPerEU: 31
; NumVGPRsForWavesPerEU: 15
; AccumOffset: 16
; Occupancy: 8
; WaveLimiterHint : 1
; COMPUTE_PGM_RSRC2:SCRATCH_EN: 0
; COMPUTE_PGM_RSRC2:USER_SGPR: 6
; COMPUTE_PGM_RSRC2:TRAP_HANDLER: 0
; COMPUTE_PGM_RSRC2:TGID_X_EN: 1
; COMPUTE_PGM_RSRC2:TGID_Y_EN: 0
; COMPUTE_PGM_RSRC2:TGID_Z_EN: 0
; COMPUTE_PGM_RSRC2:TIDIG_COMP_CNT: 0
; COMPUTE_PGM_RSRC3_GFX90A:ACCUM_OFFSET: 3
; COMPUTE_PGM_RSRC3_GFX90A:TG_SPLIT: 0
	.section	.text._ZN9rocsparseL21csrmvn_general_kernelILj256ELj16EiiffffEEvbT2_NS_24const_host_device_scalarIT6_EEPKT1_S7_PKS1_PKT3_PKT4_S4_PT5_21rocsparse_index_base_b,"axG",@progbits,_ZN9rocsparseL21csrmvn_general_kernelILj256ELj16EiiffffEEvbT2_NS_24const_host_device_scalarIT6_EEPKT1_S7_PKS1_PKT3_PKT4_S4_PT5_21rocsparse_index_base_b,comdat
	.globl	_ZN9rocsparseL21csrmvn_general_kernelILj256ELj16EiiffffEEvbT2_NS_24const_host_device_scalarIT6_EEPKT1_S7_PKS1_PKT3_PKT4_S4_PT5_21rocsparse_index_base_b ; -- Begin function _ZN9rocsparseL21csrmvn_general_kernelILj256ELj16EiiffffEEvbT2_NS_24const_host_device_scalarIT6_EEPKT1_S7_PKS1_PKT3_PKT4_S4_PT5_21rocsparse_index_base_b
	.p2align	8
	.type	_ZN9rocsparseL21csrmvn_general_kernelILj256ELj16EiiffffEEvbT2_NS_24const_host_device_scalarIT6_EEPKT1_S7_PKS1_PKT3_PKT4_S4_PT5_21rocsparse_index_base_b,@function
_ZN9rocsparseL21csrmvn_general_kernelILj256ELj16EiiffffEEvbT2_NS_24const_host_device_scalarIT6_EEPKT1_S7_PKS1_PKT3_PKT4_S4_PT5_21rocsparse_index_base_b: ; @_ZN9rocsparseL21csrmvn_general_kernelILj256ELj16EiiffffEEvbT2_NS_24const_host_device_scalarIT6_EEPKT1_S7_PKS1_PKT3_PKT4_S4_PT5_21rocsparse_index_base_b
; %bb.0:
	s_load_dwordx2 s[20:21], s[4:5], 0x48
	s_load_dwordx4 s[16:19], s[4:5], 0x8
	s_load_dwordx2 s[22:23], s[4:5], 0x38
	s_waitcnt lgkmcnt(0)
	s_bitcmp1_b32 s21, 0
	s_cselect_b64 s[2:3], -1, 0
	s_xor_b64 s[0:1], s[2:3], -1
	s_and_b64 vcc, exec, s[2:3]
	s_cbranch_vccnz .LBB3_2
; %bb.1:
	s_load_dword s16, s[16:17], 0x0
.LBB3_2:
	s_andn2_b64 vcc, exec, s[0:1]
	s_cbranch_vccnz .LBB3_4
; %bb.3:
	s_load_dword s22, s[22:23], 0x0
.LBB3_4:
	s_waitcnt lgkmcnt(0)
	v_cmp_neq_f32_e64 s[0:1], s16, 0
	v_cmp_neq_f32_e64 s[2:3], s22, 1.0
	s_or_b64 s[0:1], s[0:1], s[2:3]
	s_andn2_b64 vcc, exec, s[0:1]
	s_cbranch_vccnz .LBB3_16
; %bb.5:
	s_load_dword s17, s[4:5], 0x4
	v_lshl_or_b32 v1, s6, 8, v0
	v_lshrrev_b32_e32 v2, 4, v1
	s_waitcnt lgkmcnt(0)
	v_cmp_gt_i32_e32 vcc, s17, v2
	s_and_saveexec_b64 s[0:1], vcc
	s_cbranch_execz .LBB3_16
; %bb.6:
	s_load_dword s0, s[4:5], 0x50
	s_load_dwordx2 s[6:7], s[4:5], 0x40
	s_load_dwordx8 s[8:15], s[4:5], 0x18
	s_ashr_i32 s21, s20, 31
	v_and_b32_e32 v0, 15, v0
	s_waitcnt lgkmcnt(0)
	s_lshl_b32 s23, s0, 4
	s_lshl_b64 s[0:1], s[20:21], 2
	s_sub_u32 s21, s14, s0
	v_cmp_neq_f32_e64 s[2:3], s22, 0
	v_subrev_u32_e32 v6, s20, v0
	s_subb_u32 s26, s15, s1
	v_cmp_eq_u32_e64 s[0:1], 15, v0
	v_cndmask_b32_e64 v0, 0, 1, s[2:3]
	s_mov_b64 s[14:15], 0
	v_mov_b32_e32 v7, s19
	v_mov_b32_e32 v8, s9
	v_cmp_ne_u32_e64 s[2:3], 1, v0
	s_branch .LBB3_9
.LBB3_7:                                ;   in Loop: Header=BB3_9 Depth=1
	global_store_dword v[0:1], v3, off
.LBB3_8:                                ;   in Loop: Header=BB3_9 Depth=1
	s_or_b64 exec, exec, s[24:25]
	v_add_u32_e32 v2, s23, v2
	v_cmp_le_i32_e32 vcc, s17, v2
	s_or_b64 s[14:15], vcc, s[14:15]
	s_andn2_b64 exec, exec, s[14:15]
	s_cbranch_execz .LBB3_16
.LBB3_9:                                ; =>This Loop Header: Depth=1
                                        ;     Child Loop BB3_11 Depth 2
	v_ashrrev_i32_e32 v3, 31, v2
	v_lshlrev_b64 v[0:1], 2, v[2:3]
	v_add_co_u32_e32 v4, vcc, s18, v0
	v_addc_co_u32_e32 v5, vcc, v7, v1, vcc
	v_add_co_u32_e32 v10, vcc, s8, v0
	v_addc_co_u32_e32 v11, vcc, v8, v1, vcc
	global_load_dword v3, v[10:11], off
	global_load_dword v12, v[4:5], off
	s_waitcnt vmcnt(1)
	v_subrev_u32_e32 v9, s20, v3
	s_waitcnt vmcnt(0)
	v_add_u32_e32 v4, v12, v6
	v_cmp_lt_i32_e32 vcc, v4, v9
	v_mov_b32_e32 v3, 0
	s_and_saveexec_b64 s[4:5], vcc
	s_cbranch_execz .LBB3_13
; %bb.10:                               ;   in Loop: Header=BB3_9 Depth=1
	s_mov_b64 s[24:25], 0
	v_mov_b32_e32 v3, 0
.LBB3_11:                               ;   Parent Loop BB3_9 Depth=1
                                        ; =>  This Inner Loop Header: Depth=2
	v_ashrrev_i32_e32 v5, 31, v4
	v_lshlrev_b64 v[10:11], 2, v[4:5]
	v_mov_b32_e32 v5, s11
	v_add_co_u32_e32 v12, vcc, s10, v10
	v_addc_co_u32_e32 v13, vcc, v5, v11, vcc
	global_load_dword v12, v[12:13], off
	v_mov_b32_e32 v5, s13
	v_add_co_u32_e32 v10, vcc, s12, v10
	v_addc_co_u32_e32 v11, vcc, v5, v11, vcc
	global_load_dword v5, v[10:11], off
	v_mov_b32_e32 v14, s26
	v_add_u32_e32 v4, 16, v4
	s_waitcnt vmcnt(1)
	v_ashrrev_i32_e32 v13, 31, v12
	v_lshlrev_b64 v[10:11], 2, v[12:13]
	v_add_co_u32_e32 v10, vcc, s21, v10
	v_addc_co_u32_e32 v11, vcc, v14, v11, vcc
	global_load_dword v10, v[10:11], off
	s_waitcnt vmcnt(1)
	v_mul_f32_e32 v5, s16, v5
	v_cmp_ge_i32_e32 vcc, v4, v9
	s_or_b64 s[24:25], vcc, s[24:25]
	s_waitcnt vmcnt(0)
	v_fmac_f32_e32 v3, v5, v10
	s_andn2_b64 exec, exec, s[24:25]
	s_cbranch_execnz .LBB3_11
; %bb.12:                               ;   in Loop: Header=BB3_9 Depth=1
	s_or_b64 exec, exec, s[24:25]
.LBB3_13:                               ;   in Loop: Header=BB3_9 Depth=1
	s_or_b64 exec, exec, s[4:5]
	v_mov_b32_dpp v4, v3 row_shr:1 row_mask:0xf bank_mask:0xf
	v_add_f32_e32 v3, v3, v4
	s_nop 1
	v_mov_b32_dpp v4, v3 row_shr:2 row_mask:0xf bank_mask:0xf
	v_add_f32_e32 v3, v3, v4
	s_nop 1
	v_mov_b32_dpp v4, v3 row_shr:4 row_mask:0xf bank_mask:0xe
	v_add_f32_e32 v3, v3, v4
	s_nop 1
	v_mov_b32_dpp v4, v3 row_shr:8 row_mask:0xf bank_mask:0xc
	s_and_saveexec_b64 s[24:25], s[0:1]
	s_cbranch_execz .LBB3_8
; %bb.14:                               ;   in Loop: Header=BB3_9 Depth=1
	v_add_f32_e32 v3, v3, v4
	v_mov_b32_e32 v4, s7
	v_add_co_u32_e64 v0, s[4:5], s6, v0
	s_and_b64 vcc, exec, s[2:3]
	v_addc_co_u32_e64 v1, s[4:5], v4, v1, s[4:5]
	s_cbranch_vccnz .LBB3_7
; %bb.15:                               ;   in Loop: Header=BB3_9 Depth=1
	global_load_dword v4, v[0:1], off
	s_waitcnt vmcnt(0)
	v_fmac_f32_e32 v3, s22, v4
	s_branch .LBB3_7
.LBB3_16:
	s_endpgm
	.section	.rodata,"a",@progbits
	.p2align	6, 0x0
	.amdhsa_kernel _ZN9rocsparseL21csrmvn_general_kernelILj256ELj16EiiffffEEvbT2_NS_24const_host_device_scalarIT6_EEPKT1_S7_PKS1_PKT3_PKT4_S4_PT5_21rocsparse_index_base_b
		.amdhsa_group_segment_fixed_size 0
		.amdhsa_private_segment_fixed_size 0
		.amdhsa_kernarg_size 336
		.amdhsa_user_sgpr_count 6
		.amdhsa_user_sgpr_private_segment_buffer 1
		.amdhsa_user_sgpr_dispatch_ptr 0
		.amdhsa_user_sgpr_queue_ptr 0
		.amdhsa_user_sgpr_kernarg_segment_ptr 1
		.amdhsa_user_sgpr_dispatch_id 0
		.amdhsa_user_sgpr_flat_scratch_init 0
		.amdhsa_user_sgpr_kernarg_preload_length 0
		.amdhsa_user_sgpr_kernarg_preload_offset 0
		.amdhsa_user_sgpr_private_segment_size 0
		.amdhsa_uses_dynamic_stack 0
		.amdhsa_system_sgpr_private_segment_wavefront_offset 0
		.amdhsa_system_sgpr_workgroup_id_x 1
		.amdhsa_system_sgpr_workgroup_id_y 0
		.amdhsa_system_sgpr_workgroup_id_z 0
		.amdhsa_system_sgpr_workgroup_info 0
		.amdhsa_system_vgpr_workitem_id 0
		.amdhsa_next_free_vgpr 15
		.amdhsa_next_free_sgpr 27
		.amdhsa_accum_offset 16
		.amdhsa_reserve_vcc 1
		.amdhsa_reserve_flat_scratch 0
		.amdhsa_float_round_mode_32 0
		.amdhsa_float_round_mode_16_64 0
		.amdhsa_float_denorm_mode_32 3
		.amdhsa_float_denorm_mode_16_64 3
		.amdhsa_dx10_clamp 1
		.amdhsa_ieee_mode 1
		.amdhsa_fp16_overflow 0
		.amdhsa_tg_split 0
		.amdhsa_exception_fp_ieee_invalid_op 0
		.amdhsa_exception_fp_denorm_src 0
		.amdhsa_exception_fp_ieee_div_zero 0
		.amdhsa_exception_fp_ieee_overflow 0
		.amdhsa_exception_fp_ieee_underflow 0
		.amdhsa_exception_fp_ieee_inexact 0
		.amdhsa_exception_int_div_zero 0
	.end_amdhsa_kernel
	.section	.text._ZN9rocsparseL21csrmvn_general_kernelILj256ELj16EiiffffEEvbT2_NS_24const_host_device_scalarIT6_EEPKT1_S7_PKS1_PKT3_PKT4_S4_PT5_21rocsparse_index_base_b,"axG",@progbits,_ZN9rocsparseL21csrmvn_general_kernelILj256ELj16EiiffffEEvbT2_NS_24const_host_device_scalarIT6_EEPKT1_S7_PKS1_PKT3_PKT4_S4_PT5_21rocsparse_index_base_b,comdat
.Lfunc_end3:
	.size	_ZN9rocsparseL21csrmvn_general_kernelILj256ELj16EiiffffEEvbT2_NS_24const_host_device_scalarIT6_EEPKT1_S7_PKS1_PKT3_PKT4_S4_PT5_21rocsparse_index_base_b, .Lfunc_end3-_ZN9rocsparseL21csrmvn_general_kernelILj256ELj16EiiffffEEvbT2_NS_24const_host_device_scalarIT6_EEPKT1_S7_PKS1_PKT3_PKT4_S4_PT5_21rocsparse_index_base_b
                                        ; -- End function
	.section	.AMDGPU.csdata,"",@progbits
; Kernel info:
; codeLenInByte = 612
; NumSgprs: 31
; NumVgprs: 15
; NumAgprs: 0
; TotalNumVgprs: 15
; ScratchSize: 0
; MemoryBound: 0
; FloatMode: 240
; IeeeMode: 1
; LDSByteSize: 0 bytes/workgroup (compile time only)
; SGPRBlocks: 3
; VGPRBlocks: 1
; NumSGPRsForWavesPerEU: 31
; NumVGPRsForWavesPerEU: 15
; AccumOffset: 16
; Occupancy: 8
; WaveLimiterHint : 1
; COMPUTE_PGM_RSRC2:SCRATCH_EN: 0
; COMPUTE_PGM_RSRC2:USER_SGPR: 6
; COMPUTE_PGM_RSRC2:TRAP_HANDLER: 0
; COMPUTE_PGM_RSRC2:TGID_X_EN: 1
; COMPUTE_PGM_RSRC2:TGID_Y_EN: 0
; COMPUTE_PGM_RSRC2:TGID_Z_EN: 0
; COMPUTE_PGM_RSRC2:TIDIG_COMP_CNT: 0
; COMPUTE_PGM_RSRC3_GFX90A:ACCUM_OFFSET: 3
; COMPUTE_PGM_RSRC3_GFX90A:TG_SPLIT: 0
	.section	.text._ZN9rocsparseL21csrmvn_general_kernelILj256ELj32EiiffffEEvbT2_NS_24const_host_device_scalarIT6_EEPKT1_S7_PKS1_PKT3_PKT4_S4_PT5_21rocsparse_index_base_b,"axG",@progbits,_ZN9rocsparseL21csrmvn_general_kernelILj256ELj32EiiffffEEvbT2_NS_24const_host_device_scalarIT6_EEPKT1_S7_PKS1_PKT3_PKT4_S4_PT5_21rocsparse_index_base_b,comdat
	.globl	_ZN9rocsparseL21csrmvn_general_kernelILj256ELj32EiiffffEEvbT2_NS_24const_host_device_scalarIT6_EEPKT1_S7_PKS1_PKT3_PKT4_S4_PT5_21rocsparse_index_base_b ; -- Begin function _ZN9rocsparseL21csrmvn_general_kernelILj256ELj32EiiffffEEvbT2_NS_24const_host_device_scalarIT6_EEPKT1_S7_PKS1_PKT3_PKT4_S4_PT5_21rocsparse_index_base_b
	.p2align	8
	.type	_ZN9rocsparseL21csrmvn_general_kernelILj256ELj32EiiffffEEvbT2_NS_24const_host_device_scalarIT6_EEPKT1_S7_PKS1_PKT3_PKT4_S4_PT5_21rocsparse_index_base_b,@function
_ZN9rocsparseL21csrmvn_general_kernelILj256ELj32EiiffffEEvbT2_NS_24const_host_device_scalarIT6_EEPKT1_S7_PKS1_PKT3_PKT4_S4_PT5_21rocsparse_index_base_b: ; @_ZN9rocsparseL21csrmvn_general_kernelILj256ELj32EiiffffEEvbT2_NS_24const_host_device_scalarIT6_EEPKT1_S7_PKS1_PKT3_PKT4_S4_PT5_21rocsparse_index_base_b
; %bb.0:
	s_load_dwordx2 s[20:21], s[4:5], 0x48
	s_load_dwordx4 s[16:19], s[4:5], 0x8
	s_load_dwordx2 s[22:23], s[4:5], 0x38
	s_waitcnt lgkmcnt(0)
	s_bitcmp1_b32 s21, 0
	s_cselect_b64 s[2:3], -1, 0
	s_xor_b64 s[0:1], s[2:3], -1
	s_and_b64 vcc, exec, s[2:3]
	s_cbranch_vccnz .LBB4_2
; %bb.1:
	s_load_dword s16, s[16:17], 0x0
.LBB4_2:
	s_andn2_b64 vcc, exec, s[0:1]
	s_cbranch_vccnz .LBB4_4
; %bb.3:
	s_load_dword s22, s[22:23], 0x0
.LBB4_4:
	s_waitcnt lgkmcnt(0)
	v_cmp_neq_f32_e64 s[0:1], s16, 0
	v_cmp_neq_f32_e64 s[2:3], s22, 1.0
	s_or_b64 s[0:1], s[0:1], s[2:3]
	s_andn2_b64 vcc, exec, s[0:1]
	s_cbranch_vccnz .LBB4_16
; %bb.5:
	s_load_dword s17, s[4:5], 0x4
	v_lshl_or_b32 v1, s6, 8, v0
	v_lshrrev_b32_e32 v2, 5, v1
	s_waitcnt lgkmcnt(0)
	v_cmp_gt_i32_e32 vcc, s17, v2
	s_and_saveexec_b64 s[0:1], vcc
	s_cbranch_execz .LBB4_16
; %bb.6:
	s_load_dword s0, s[4:5], 0x50
	s_load_dwordx2 s[6:7], s[4:5], 0x40
	s_load_dwordx8 s[8:15], s[4:5], 0x18
	s_ashr_i32 s21, s20, 31
	v_and_b32_e32 v0, 31, v0
	s_waitcnt lgkmcnt(0)
	s_lshl_b32 s23, s0, 3
	s_lshl_b64 s[0:1], s[20:21], 2
	s_sub_u32 s21, s14, s0
	v_cmp_neq_f32_e64 s[2:3], s22, 0
	v_subrev_u32_e32 v6, s20, v0
	s_subb_u32 s26, s15, s1
	v_cmp_eq_u32_e64 s[0:1], 31, v0
	v_cndmask_b32_e64 v0, 0, 1, s[2:3]
	s_mov_b64 s[14:15], 0
	v_mov_b32_e32 v7, s19
	v_mov_b32_e32 v8, s9
	v_cmp_ne_u32_e64 s[2:3], 1, v0
	s_branch .LBB4_9
.LBB4_7:                                ;   in Loop: Header=BB4_9 Depth=1
	global_store_dword v[0:1], v3, off
.LBB4_8:                                ;   in Loop: Header=BB4_9 Depth=1
	s_or_b64 exec, exec, s[24:25]
	v_add_u32_e32 v2, s23, v2
	v_cmp_le_i32_e32 vcc, s17, v2
	s_or_b64 s[14:15], vcc, s[14:15]
	s_andn2_b64 exec, exec, s[14:15]
	s_cbranch_execz .LBB4_16
.LBB4_9:                                ; =>This Loop Header: Depth=1
                                        ;     Child Loop BB4_11 Depth 2
	v_ashrrev_i32_e32 v3, 31, v2
	v_lshlrev_b64 v[0:1], 2, v[2:3]
	v_add_co_u32_e32 v4, vcc, s18, v0
	v_addc_co_u32_e32 v5, vcc, v7, v1, vcc
	v_add_co_u32_e32 v10, vcc, s8, v0
	v_addc_co_u32_e32 v11, vcc, v8, v1, vcc
	global_load_dword v3, v[10:11], off
	global_load_dword v12, v[4:5], off
	s_waitcnt vmcnt(1)
	v_subrev_u32_e32 v9, s20, v3
	s_waitcnt vmcnt(0)
	v_add_u32_e32 v4, v12, v6
	v_cmp_lt_i32_e32 vcc, v4, v9
	v_mov_b32_e32 v3, 0
	s_and_saveexec_b64 s[4:5], vcc
	s_cbranch_execz .LBB4_13
; %bb.10:                               ;   in Loop: Header=BB4_9 Depth=1
	s_mov_b64 s[24:25], 0
	v_mov_b32_e32 v3, 0
.LBB4_11:                               ;   Parent Loop BB4_9 Depth=1
                                        ; =>  This Inner Loop Header: Depth=2
	v_ashrrev_i32_e32 v5, 31, v4
	v_lshlrev_b64 v[10:11], 2, v[4:5]
	v_mov_b32_e32 v5, s11
	v_add_co_u32_e32 v12, vcc, s10, v10
	v_addc_co_u32_e32 v13, vcc, v5, v11, vcc
	global_load_dword v12, v[12:13], off
	v_mov_b32_e32 v5, s13
	v_add_co_u32_e32 v10, vcc, s12, v10
	v_addc_co_u32_e32 v11, vcc, v5, v11, vcc
	global_load_dword v5, v[10:11], off
	v_mov_b32_e32 v14, s26
	v_add_u32_e32 v4, 32, v4
	s_waitcnt vmcnt(1)
	v_ashrrev_i32_e32 v13, 31, v12
	v_lshlrev_b64 v[10:11], 2, v[12:13]
	v_add_co_u32_e32 v10, vcc, s21, v10
	v_addc_co_u32_e32 v11, vcc, v14, v11, vcc
	global_load_dword v10, v[10:11], off
	s_waitcnt vmcnt(1)
	v_mul_f32_e32 v5, s16, v5
	v_cmp_ge_i32_e32 vcc, v4, v9
	s_or_b64 s[24:25], vcc, s[24:25]
	s_waitcnt vmcnt(0)
	v_fmac_f32_e32 v3, v5, v10
	s_andn2_b64 exec, exec, s[24:25]
	s_cbranch_execnz .LBB4_11
; %bb.12:                               ;   in Loop: Header=BB4_9 Depth=1
	s_or_b64 exec, exec, s[24:25]
.LBB4_13:                               ;   in Loop: Header=BB4_9 Depth=1
	s_or_b64 exec, exec, s[4:5]
	v_mov_b32_dpp v4, v3 row_shr:1 row_mask:0xf bank_mask:0xf
	v_add_f32_e32 v3, v3, v4
	s_nop 1
	v_mov_b32_dpp v4, v3 row_shr:2 row_mask:0xf bank_mask:0xf
	v_add_f32_e32 v3, v3, v4
	s_nop 1
	;; [unrolled: 3-line block ×4, first 2 shown]
	v_mov_b32_dpp v4, v3 row_bcast:15 row_mask:0xa bank_mask:0xf
	s_and_saveexec_b64 s[24:25], s[0:1]
	s_cbranch_execz .LBB4_8
; %bb.14:                               ;   in Loop: Header=BB4_9 Depth=1
	v_add_f32_e32 v3, v3, v4
	v_mov_b32_e32 v4, s7
	v_add_co_u32_e64 v0, s[4:5], s6, v0
	s_and_b64 vcc, exec, s[2:3]
	v_addc_co_u32_e64 v1, s[4:5], v4, v1, s[4:5]
	s_cbranch_vccnz .LBB4_7
; %bb.15:                               ;   in Loop: Header=BB4_9 Depth=1
	global_load_dword v4, v[0:1], off
	s_waitcnt vmcnt(0)
	v_fmac_f32_e32 v3, s22, v4
	s_branch .LBB4_7
.LBB4_16:
	s_endpgm
	.section	.rodata,"a",@progbits
	.p2align	6, 0x0
	.amdhsa_kernel _ZN9rocsparseL21csrmvn_general_kernelILj256ELj32EiiffffEEvbT2_NS_24const_host_device_scalarIT6_EEPKT1_S7_PKS1_PKT3_PKT4_S4_PT5_21rocsparse_index_base_b
		.amdhsa_group_segment_fixed_size 0
		.amdhsa_private_segment_fixed_size 0
		.amdhsa_kernarg_size 336
		.amdhsa_user_sgpr_count 6
		.amdhsa_user_sgpr_private_segment_buffer 1
		.amdhsa_user_sgpr_dispatch_ptr 0
		.amdhsa_user_sgpr_queue_ptr 0
		.amdhsa_user_sgpr_kernarg_segment_ptr 1
		.amdhsa_user_sgpr_dispatch_id 0
		.amdhsa_user_sgpr_flat_scratch_init 0
		.amdhsa_user_sgpr_kernarg_preload_length 0
		.amdhsa_user_sgpr_kernarg_preload_offset 0
		.amdhsa_user_sgpr_private_segment_size 0
		.amdhsa_uses_dynamic_stack 0
		.amdhsa_system_sgpr_private_segment_wavefront_offset 0
		.amdhsa_system_sgpr_workgroup_id_x 1
		.amdhsa_system_sgpr_workgroup_id_y 0
		.amdhsa_system_sgpr_workgroup_id_z 0
		.amdhsa_system_sgpr_workgroup_info 0
		.amdhsa_system_vgpr_workitem_id 0
		.amdhsa_next_free_vgpr 15
		.amdhsa_next_free_sgpr 27
		.amdhsa_accum_offset 16
		.amdhsa_reserve_vcc 1
		.amdhsa_reserve_flat_scratch 0
		.amdhsa_float_round_mode_32 0
		.amdhsa_float_round_mode_16_64 0
		.amdhsa_float_denorm_mode_32 3
		.amdhsa_float_denorm_mode_16_64 3
		.amdhsa_dx10_clamp 1
		.amdhsa_ieee_mode 1
		.amdhsa_fp16_overflow 0
		.amdhsa_tg_split 0
		.amdhsa_exception_fp_ieee_invalid_op 0
		.amdhsa_exception_fp_denorm_src 0
		.amdhsa_exception_fp_ieee_div_zero 0
		.amdhsa_exception_fp_ieee_overflow 0
		.amdhsa_exception_fp_ieee_underflow 0
		.amdhsa_exception_fp_ieee_inexact 0
		.amdhsa_exception_int_div_zero 0
	.end_amdhsa_kernel
	.section	.text._ZN9rocsparseL21csrmvn_general_kernelILj256ELj32EiiffffEEvbT2_NS_24const_host_device_scalarIT6_EEPKT1_S7_PKS1_PKT3_PKT4_S4_PT5_21rocsparse_index_base_b,"axG",@progbits,_ZN9rocsparseL21csrmvn_general_kernelILj256ELj32EiiffffEEvbT2_NS_24const_host_device_scalarIT6_EEPKT1_S7_PKS1_PKT3_PKT4_S4_PT5_21rocsparse_index_base_b,comdat
.Lfunc_end4:
	.size	_ZN9rocsparseL21csrmvn_general_kernelILj256ELj32EiiffffEEvbT2_NS_24const_host_device_scalarIT6_EEPKT1_S7_PKS1_PKT3_PKT4_S4_PT5_21rocsparse_index_base_b, .Lfunc_end4-_ZN9rocsparseL21csrmvn_general_kernelILj256ELj32EiiffffEEvbT2_NS_24const_host_device_scalarIT6_EEPKT1_S7_PKS1_PKT3_PKT4_S4_PT5_21rocsparse_index_base_b
                                        ; -- End function
	.section	.AMDGPU.csdata,"",@progbits
; Kernel info:
; codeLenInByte = 628
; NumSgprs: 31
; NumVgprs: 15
; NumAgprs: 0
; TotalNumVgprs: 15
; ScratchSize: 0
; MemoryBound: 0
; FloatMode: 240
; IeeeMode: 1
; LDSByteSize: 0 bytes/workgroup (compile time only)
; SGPRBlocks: 3
; VGPRBlocks: 1
; NumSGPRsForWavesPerEU: 31
; NumVGPRsForWavesPerEU: 15
; AccumOffset: 16
; Occupancy: 8
; WaveLimiterHint : 1
; COMPUTE_PGM_RSRC2:SCRATCH_EN: 0
; COMPUTE_PGM_RSRC2:USER_SGPR: 6
; COMPUTE_PGM_RSRC2:TRAP_HANDLER: 0
; COMPUTE_PGM_RSRC2:TGID_X_EN: 1
; COMPUTE_PGM_RSRC2:TGID_Y_EN: 0
; COMPUTE_PGM_RSRC2:TGID_Z_EN: 0
; COMPUTE_PGM_RSRC2:TIDIG_COMP_CNT: 0
; COMPUTE_PGM_RSRC3_GFX90A:ACCUM_OFFSET: 3
; COMPUTE_PGM_RSRC3_GFX90A:TG_SPLIT: 0
	.section	.text._ZN9rocsparseL21csrmvn_general_kernelILj256ELj64EiiffffEEvbT2_NS_24const_host_device_scalarIT6_EEPKT1_S7_PKS1_PKT3_PKT4_S4_PT5_21rocsparse_index_base_b,"axG",@progbits,_ZN9rocsparseL21csrmvn_general_kernelILj256ELj64EiiffffEEvbT2_NS_24const_host_device_scalarIT6_EEPKT1_S7_PKS1_PKT3_PKT4_S4_PT5_21rocsparse_index_base_b,comdat
	.globl	_ZN9rocsparseL21csrmvn_general_kernelILj256ELj64EiiffffEEvbT2_NS_24const_host_device_scalarIT6_EEPKT1_S7_PKS1_PKT3_PKT4_S4_PT5_21rocsparse_index_base_b ; -- Begin function _ZN9rocsparseL21csrmvn_general_kernelILj256ELj64EiiffffEEvbT2_NS_24const_host_device_scalarIT6_EEPKT1_S7_PKS1_PKT3_PKT4_S4_PT5_21rocsparse_index_base_b
	.p2align	8
	.type	_ZN9rocsparseL21csrmvn_general_kernelILj256ELj64EiiffffEEvbT2_NS_24const_host_device_scalarIT6_EEPKT1_S7_PKS1_PKT3_PKT4_S4_PT5_21rocsparse_index_base_b,@function
_ZN9rocsparseL21csrmvn_general_kernelILj256ELj64EiiffffEEvbT2_NS_24const_host_device_scalarIT6_EEPKT1_S7_PKS1_PKT3_PKT4_S4_PT5_21rocsparse_index_base_b: ; @_ZN9rocsparseL21csrmvn_general_kernelILj256ELj64EiiffffEEvbT2_NS_24const_host_device_scalarIT6_EEPKT1_S7_PKS1_PKT3_PKT4_S4_PT5_21rocsparse_index_base_b
; %bb.0:
	s_load_dwordx2 s[20:21], s[4:5], 0x48
	s_load_dwordx4 s[16:19], s[4:5], 0x8
	s_load_dwordx2 s[22:23], s[4:5], 0x38
	s_waitcnt lgkmcnt(0)
	s_bitcmp1_b32 s21, 0
	s_cselect_b64 s[2:3], -1, 0
	s_xor_b64 s[0:1], s[2:3], -1
	s_and_b64 vcc, exec, s[2:3]
	s_cbranch_vccnz .LBB5_2
; %bb.1:
	s_load_dword s16, s[16:17], 0x0
.LBB5_2:
	s_andn2_b64 vcc, exec, s[0:1]
	s_cbranch_vccnz .LBB5_4
; %bb.3:
	s_load_dword s22, s[22:23], 0x0
.LBB5_4:
	s_waitcnt lgkmcnt(0)
	v_cmp_neq_f32_e64 s[0:1], s16, 0
	v_cmp_neq_f32_e64 s[2:3], s22, 1.0
	s_or_b64 s[0:1], s[0:1], s[2:3]
	s_andn2_b64 vcc, exec, s[0:1]
	s_cbranch_vccnz .LBB5_16
; %bb.5:
	s_load_dword s17, s[4:5], 0x4
	v_lshl_or_b32 v1, s6, 8, v0
	v_lshrrev_b32_e32 v2, 6, v1
	s_waitcnt lgkmcnt(0)
	v_cmp_gt_i32_e32 vcc, s17, v2
	s_and_saveexec_b64 s[0:1], vcc
	s_cbranch_execz .LBB5_16
; %bb.6:
	s_load_dword s0, s[4:5], 0x50
	s_load_dwordx2 s[6:7], s[4:5], 0x40
	s_load_dwordx8 s[8:15], s[4:5], 0x18
	s_ashr_i32 s21, s20, 31
	v_and_b32_e32 v0, 63, v0
	s_waitcnt lgkmcnt(0)
	s_lshl_b32 s23, s0, 2
	s_lshl_b64 s[0:1], s[20:21], 2
	s_sub_u32 s21, s14, s0
	v_cmp_neq_f32_e64 s[2:3], s22, 0
	v_subrev_u32_e32 v6, s20, v0
	s_subb_u32 s26, s15, s1
	v_cmp_eq_u32_e64 s[0:1], 63, v0
	v_cndmask_b32_e64 v0, 0, 1, s[2:3]
	s_mov_b64 s[14:15], 0
	v_mov_b32_e32 v7, s19
	v_mov_b32_e32 v8, s9
	v_cmp_ne_u32_e64 s[2:3], 1, v0
	s_branch .LBB5_9
.LBB5_7:                                ;   in Loop: Header=BB5_9 Depth=1
	global_store_dword v[0:1], v3, off
.LBB5_8:                                ;   in Loop: Header=BB5_9 Depth=1
	s_or_b64 exec, exec, s[24:25]
	v_add_u32_e32 v2, s23, v2
	v_cmp_le_i32_e32 vcc, s17, v2
	s_or_b64 s[14:15], vcc, s[14:15]
	s_andn2_b64 exec, exec, s[14:15]
	s_cbranch_execz .LBB5_16
.LBB5_9:                                ; =>This Loop Header: Depth=1
                                        ;     Child Loop BB5_11 Depth 2
	v_ashrrev_i32_e32 v3, 31, v2
	v_lshlrev_b64 v[0:1], 2, v[2:3]
	v_add_co_u32_e32 v4, vcc, s18, v0
	v_addc_co_u32_e32 v5, vcc, v7, v1, vcc
	v_add_co_u32_e32 v10, vcc, s8, v0
	v_addc_co_u32_e32 v11, vcc, v8, v1, vcc
	global_load_dword v3, v[10:11], off
	global_load_dword v12, v[4:5], off
	s_waitcnt vmcnt(1)
	v_subrev_u32_e32 v9, s20, v3
	s_waitcnt vmcnt(0)
	v_add_u32_e32 v4, v12, v6
	v_cmp_lt_i32_e32 vcc, v4, v9
	v_mov_b32_e32 v3, 0
	s_and_saveexec_b64 s[4:5], vcc
	s_cbranch_execz .LBB5_13
; %bb.10:                               ;   in Loop: Header=BB5_9 Depth=1
	s_mov_b64 s[24:25], 0
	v_mov_b32_e32 v3, 0
.LBB5_11:                               ;   Parent Loop BB5_9 Depth=1
                                        ; =>  This Inner Loop Header: Depth=2
	v_ashrrev_i32_e32 v5, 31, v4
	v_lshlrev_b64 v[10:11], 2, v[4:5]
	v_mov_b32_e32 v5, s11
	v_add_co_u32_e32 v12, vcc, s10, v10
	v_addc_co_u32_e32 v13, vcc, v5, v11, vcc
	global_load_dword v12, v[12:13], off
	v_mov_b32_e32 v5, s13
	v_add_co_u32_e32 v10, vcc, s12, v10
	v_addc_co_u32_e32 v11, vcc, v5, v11, vcc
	global_load_dword v5, v[10:11], off
	v_mov_b32_e32 v14, s26
	v_add_u32_e32 v4, 64, v4
	s_waitcnt vmcnt(1)
	v_ashrrev_i32_e32 v13, 31, v12
	v_lshlrev_b64 v[10:11], 2, v[12:13]
	v_add_co_u32_e32 v10, vcc, s21, v10
	v_addc_co_u32_e32 v11, vcc, v14, v11, vcc
	global_load_dword v10, v[10:11], off
	s_waitcnt vmcnt(1)
	v_mul_f32_e32 v5, s16, v5
	v_cmp_ge_i32_e32 vcc, v4, v9
	s_or_b64 s[24:25], vcc, s[24:25]
	s_waitcnt vmcnt(0)
	v_fmac_f32_e32 v3, v5, v10
	s_andn2_b64 exec, exec, s[24:25]
	s_cbranch_execnz .LBB5_11
; %bb.12:                               ;   in Loop: Header=BB5_9 Depth=1
	s_or_b64 exec, exec, s[24:25]
.LBB5_13:                               ;   in Loop: Header=BB5_9 Depth=1
	s_or_b64 exec, exec, s[4:5]
	v_mov_b32_dpp v4, v3 row_shr:1 row_mask:0xf bank_mask:0xf
	v_add_f32_e32 v3, v3, v4
	s_nop 1
	v_mov_b32_dpp v4, v3 row_shr:2 row_mask:0xf bank_mask:0xf
	v_add_f32_e32 v3, v3, v4
	s_nop 1
	;; [unrolled: 3-line block ×4, first 2 shown]
	v_mov_b32_dpp v4, v3 row_bcast:15 row_mask:0xa bank_mask:0xf
	v_add_f32_e32 v3, v3, v4
	s_nop 1
	v_mov_b32_dpp v4, v3 row_bcast:31 row_mask:0xc bank_mask:0xf
	s_and_saveexec_b64 s[24:25], s[0:1]
	s_cbranch_execz .LBB5_8
; %bb.14:                               ;   in Loop: Header=BB5_9 Depth=1
	v_add_f32_e32 v3, v3, v4
	v_mov_b32_e32 v4, s7
	v_add_co_u32_e64 v0, s[4:5], s6, v0
	s_and_b64 vcc, exec, s[2:3]
	v_addc_co_u32_e64 v1, s[4:5], v4, v1, s[4:5]
	s_cbranch_vccnz .LBB5_7
; %bb.15:                               ;   in Loop: Header=BB5_9 Depth=1
	global_load_dword v4, v[0:1], off
	s_waitcnt vmcnt(0)
	v_fmac_f32_e32 v3, s22, v4
	s_branch .LBB5_7
.LBB5_16:
	s_endpgm
	.section	.rodata,"a",@progbits
	.p2align	6, 0x0
	.amdhsa_kernel _ZN9rocsparseL21csrmvn_general_kernelILj256ELj64EiiffffEEvbT2_NS_24const_host_device_scalarIT6_EEPKT1_S7_PKS1_PKT3_PKT4_S4_PT5_21rocsparse_index_base_b
		.amdhsa_group_segment_fixed_size 0
		.amdhsa_private_segment_fixed_size 0
		.amdhsa_kernarg_size 336
		.amdhsa_user_sgpr_count 6
		.amdhsa_user_sgpr_private_segment_buffer 1
		.amdhsa_user_sgpr_dispatch_ptr 0
		.amdhsa_user_sgpr_queue_ptr 0
		.amdhsa_user_sgpr_kernarg_segment_ptr 1
		.amdhsa_user_sgpr_dispatch_id 0
		.amdhsa_user_sgpr_flat_scratch_init 0
		.amdhsa_user_sgpr_kernarg_preload_length 0
		.amdhsa_user_sgpr_kernarg_preload_offset 0
		.amdhsa_user_sgpr_private_segment_size 0
		.amdhsa_uses_dynamic_stack 0
		.amdhsa_system_sgpr_private_segment_wavefront_offset 0
		.amdhsa_system_sgpr_workgroup_id_x 1
		.amdhsa_system_sgpr_workgroup_id_y 0
		.amdhsa_system_sgpr_workgroup_id_z 0
		.amdhsa_system_sgpr_workgroup_info 0
		.amdhsa_system_vgpr_workitem_id 0
		.amdhsa_next_free_vgpr 15
		.amdhsa_next_free_sgpr 27
		.amdhsa_accum_offset 16
		.amdhsa_reserve_vcc 1
		.amdhsa_reserve_flat_scratch 0
		.amdhsa_float_round_mode_32 0
		.amdhsa_float_round_mode_16_64 0
		.amdhsa_float_denorm_mode_32 3
		.amdhsa_float_denorm_mode_16_64 3
		.amdhsa_dx10_clamp 1
		.amdhsa_ieee_mode 1
		.amdhsa_fp16_overflow 0
		.amdhsa_tg_split 0
		.amdhsa_exception_fp_ieee_invalid_op 0
		.amdhsa_exception_fp_denorm_src 0
		.amdhsa_exception_fp_ieee_div_zero 0
		.amdhsa_exception_fp_ieee_overflow 0
		.amdhsa_exception_fp_ieee_underflow 0
		.amdhsa_exception_fp_ieee_inexact 0
		.amdhsa_exception_int_div_zero 0
	.end_amdhsa_kernel
	.section	.text._ZN9rocsparseL21csrmvn_general_kernelILj256ELj64EiiffffEEvbT2_NS_24const_host_device_scalarIT6_EEPKT1_S7_PKS1_PKT3_PKT4_S4_PT5_21rocsparse_index_base_b,"axG",@progbits,_ZN9rocsparseL21csrmvn_general_kernelILj256ELj64EiiffffEEvbT2_NS_24const_host_device_scalarIT6_EEPKT1_S7_PKS1_PKT3_PKT4_S4_PT5_21rocsparse_index_base_b,comdat
.Lfunc_end5:
	.size	_ZN9rocsparseL21csrmvn_general_kernelILj256ELj64EiiffffEEvbT2_NS_24const_host_device_scalarIT6_EEPKT1_S7_PKS1_PKT3_PKT4_S4_PT5_21rocsparse_index_base_b, .Lfunc_end5-_ZN9rocsparseL21csrmvn_general_kernelILj256ELj64EiiffffEEvbT2_NS_24const_host_device_scalarIT6_EEPKT1_S7_PKS1_PKT3_PKT4_S4_PT5_21rocsparse_index_base_b
                                        ; -- End function
	.section	.AMDGPU.csdata,"",@progbits
; Kernel info:
; codeLenInByte = 644
; NumSgprs: 31
; NumVgprs: 15
; NumAgprs: 0
; TotalNumVgprs: 15
; ScratchSize: 0
; MemoryBound: 0
; FloatMode: 240
; IeeeMode: 1
; LDSByteSize: 0 bytes/workgroup (compile time only)
; SGPRBlocks: 3
; VGPRBlocks: 1
; NumSGPRsForWavesPerEU: 31
; NumVGPRsForWavesPerEU: 15
; AccumOffset: 16
; Occupancy: 8
; WaveLimiterHint : 1
; COMPUTE_PGM_RSRC2:SCRATCH_EN: 0
; COMPUTE_PGM_RSRC2:USER_SGPR: 6
; COMPUTE_PGM_RSRC2:TRAP_HANDLER: 0
; COMPUTE_PGM_RSRC2:TGID_X_EN: 1
; COMPUTE_PGM_RSRC2:TGID_Y_EN: 0
; COMPUTE_PGM_RSRC2:TGID_Z_EN: 0
; COMPUTE_PGM_RSRC2:TIDIG_COMP_CNT: 0
; COMPUTE_PGM_RSRC3_GFX90A:ACCUM_OFFSET: 3
; COMPUTE_PGM_RSRC3_GFX90A:TG_SPLIT: 0
	.section	.text._ZN9rocsparseL21csrmvt_general_kernelILj256ELj4EiiffffEEvbbT2_NS_24const_host_device_scalarIT6_EEPKT1_S7_PKS1_PKT3_PKT4_PT5_21rocsparse_index_base_b,"axG",@progbits,_ZN9rocsparseL21csrmvt_general_kernelILj256ELj4EiiffffEEvbbT2_NS_24const_host_device_scalarIT6_EEPKT1_S7_PKS1_PKT3_PKT4_PT5_21rocsparse_index_base_b,comdat
	.globl	_ZN9rocsparseL21csrmvt_general_kernelILj256ELj4EiiffffEEvbbT2_NS_24const_host_device_scalarIT6_EEPKT1_S7_PKS1_PKT3_PKT4_PT5_21rocsparse_index_base_b ; -- Begin function _ZN9rocsparseL21csrmvt_general_kernelILj256ELj4EiiffffEEvbbT2_NS_24const_host_device_scalarIT6_EEPKT1_S7_PKS1_PKT3_PKT4_PT5_21rocsparse_index_base_b
	.p2align	8
	.type	_ZN9rocsparseL21csrmvt_general_kernelILj256ELj4EiiffffEEvbbT2_NS_24const_host_device_scalarIT6_EEPKT1_S7_PKS1_PKT3_PKT4_PT5_21rocsparse_index_base_b,@function
_ZN9rocsparseL21csrmvt_general_kernelILj256ELj4EiiffffEEvbbT2_NS_24const_host_device_scalarIT6_EEPKT1_S7_PKS1_PKT3_PKT4_PT5_21rocsparse_index_base_b: ; @_ZN9rocsparseL21csrmvt_general_kernelILj256ELj4EiiffffEEvbbT2_NS_24const_host_device_scalarIT6_EEPKT1_S7_PKS1_PKT3_PKT4_PT5_21rocsparse_index_base_b
; %bb.0:
	s_load_dwordx2 s[2:3], s[4:5], 0x40
	s_load_dwordx4 s[16:19], s[4:5], 0x8
	s_waitcnt lgkmcnt(0)
	s_bitcmp1_b32 s3, 0
	s_cselect_b64 s[0:1], -1, 0
	s_and_b64 vcc, exec, s[0:1]
	s_cbranch_vccnz .LBB6_2
; %bb.1:
	s_load_dword s16, s[16:17], 0x0
.LBB6_2:
	s_waitcnt lgkmcnt(0)
	v_cmp_eq_f32_e64 s[0:1], s16, 0
	s_and_b64 vcc, exec, s[0:1]
	s_cbranch_vccnz .LBB6_23
; %bb.3:
	s_load_dwordx2 s[20:21], s[4:5], 0x0
	s_load_dword s0, s[4:5], 0x48
	s_load_dwordx2 s[22:23], s[4:5], 0x38
	s_load_dwordx8 s[8:15], s[4:5], 0x18
	v_and_b32_e32 v1, 3, v0
	v_lshl_or_b32 v0, s6, 8, v0
	s_waitcnt lgkmcnt(0)
	s_and_b32 s1, s20, 1
	s_lshl_b32 s3, s0, 6
	v_lshrrev_b32_e32 v0, 2, v0
	s_cmp_eq_u32 s1, 0
	v_cmp_gt_i32_e64 s[0:1], s21, v0
	s_mov_b64 s[4:5], -1
	s_cbranch_scc0 .LBB6_13
; %bb.4:
	s_and_saveexec_b64 s[4:5], s[0:1]
	s_cbranch_execz .LBB6_12
; %bb.5:
	v_subrev_u32_e32 v10, s2, v1
	s_mov_b64 s[6:7], 0
	v_mov_b32_e32 v11, s19
	v_mov_b32_e32 v12, s9
	v_mov_b32_e32 v2, v0
	s_branch .LBB6_7
.LBB6_6:                                ;   in Loop: Header=BB6_7 Depth=1
	s_or_b64 exec, exec, s[24:25]
	v_add_u32_e32 v2, s3, v2
	v_cmp_le_i32_e32 vcc, s21, v2
	s_or_b64 s[6:7], vcc, s[6:7]
	s_andn2_b64 exec, exec, s[6:7]
	s_cbranch_execz .LBB6_12
.LBB6_7:                                ; =>This Loop Header: Depth=1
                                        ;     Child Loop BB6_9 Depth 2
                                        ;       Child Loop BB6_10 Depth 3
	v_ashrrev_i32_e32 v3, 31, v2
	v_lshlrev_b64 v[6:7], 2, v[2:3]
	v_add_co_u32_e32 v4, vcc, s18, v6
	v_addc_co_u32_e32 v5, vcc, v11, v7, vcc
	v_add_co_u32_e32 v8, vcc, s8, v6
	v_addc_co_u32_e32 v9, vcc, v12, v7, vcc
	global_load_dword v3, v[8:9], off
	global_load_dword v13, v[4:5], off
	s_waitcnt vmcnt(1)
	v_subrev_u32_e32 v3, s2, v3
	s_waitcnt vmcnt(0)
	v_add_u32_e32 v4, v13, v10
	v_cmp_lt_i32_e32 vcc, v4, v3
	s_and_saveexec_b64 s[24:25], vcc
	s_cbranch_execz .LBB6_6
; %bb.8:                                ;   in Loop: Header=BB6_7 Depth=1
	v_mov_b32_e32 v5, s15
	v_add_co_u32_e32 v6, vcc, s14, v6
	v_addc_co_u32_e32 v7, vcc, v5, v7, vcc
	global_load_dword v5, v[6:7], off
	s_mov_b64 s[26:27], 0
	s_waitcnt vmcnt(0)
	v_mul_f32_e32 v13, s16, v5
.LBB6_9:                                ;   Parent Loop BB6_7 Depth=1
                                        ; =>  This Loop Header: Depth=2
                                        ;       Child Loop BB6_10 Depth 3
	v_ashrrev_i32_e32 v5, 31, v4
	v_lshlrev_b64 v[6:7], 2, v[4:5]
	v_mov_b32_e32 v5, s11
	v_add_co_u32_e32 v8, vcc, s10, v6
	v_addc_co_u32_e32 v9, vcc, v5, v7, vcc
	global_load_dword v5, v[8:9], off
	v_mov_b32_e32 v8, s13
	v_add_co_u32_e32 v6, vcc, s12, v6
	v_addc_co_u32_e32 v7, vcc, v8, v7, vcc
	global_load_dword v8, v[6:7], off
	v_mov_b32_e32 v9, s23
	s_mov_b64 s[28:29], 0
	s_waitcnt vmcnt(1)
	v_subrev_u32_e32 v6, s2, v5
	v_ashrrev_i32_e32 v7, 31, v6
	v_lshlrev_b64 v[6:7], 2, v[6:7]
	v_add_co_u32_e32 v6, vcc, s22, v6
	v_addc_co_u32_e32 v7, vcc, v9, v7, vcc
	global_load_dword v9, v[6:7], off
	s_waitcnt vmcnt(1)
	v_mul_f32_e32 v5, v13, v8
.LBB6_10:                               ;   Parent Loop BB6_7 Depth=1
                                        ;     Parent Loop BB6_9 Depth=2
                                        ; =>    This Inner Loop Header: Depth=3
	s_waitcnt vmcnt(0)
	v_add_f32_e32 v8, v9, v5
	global_atomic_cmpswap v8, v[6:7], v[8:9], off glc
	s_waitcnt vmcnt(0)
	v_cmp_eq_u32_e32 vcc, v8, v9
	s_or_b64 s[28:29], vcc, s[28:29]
	v_mov_b32_e32 v9, v8
	s_andn2_b64 exec, exec, s[28:29]
	s_cbranch_execnz .LBB6_10
; %bb.11:                               ;   in Loop: Header=BB6_9 Depth=2
	s_or_b64 exec, exec, s[28:29]
	v_add_u32_e32 v4, 4, v4
	v_cmp_ge_i32_e32 vcc, v4, v3
	s_or_b64 s[26:27], vcc, s[26:27]
	s_andn2_b64 exec, exec, s[26:27]
	s_cbranch_execnz .LBB6_9
	s_branch .LBB6_6
.LBB6_12:
	s_or_b64 exec, exec, s[4:5]
	s_mov_b64 s[4:5], 0
.LBB6_13:
	s_andn2_b64 vcc, exec, s[4:5]
	s_cbranch_vccnz .LBB6_23
; %bb.14:
	s_and_saveexec_b64 s[4:5], s[0:1]
	s_cbranch_execz .LBB6_23
; %bb.15:
	v_subrev_u32_e32 v8, s2, v1
	s_mov_b64 s[0:1], 0
	v_mov_b32_e32 v9, s19
	v_mov_b32_e32 v10, s9
	s_branch .LBB6_17
.LBB6_16:                               ;   in Loop: Header=BB6_17 Depth=1
	s_or_b64 exec, exec, s[4:5]
	v_add_u32_e32 v0, s3, v0
	v_cmp_le_i32_e32 vcc, s21, v0
	s_or_b64 s[0:1], vcc, s[0:1]
	s_andn2_b64 exec, exec, s[0:1]
	s_cbranch_execz .LBB6_23
.LBB6_17:                               ; =>This Loop Header: Depth=1
                                        ;     Child Loop BB6_20 Depth 2
                                        ;       Child Loop BB6_22 Depth 3
	v_ashrrev_i32_e32 v1, 31, v0
	v_lshlrev_b64 v[4:5], 2, v[0:1]
	v_add_co_u32_e32 v2, vcc, s18, v4
	v_addc_co_u32_e32 v3, vcc, v9, v5, vcc
	v_add_co_u32_e32 v6, vcc, s8, v4
	v_addc_co_u32_e32 v7, vcc, v10, v5, vcc
	global_load_dword v1, v[6:7], off
	global_load_dword v11, v[2:3], off
	s_waitcnt vmcnt(1)
	v_subrev_u32_e32 v1, s2, v1
	s_waitcnt vmcnt(0)
	v_add_u32_e32 v2, v11, v8
	v_cmp_lt_i32_e32 vcc, v2, v1
	s_and_saveexec_b64 s[4:5], vcc
	s_cbranch_execz .LBB6_16
; %bb.18:                               ;   in Loop: Header=BB6_17 Depth=1
	v_mov_b32_e32 v3, s15
	v_add_co_u32_e32 v4, vcc, s14, v4
	v_addc_co_u32_e32 v5, vcc, v3, v5, vcc
	global_load_dword v3, v[4:5], off
	s_mov_b64 s[6:7], 0
	s_waitcnt vmcnt(0)
	v_mul_f32_e32 v11, s16, v3
	s_branch .LBB6_20
.LBB6_19:                               ;   in Loop: Header=BB6_20 Depth=2
	s_or_b64 exec, exec, s[24:25]
	v_add_u32_e32 v2, 4, v2
	v_cmp_ge_i32_e32 vcc, v2, v1
	s_or_b64 s[6:7], vcc, s[6:7]
	s_andn2_b64 exec, exec, s[6:7]
	s_cbranch_execz .LBB6_16
.LBB6_20:                               ;   Parent Loop BB6_17 Depth=1
                                        ; =>  This Loop Header: Depth=2
                                        ;       Child Loop BB6_22 Depth 3
	v_ashrrev_i32_e32 v3, 31, v2
	v_lshlrev_b64 v[4:5], 2, v[2:3]
	v_mov_b32_e32 v3, s11
	v_add_co_u32_e32 v6, vcc, s10, v4
	v_addc_co_u32_e32 v7, vcc, v3, v5, vcc
	global_load_dword v3, v[6:7], off
	s_waitcnt vmcnt(0)
	v_subrev_u32_e32 v6, s2, v3
	v_cmp_ne_u32_e32 vcc, v6, v0
	s_and_saveexec_b64 s[24:25], vcc
	s_cbranch_execz .LBB6_19
; %bb.21:                               ;   in Loop: Header=BB6_20 Depth=2
	v_mov_b32_e32 v3, s13
	v_add_co_u32_e32 v4, vcc, s12, v4
	v_ashrrev_i32_e32 v7, 31, v6
	v_addc_co_u32_e32 v5, vcc, v3, v5, vcc
	v_lshlrev_b64 v[6:7], 2, v[6:7]
	v_mov_b32_e32 v3, s23
	global_load_dword v12, v[4:5], off
	v_add_co_u32_e32 v4, vcc, s22, v6
	v_addc_co_u32_e32 v5, vcc, v3, v7, vcc
	global_load_dword v7, v[4:5], off
	s_mov_b64 s[26:27], 0
	s_waitcnt vmcnt(1)
	v_mul_f32_e32 v3, v11, v12
.LBB6_22:                               ;   Parent Loop BB6_17 Depth=1
                                        ;     Parent Loop BB6_20 Depth=2
                                        ; =>    This Inner Loop Header: Depth=3
	s_waitcnt vmcnt(0)
	v_add_f32_e32 v6, v7, v3
	global_atomic_cmpswap v6, v[4:5], v[6:7], off glc
	s_waitcnt vmcnt(0)
	v_cmp_eq_u32_e32 vcc, v6, v7
	s_or_b64 s[26:27], vcc, s[26:27]
	v_mov_b32_e32 v7, v6
	s_andn2_b64 exec, exec, s[26:27]
	s_cbranch_execnz .LBB6_22
	s_branch .LBB6_19
.LBB6_23:
	s_endpgm
	.section	.rodata,"a",@progbits
	.p2align	6, 0x0
	.amdhsa_kernel _ZN9rocsparseL21csrmvt_general_kernelILj256ELj4EiiffffEEvbbT2_NS_24const_host_device_scalarIT6_EEPKT1_S7_PKS1_PKT3_PKT4_PT5_21rocsparse_index_base_b
		.amdhsa_group_segment_fixed_size 0
		.amdhsa_private_segment_fixed_size 0
		.amdhsa_kernarg_size 328
		.amdhsa_user_sgpr_count 6
		.amdhsa_user_sgpr_private_segment_buffer 1
		.amdhsa_user_sgpr_dispatch_ptr 0
		.amdhsa_user_sgpr_queue_ptr 0
		.amdhsa_user_sgpr_kernarg_segment_ptr 1
		.amdhsa_user_sgpr_dispatch_id 0
		.amdhsa_user_sgpr_flat_scratch_init 0
		.amdhsa_user_sgpr_kernarg_preload_length 0
		.amdhsa_user_sgpr_kernarg_preload_offset 0
		.amdhsa_user_sgpr_private_segment_size 0
		.amdhsa_uses_dynamic_stack 0
		.amdhsa_system_sgpr_private_segment_wavefront_offset 0
		.amdhsa_system_sgpr_workgroup_id_x 1
		.amdhsa_system_sgpr_workgroup_id_y 0
		.amdhsa_system_sgpr_workgroup_id_z 0
		.amdhsa_system_sgpr_workgroup_info 0
		.amdhsa_system_vgpr_workitem_id 0
		.amdhsa_next_free_vgpr 14
		.amdhsa_next_free_sgpr 30
		.amdhsa_accum_offset 16
		.amdhsa_reserve_vcc 1
		.amdhsa_reserve_flat_scratch 0
		.amdhsa_float_round_mode_32 0
		.amdhsa_float_round_mode_16_64 0
		.amdhsa_float_denorm_mode_32 3
		.amdhsa_float_denorm_mode_16_64 3
		.amdhsa_dx10_clamp 1
		.amdhsa_ieee_mode 1
		.amdhsa_fp16_overflow 0
		.amdhsa_tg_split 0
		.amdhsa_exception_fp_ieee_invalid_op 0
		.amdhsa_exception_fp_denorm_src 0
		.amdhsa_exception_fp_ieee_div_zero 0
		.amdhsa_exception_fp_ieee_overflow 0
		.amdhsa_exception_fp_ieee_underflow 0
		.amdhsa_exception_fp_ieee_inexact 0
		.amdhsa_exception_int_div_zero 0
	.end_amdhsa_kernel
	.section	.text._ZN9rocsparseL21csrmvt_general_kernelILj256ELj4EiiffffEEvbbT2_NS_24const_host_device_scalarIT6_EEPKT1_S7_PKS1_PKT3_PKT4_PT5_21rocsparse_index_base_b,"axG",@progbits,_ZN9rocsparseL21csrmvt_general_kernelILj256ELj4EiiffffEEvbbT2_NS_24const_host_device_scalarIT6_EEPKT1_S7_PKS1_PKT3_PKT4_PT5_21rocsparse_index_base_b,comdat
.Lfunc_end6:
	.size	_ZN9rocsparseL21csrmvt_general_kernelILj256ELj4EiiffffEEvbbT2_NS_24const_host_device_scalarIT6_EEPKT1_S7_PKS1_PKT3_PKT4_PT5_21rocsparse_index_base_b, .Lfunc_end6-_ZN9rocsparseL21csrmvt_general_kernelILj256ELj4EiiffffEEvbbT2_NS_24const_host_device_scalarIT6_EEPKT1_S7_PKS1_PKT3_PKT4_PT5_21rocsparse_index_base_b
                                        ; -- End function
	.section	.AMDGPU.csdata,"",@progbits
; Kernel info:
; codeLenInByte = 840
; NumSgprs: 34
; NumVgprs: 14
; NumAgprs: 0
; TotalNumVgprs: 14
; ScratchSize: 0
; MemoryBound: 0
; FloatMode: 240
; IeeeMode: 1
; LDSByteSize: 0 bytes/workgroup (compile time only)
; SGPRBlocks: 4
; VGPRBlocks: 1
; NumSGPRsForWavesPerEU: 34
; NumVGPRsForWavesPerEU: 14
; AccumOffset: 16
; Occupancy: 8
; WaveLimiterHint : 1
; COMPUTE_PGM_RSRC2:SCRATCH_EN: 0
; COMPUTE_PGM_RSRC2:USER_SGPR: 6
; COMPUTE_PGM_RSRC2:TRAP_HANDLER: 0
; COMPUTE_PGM_RSRC2:TGID_X_EN: 1
; COMPUTE_PGM_RSRC2:TGID_Y_EN: 0
; COMPUTE_PGM_RSRC2:TGID_Z_EN: 0
; COMPUTE_PGM_RSRC2:TIDIG_COMP_CNT: 0
; COMPUTE_PGM_RSRC3_GFX90A:ACCUM_OFFSET: 3
; COMPUTE_PGM_RSRC3_GFX90A:TG_SPLIT: 0
	.section	.text._ZN9rocsparseL21csrmvt_general_kernelILj256ELj8EiiffffEEvbbT2_NS_24const_host_device_scalarIT6_EEPKT1_S7_PKS1_PKT3_PKT4_PT5_21rocsparse_index_base_b,"axG",@progbits,_ZN9rocsparseL21csrmvt_general_kernelILj256ELj8EiiffffEEvbbT2_NS_24const_host_device_scalarIT6_EEPKT1_S7_PKS1_PKT3_PKT4_PT5_21rocsparse_index_base_b,comdat
	.globl	_ZN9rocsparseL21csrmvt_general_kernelILj256ELj8EiiffffEEvbbT2_NS_24const_host_device_scalarIT6_EEPKT1_S7_PKS1_PKT3_PKT4_PT5_21rocsparse_index_base_b ; -- Begin function _ZN9rocsparseL21csrmvt_general_kernelILj256ELj8EiiffffEEvbbT2_NS_24const_host_device_scalarIT6_EEPKT1_S7_PKS1_PKT3_PKT4_PT5_21rocsparse_index_base_b
	.p2align	8
	.type	_ZN9rocsparseL21csrmvt_general_kernelILj256ELj8EiiffffEEvbbT2_NS_24const_host_device_scalarIT6_EEPKT1_S7_PKS1_PKT3_PKT4_PT5_21rocsparse_index_base_b,@function
_ZN9rocsparseL21csrmvt_general_kernelILj256ELj8EiiffffEEvbbT2_NS_24const_host_device_scalarIT6_EEPKT1_S7_PKS1_PKT3_PKT4_PT5_21rocsparse_index_base_b: ; @_ZN9rocsparseL21csrmvt_general_kernelILj256ELj8EiiffffEEvbbT2_NS_24const_host_device_scalarIT6_EEPKT1_S7_PKS1_PKT3_PKT4_PT5_21rocsparse_index_base_b
; %bb.0:
	s_load_dwordx2 s[2:3], s[4:5], 0x40
	s_load_dwordx4 s[16:19], s[4:5], 0x8
	s_waitcnt lgkmcnt(0)
	s_bitcmp1_b32 s3, 0
	s_cselect_b64 s[0:1], -1, 0
	s_and_b64 vcc, exec, s[0:1]
	s_cbranch_vccnz .LBB7_2
; %bb.1:
	s_load_dword s16, s[16:17], 0x0
.LBB7_2:
	s_waitcnt lgkmcnt(0)
	v_cmp_eq_f32_e64 s[0:1], s16, 0
	s_and_b64 vcc, exec, s[0:1]
	s_cbranch_vccnz .LBB7_23
; %bb.3:
	s_load_dwordx2 s[20:21], s[4:5], 0x0
	s_load_dword s0, s[4:5], 0x48
	s_load_dwordx2 s[22:23], s[4:5], 0x38
	s_load_dwordx8 s[8:15], s[4:5], 0x18
	v_and_b32_e32 v1, 7, v0
	v_lshl_or_b32 v0, s6, 8, v0
	s_waitcnt lgkmcnt(0)
	s_and_b32 s1, s20, 1
	s_lshl_b32 s3, s0, 5
	v_lshrrev_b32_e32 v0, 3, v0
	s_cmp_eq_u32 s1, 0
	v_cmp_gt_i32_e64 s[0:1], s21, v0
	s_mov_b64 s[4:5], -1
	s_cbranch_scc0 .LBB7_13
; %bb.4:
	s_and_saveexec_b64 s[4:5], s[0:1]
	s_cbranch_execz .LBB7_12
; %bb.5:
	v_subrev_u32_e32 v10, s2, v1
	s_mov_b64 s[6:7], 0
	v_mov_b32_e32 v11, s19
	v_mov_b32_e32 v12, s9
	;; [unrolled: 1-line block ×3, first 2 shown]
	s_branch .LBB7_7
.LBB7_6:                                ;   in Loop: Header=BB7_7 Depth=1
	s_or_b64 exec, exec, s[24:25]
	v_add_u32_e32 v2, s3, v2
	v_cmp_le_i32_e32 vcc, s21, v2
	s_or_b64 s[6:7], vcc, s[6:7]
	s_andn2_b64 exec, exec, s[6:7]
	s_cbranch_execz .LBB7_12
.LBB7_7:                                ; =>This Loop Header: Depth=1
                                        ;     Child Loop BB7_9 Depth 2
                                        ;       Child Loop BB7_10 Depth 3
	v_ashrrev_i32_e32 v3, 31, v2
	v_lshlrev_b64 v[6:7], 2, v[2:3]
	v_add_co_u32_e32 v4, vcc, s18, v6
	v_addc_co_u32_e32 v5, vcc, v11, v7, vcc
	v_add_co_u32_e32 v8, vcc, s8, v6
	v_addc_co_u32_e32 v9, vcc, v12, v7, vcc
	global_load_dword v3, v[8:9], off
	global_load_dword v13, v[4:5], off
	s_waitcnt vmcnt(1)
	v_subrev_u32_e32 v3, s2, v3
	s_waitcnt vmcnt(0)
	v_add_u32_e32 v4, v13, v10
	v_cmp_lt_i32_e32 vcc, v4, v3
	s_and_saveexec_b64 s[24:25], vcc
	s_cbranch_execz .LBB7_6
; %bb.8:                                ;   in Loop: Header=BB7_7 Depth=1
	v_mov_b32_e32 v5, s15
	v_add_co_u32_e32 v6, vcc, s14, v6
	v_addc_co_u32_e32 v7, vcc, v5, v7, vcc
	global_load_dword v5, v[6:7], off
	s_mov_b64 s[26:27], 0
	s_waitcnt vmcnt(0)
	v_mul_f32_e32 v13, s16, v5
.LBB7_9:                                ;   Parent Loop BB7_7 Depth=1
                                        ; =>  This Loop Header: Depth=2
                                        ;       Child Loop BB7_10 Depth 3
	v_ashrrev_i32_e32 v5, 31, v4
	v_lshlrev_b64 v[6:7], 2, v[4:5]
	v_mov_b32_e32 v5, s11
	v_add_co_u32_e32 v8, vcc, s10, v6
	v_addc_co_u32_e32 v9, vcc, v5, v7, vcc
	global_load_dword v5, v[8:9], off
	v_mov_b32_e32 v8, s13
	v_add_co_u32_e32 v6, vcc, s12, v6
	v_addc_co_u32_e32 v7, vcc, v8, v7, vcc
	global_load_dword v8, v[6:7], off
	v_mov_b32_e32 v9, s23
	s_mov_b64 s[28:29], 0
	s_waitcnt vmcnt(1)
	v_subrev_u32_e32 v6, s2, v5
	v_ashrrev_i32_e32 v7, 31, v6
	v_lshlrev_b64 v[6:7], 2, v[6:7]
	v_add_co_u32_e32 v6, vcc, s22, v6
	v_addc_co_u32_e32 v7, vcc, v9, v7, vcc
	global_load_dword v9, v[6:7], off
	s_waitcnt vmcnt(1)
	v_mul_f32_e32 v5, v13, v8
.LBB7_10:                               ;   Parent Loop BB7_7 Depth=1
                                        ;     Parent Loop BB7_9 Depth=2
                                        ; =>    This Inner Loop Header: Depth=3
	s_waitcnt vmcnt(0)
	v_add_f32_e32 v8, v9, v5
	global_atomic_cmpswap v8, v[6:7], v[8:9], off glc
	s_waitcnt vmcnt(0)
	v_cmp_eq_u32_e32 vcc, v8, v9
	s_or_b64 s[28:29], vcc, s[28:29]
	v_mov_b32_e32 v9, v8
	s_andn2_b64 exec, exec, s[28:29]
	s_cbranch_execnz .LBB7_10
; %bb.11:                               ;   in Loop: Header=BB7_9 Depth=2
	s_or_b64 exec, exec, s[28:29]
	v_add_u32_e32 v4, 8, v4
	v_cmp_ge_i32_e32 vcc, v4, v3
	s_or_b64 s[26:27], vcc, s[26:27]
	s_andn2_b64 exec, exec, s[26:27]
	s_cbranch_execnz .LBB7_9
	s_branch .LBB7_6
.LBB7_12:
	s_or_b64 exec, exec, s[4:5]
	s_mov_b64 s[4:5], 0
.LBB7_13:
	s_andn2_b64 vcc, exec, s[4:5]
	s_cbranch_vccnz .LBB7_23
; %bb.14:
	s_and_saveexec_b64 s[4:5], s[0:1]
	s_cbranch_execz .LBB7_23
; %bb.15:
	v_subrev_u32_e32 v8, s2, v1
	s_mov_b64 s[0:1], 0
	v_mov_b32_e32 v9, s19
	v_mov_b32_e32 v10, s9
	s_branch .LBB7_17
.LBB7_16:                               ;   in Loop: Header=BB7_17 Depth=1
	s_or_b64 exec, exec, s[4:5]
	v_add_u32_e32 v0, s3, v0
	v_cmp_le_i32_e32 vcc, s21, v0
	s_or_b64 s[0:1], vcc, s[0:1]
	s_andn2_b64 exec, exec, s[0:1]
	s_cbranch_execz .LBB7_23
.LBB7_17:                               ; =>This Loop Header: Depth=1
                                        ;     Child Loop BB7_20 Depth 2
                                        ;       Child Loop BB7_22 Depth 3
	v_ashrrev_i32_e32 v1, 31, v0
	v_lshlrev_b64 v[4:5], 2, v[0:1]
	v_add_co_u32_e32 v2, vcc, s18, v4
	v_addc_co_u32_e32 v3, vcc, v9, v5, vcc
	v_add_co_u32_e32 v6, vcc, s8, v4
	v_addc_co_u32_e32 v7, vcc, v10, v5, vcc
	global_load_dword v1, v[6:7], off
	global_load_dword v11, v[2:3], off
	s_waitcnt vmcnt(1)
	v_subrev_u32_e32 v1, s2, v1
	s_waitcnt vmcnt(0)
	v_add_u32_e32 v2, v11, v8
	v_cmp_lt_i32_e32 vcc, v2, v1
	s_and_saveexec_b64 s[4:5], vcc
	s_cbranch_execz .LBB7_16
; %bb.18:                               ;   in Loop: Header=BB7_17 Depth=1
	v_mov_b32_e32 v3, s15
	v_add_co_u32_e32 v4, vcc, s14, v4
	v_addc_co_u32_e32 v5, vcc, v3, v5, vcc
	global_load_dword v3, v[4:5], off
	s_mov_b64 s[6:7], 0
	s_waitcnt vmcnt(0)
	v_mul_f32_e32 v11, s16, v3
	s_branch .LBB7_20
.LBB7_19:                               ;   in Loop: Header=BB7_20 Depth=2
	s_or_b64 exec, exec, s[24:25]
	v_add_u32_e32 v2, 8, v2
	v_cmp_ge_i32_e32 vcc, v2, v1
	s_or_b64 s[6:7], vcc, s[6:7]
	s_andn2_b64 exec, exec, s[6:7]
	s_cbranch_execz .LBB7_16
.LBB7_20:                               ;   Parent Loop BB7_17 Depth=1
                                        ; =>  This Loop Header: Depth=2
                                        ;       Child Loop BB7_22 Depth 3
	v_ashrrev_i32_e32 v3, 31, v2
	v_lshlrev_b64 v[4:5], 2, v[2:3]
	v_mov_b32_e32 v3, s11
	v_add_co_u32_e32 v6, vcc, s10, v4
	v_addc_co_u32_e32 v7, vcc, v3, v5, vcc
	global_load_dword v3, v[6:7], off
	s_waitcnt vmcnt(0)
	v_subrev_u32_e32 v6, s2, v3
	v_cmp_ne_u32_e32 vcc, v6, v0
	s_and_saveexec_b64 s[24:25], vcc
	s_cbranch_execz .LBB7_19
; %bb.21:                               ;   in Loop: Header=BB7_20 Depth=2
	v_mov_b32_e32 v3, s13
	v_add_co_u32_e32 v4, vcc, s12, v4
	v_ashrrev_i32_e32 v7, 31, v6
	v_addc_co_u32_e32 v5, vcc, v3, v5, vcc
	v_lshlrev_b64 v[6:7], 2, v[6:7]
	v_mov_b32_e32 v3, s23
	global_load_dword v12, v[4:5], off
	v_add_co_u32_e32 v4, vcc, s22, v6
	v_addc_co_u32_e32 v5, vcc, v3, v7, vcc
	global_load_dword v7, v[4:5], off
	s_mov_b64 s[26:27], 0
	s_waitcnt vmcnt(1)
	v_mul_f32_e32 v3, v11, v12
.LBB7_22:                               ;   Parent Loop BB7_17 Depth=1
                                        ;     Parent Loop BB7_20 Depth=2
                                        ; =>    This Inner Loop Header: Depth=3
	s_waitcnt vmcnt(0)
	v_add_f32_e32 v6, v7, v3
	global_atomic_cmpswap v6, v[4:5], v[6:7], off glc
	s_waitcnt vmcnt(0)
	v_cmp_eq_u32_e32 vcc, v6, v7
	s_or_b64 s[26:27], vcc, s[26:27]
	v_mov_b32_e32 v7, v6
	s_andn2_b64 exec, exec, s[26:27]
	s_cbranch_execnz .LBB7_22
	s_branch .LBB7_19
.LBB7_23:
	s_endpgm
	.section	.rodata,"a",@progbits
	.p2align	6, 0x0
	.amdhsa_kernel _ZN9rocsparseL21csrmvt_general_kernelILj256ELj8EiiffffEEvbbT2_NS_24const_host_device_scalarIT6_EEPKT1_S7_PKS1_PKT3_PKT4_PT5_21rocsparse_index_base_b
		.amdhsa_group_segment_fixed_size 0
		.amdhsa_private_segment_fixed_size 0
		.amdhsa_kernarg_size 328
		.amdhsa_user_sgpr_count 6
		.amdhsa_user_sgpr_private_segment_buffer 1
		.amdhsa_user_sgpr_dispatch_ptr 0
		.amdhsa_user_sgpr_queue_ptr 0
		.amdhsa_user_sgpr_kernarg_segment_ptr 1
		.amdhsa_user_sgpr_dispatch_id 0
		.amdhsa_user_sgpr_flat_scratch_init 0
		.amdhsa_user_sgpr_kernarg_preload_length 0
		.amdhsa_user_sgpr_kernarg_preload_offset 0
		.amdhsa_user_sgpr_private_segment_size 0
		.amdhsa_uses_dynamic_stack 0
		.amdhsa_system_sgpr_private_segment_wavefront_offset 0
		.amdhsa_system_sgpr_workgroup_id_x 1
		.amdhsa_system_sgpr_workgroup_id_y 0
		.amdhsa_system_sgpr_workgroup_id_z 0
		.amdhsa_system_sgpr_workgroup_info 0
		.amdhsa_system_vgpr_workitem_id 0
		.amdhsa_next_free_vgpr 14
		.amdhsa_next_free_sgpr 30
		.amdhsa_accum_offset 16
		.amdhsa_reserve_vcc 1
		.amdhsa_reserve_flat_scratch 0
		.amdhsa_float_round_mode_32 0
		.amdhsa_float_round_mode_16_64 0
		.amdhsa_float_denorm_mode_32 3
		.amdhsa_float_denorm_mode_16_64 3
		.amdhsa_dx10_clamp 1
		.amdhsa_ieee_mode 1
		.amdhsa_fp16_overflow 0
		.amdhsa_tg_split 0
		.amdhsa_exception_fp_ieee_invalid_op 0
		.amdhsa_exception_fp_denorm_src 0
		.amdhsa_exception_fp_ieee_div_zero 0
		.amdhsa_exception_fp_ieee_overflow 0
		.amdhsa_exception_fp_ieee_underflow 0
		.amdhsa_exception_fp_ieee_inexact 0
		.amdhsa_exception_int_div_zero 0
	.end_amdhsa_kernel
	.section	.text._ZN9rocsparseL21csrmvt_general_kernelILj256ELj8EiiffffEEvbbT2_NS_24const_host_device_scalarIT6_EEPKT1_S7_PKS1_PKT3_PKT4_PT5_21rocsparse_index_base_b,"axG",@progbits,_ZN9rocsparseL21csrmvt_general_kernelILj256ELj8EiiffffEEvbbT2_NS_24const_host_device_scalarIT6_EEPKT1_S7_PKS1_PKT3_PKT4_PT5_21rocsparse_index_base_b,comdat
.Lfunc_end7:
	.size	_ZN9rocsparseL21csrmvt_general_kernelILj256ELj8EiiffffEEvbbT2_NS_24const_host_device_scalarIT6_EEPKT1_S7_PKS1_PKT3_PKT4_PT5_21rocsparse_index_base_b, .Lfunc_end7-_ZN9rocsparseL21csrmvt_general_kernelILj256ELj8EiiffffEEvbbT2_NS_24const_host_device_scalarIT6_EEPKT1_S7_PKS1_PKT3_PKT4_PT5_21rocsparse_index_base_b
                                        ; -- End function
	.section	.AMDGPU.csdata,"",@progbits
; Kernel info:
; codeLenInByte = 840
; NumSgprs: 34
; NumVgprs: 14
; NumAgprs: 0
; TotalNumVgprs: 14
; ScratchSize: 0
; MemoryBound: 0
; FloatMode: 240
; IeeeMode: 1
; LDSByteSize: 0 bytes/workgroup (compile time only)
; SGPRBlocks: 4
; VGPRBlocks: 1
; NumSGPRsForWavesPerEU: 34
; NumVGPRsForWavesPerEU: 14
; AccumOffset: 16
; Occupancy: 8
; WaveLimiterHint : 1
; COMPUTE_PGM_RSRC2:SCRATCH_EN: 0
; COMPUTE_PGM_RSRC2:USER_SGPR: 6
; COMPUTE_PGM_RSRC2:TRAP_HANDLER: 0
; COMPUTE_PGM_RSRC2:TGID_X_EN: 1
; COMPUTE_PGM_RSRC2:TGID_Y_EN: 0
; COMPUTE_PGM_RSRC2:TGID_Z_EN: 0
; COMPUTE_PGM_RSRC2:TIDIG_COMP_CNT: 0
; COMPUTE_PGM_RSRC3_GFX90A:ACCUM_OFFSET: 3
; COMPUTE_PGM_RSRC3_GFX90A:TG_SPLIT: 0
	.section	.text._ZN9rocsparseL21csrmvt_general_kernelILj256ELj16EiiffffEEvbbT2_NS_24const_host_device_scalarIT6_EEPKT1_S7_PKS1_PKT3_PKT4_PT5_21rocsparse_index_base_b,"axG",@progbits,_ZN9rocsparseL21csrmvt_general_kernelILj256ELj16EiiffffEEvbbT2_NS_24const_host_device_scalarIT6_EEPKT1_S7_PKS1_PKT3_PKT4_PT5_21rocsparse_index_base_b,comdat
	.globl	_ZN9rocsparseL21csrmvt_general_kernelILj256ELj16EiiffffEEvbbT2_NS_24const_host_device_scalarIT6_EEPKT1_S7_PKS1_PKT3_PKT4_PT5_21rocsparse_index_base_b ; -- Begin function _ZN9rocsparseL21csrmvt_general_kernelILj256ELj16EiiffffEEvbbT2_NS_24const_host_device_scalarIT6_EEPKT1_S7_PKS1_PKT3_PKT4_PT5_21rocsparse_index_base_b
	.p2align	8
	.type	_ZN9rocsparseL21csrmvt_general_kernelILj256ELj16EiiffffEEvbbT2_NS_24const_host_device_scalarIT6_EEPKT1_S7_PKS1_PKT3_PKT4_PT5_21rocsparse_index_base_b,@function
_ZN9rocsparseL21csrmvt_general_kernelILj256ELj16EiiffffEEvbbT2_NS_24const_host_device_scalarIT6_EEPKT1_S7_PKS1_PKT3_PKT4_PT5_21rocsparse_index_base_b: ; @_ZN9rocsparseL21csrmvt_general_kernelILj256ELj16EiiffffEEvbbT2_NS_24const_host_device_scalarIT6_EEPKT1_S7_PKS1_PKT3_PKT4_PT5_21rocsparse_index_base_b
; %bb.0:
	s_load_dwordx2 s[2:3], s[4:5], 0x40
	s_load_dwordx4 s[16:19], s[4:5], 0x8
	s_waitcnt lgkmcnt(0)
	s_bitcmp1_b32 s3, 0
	s_cselect_b64 s[0:1], -1, 0
	s_and_b64 vcc, exec, s[0:1]
	s_cbranch_vccnz .LBB8_2
; %bb.1:
	s_load_dword s16, s[16:17], 0x0
.LBB8_2:
	s_waitcnt lgkmcnt(0)
	v_cmp_eq_f32_e64 s[0:1], s16, 0
	s_and_b64 vcc, exec, s[0:1]
	s_cbranch_vccnz .LBB8_23
; %bb.3:
	s_load_dwordx2 s[20:21], s[4:5], 0x0
	s_load_dword s0, s[4:5], 0x48
	s_load_dwordx2 s[22:23], s[4:5], 0x38
	s_load_dwordx8 s[8:15], s[4:5], 0x18
	v_and_b32_e32 v1, 15, v0
	v_lshl_or_b32 v0, s6, 8, v0
	s_waitcnt lgkmcnt(0)
	s_and_b32 s1, s20, 1
	s_lshl_b32 s3, s0, 4
	v_lshrrev_b32_e32 v0, 4, v0
	s_cmp_eq_u32 s1, 0
	v_cmp_gt_i32_e64 s[0:1], s21, v0
	s_mov_b64 s[4:5], -1
	s_cbranch_scc0 .LBB8_13
; %bb.4:
	s_and_saveexec_b64 s[4:5], s[0:1]
	s_cbranch_execz .LBB8_12
; %bb.5:
	v_subrev_u32_e32 v10, s2, v1
	s_mov_b64 s[6:7], 0
	v_mov_b32_e32 v11, s19
	v_mov_b32_e32 v12, s9
	;; [unrolled: 1-line block ×3, first 2 shown]
	s_branch .LBB8_7
.LBB8_6:                                ;   in Loop: Header=BB8_7 Depth=1
	s_or_b64 exec, exec, s[24:25]
	v_add_u32_e32 v2, s3, v2
	v_cmp_le_i32_e32 vcc, s21, v2
	s_or_b64 s[6:7], vcc, s[6:7]
	s_andn2_b64 exec, exec, s[6:7]
	s_cbranch_execz .LBB8_12
.LBB8_7:                                ; =>This Loop Header: Depth=1
                                        ;     Child Loop BB8_9 Depth 2
                                        ;       Child Loop BB8_10 Depth 3
	v_ashrrev_i32_e32 v3, 31, v2
	v_lshlrev_b64 v[6:7], 2, v[2:3]
	v_add_co_u32_e32 v4, vcc, s18, v6
	v_addc_co_u32_e32 v5, vcc, v11, v7, vcc
	v_add_co_u32_e32 v8, vcc, s8, v6
	v_addc_co_u32_e32 v9, vcc, v12, v7, vcc
	global_load_dword v3, v[8:9], off
	global_load_dword v13, v[4:5], off
	s_waitcnt vmcnt(1)
	v_subrev_u32_e32 v3, s2, v3
	s_waitcnt vmcnt(0)
	v_add_u32_e32 v4, v13, v10
	v_cmp_lt_i32_e32 vcc, v4, v3
	s_and_saveexec_b64 s[24:25], vcc
	s_cbranch_execz .LBB8_6
; %bb.8:                                ;   in Loop: Header=BB8_7 Depth=1
	v_mov_b32_e32 v5, s15
	v_add_co_u32_e32 v6, vcc, s14, v6
	v_addc_co_u32_e32 v7, vcc, v5, v7, vcc
	global_load_dword v5, v[6:7], off
	s_mov_b64 s[26:27], 0
	s_waitcnt vmcnt(0)
	v_mul_f32_e32 v13, s16, v5
.LBB8_9:                                ;   Parent Loop BB8_7 Depth=1
                                        ; =>  This Loop Header: Depth=2
                                        ;       Child Loop BB8_10 Depth 3
	v_ashrrev_i32_e32 v5, 31, v4
	v_lshlrev_b64 v[6:7], 2, v[4:5]
	v_mov_b32_e32 v5, s11
	v_add_co_u32_e32 v8, vcc, s10, v6
	v_addc_co_u32_e32 v9, vcc, v5, v7, vcc
	global_load_dword v5, v[8:9], off
	v_mov_b32_e32 v8, s13
	v_add_co_u32_e32 v6, vcc, s12, v6
	v_addc_co_u32_e32 v7, vcc, v8, v7, vcc
	global_load_dword v8, v[6:7], off
	v_mov_b32_e32 v9, s23
	s_mov_b64 s[28:29], 0
	s_waitcnt vmcnt(1)
	v_subrev_u32_e32 v6, s2, v5
	v_ashrrev_i32_e32 v7, 31, v6
	v_lshlrev_b64 v[6:7], 2, v[6:7]
	v_add_co_u32_e32 v6, vcc, s22, v6
	v_addc_co_u32_e32 v7, vcc, v9, v7, vcc
	global_load_dword v9, v[6:7], off
	s_waitcnt vmcnt(1)
	v_mul_f32_e32 v5, v13, v8
.LBB8_10:                               ;   Parent Loop BB8_7 Depth=1
                                        ;     Parent Loop BB8_9 Depth=2
                                        ; =>    This Inner Loop Header: Depth=3
	s_waitcnt vmcnt(0)
	v_add_f32_e32 v8, v9, v5
	global_atomic_cmpswap v8, v[6:7], v[8:9], off glc
	s_waitcnt vmcnt(0)
	v_cmp_eq_u32_e32 vcc, v8, v9
	s_or_b64 s[28:29], vcc, s[28:29]
	v_mov_b32_e32 v9, v8
	s_andn2_b64 exec, exec, s[28:29]
	s_cbranch_execnz .LBB8_10
; %bb.11:                               ;   in Loop: Header=BB8_9 Depth=2
	s_or_b64 exec, exec, s[28:29]
	v_add_u32_e32 v4, 16, v4
	v_cmp_ge_i32_e32 vcc, v4, v3
	s_or_b64 s[26:27], vcc, s[26:27]
	s_andn2_b64 exec, exec, s[26:27]
	s_cbranch_execnz .LBB8_9
	s_branch .LBB8_6
.LBB8_12:
	s_or_b64 exec, exec, s[4:5]
	s_mov_b64 s[4:5], 0
.LBB8_13:
	s_andn2_b64 vcc, exec, s[4:5]
	s_cbranch_vccnz .LBB8_23
; %bb.14:
	s_and_saveexec_b64 s[4:5], s[0:1]
	s_cbranch_execz .LBB8_23
; %bb.15:
	v_subrev_u32_e32 v8, s2, v1
	s_mov_b64 s[0:1], 0
	v_mov_b32_e32 v9, s19
	v_mov_b32_e32 v10, s9
	s_branch .LBB8_17
.LBB8_16:                               ;   in Loop: Header=BB8_17 Depth=1
	s_or_b64 exec, exec, s[4:5]
	v_add_u32_e32 v0, s3, v0
	v_cmp_le_i32_e32 vcc, s21, v0
	s_or_b64 s[0:1], vcc, s[0:1]
	s_andn2_b64 exec, exec, s[0:1]
	s_cbranch_execz .LBB8_23
.LBB8_17:                               ; =>This Loop Header: Depth=1
                                        ;     Child Loop BB8_20 Depth 2
                                        ;       Child Loop BB8_22 Depth 3
	v_ashrrev_i32_e32 v1, 31, v0
	v_lshlrev_b64 v[4:5], 2, v[0:1]
	v_add_co_u32_e32 v2, vcc, s18, v4
	v_addc_co_u32_e32 v3, vcc, v9, v5, vcc
	v_add_co_u32_e32 v6, vcc, s8, v4
	v_addc_co_u32_e32 v7, vcc, v10, v5, vcc
	global_load_dword v1, v[6:7], off
	global_load_dword v11, v[2:3], off
	s_waitcnt vmcnt(1)
	v_subrev_u32_e32 v1, s2, v1
	s_waitcnt vmcnt(0)
	v_add_u32_e32 v2, v11, v8
	v_cmp_lt_i32_e32 vcc, v2, v1
	s_and_saveexec_b64 s[4:5], vcc
	s_cbranch_execz .LBB8_16
; %bb.18:                               ;   in Loop: Header=BB8_17 Depth=1
	v_mov_b32_e32 v3, s15
	v_add_co_u32_e32 v4, vcc, s14, v4
	v_addc_co_u32_e32 v5, vcc, v3, v5, vcc
	global_load_dword v3, v[4:5], off
	s_mov_b64 s[6:7], 0
	s_waitcnt vmcnt(0)
	v_mul_f32_e32 v11, s16, v3
	s_branch .LBB8_20
.LBB8_19:                               ;   in Loop: Header=BB8_20 Depth=2
	s_or_b64 exec, exec, s[24:25]
	v_add_u32_e32 v2, 16, v2
	v_cmp_ge_i32_e32 vcc, v2, v1
	s_or_b64 s[6:7], vcc, s[6:7]
	s_andn2_b64 exec, exec, s[6:7]
	s_cbranch_execz .LBB8_16
.LBB8_20:                               ;   Parent Loop BB8_17 Depth=1
                                        ; =>  This Loop Header: Depth=2
                                        ;       Child Loop BB8_22 Depth 3
	v_ashrrev_i32_e32 v3, 31, v2
	v_lshlrev_b64 v[4:5], 2, v[2:3]
	v_mov_b32_e32 v3, s11
	v_add_co_u32_e32 v6, vcc, s10, v4
	v_addc_co_u32_e32 v7, vcc, v3, v5, vcc
	global_load_dword v3, v[6:7], off
	s_waitcnt vmcnt(0)
	v_subrev_u32_e32 v6, s2, v3
	v_cmp_ne_u32_e32 vcc, v6, v0
	s_and_saveexec_b64 s[24:25], vcc
	s_cbranch_execz .LBB8_19
; %bb.21:                               ;   in Loop: Header=BB8_20 Depth=2
	v_mov_b32_e32 v3, s13
	v_add_co_u32_e32 v4, vcc, s12, v4
	v_ashrrev_i32_e32 v7, 31, v6
	v_addc_co_u32_e32 v5, vcc, v3, v5, vcc
	v_lshlrev_b64 v[6:7], 2, v[6:7]
	v_mov_b32_e32 v3, s23
	global_load_dword v12, v[4:5], off
	v_add_co_u32_e32 v4, vcc, s22, v6
	v_addc_co_u32_e32 v5, vcc, v3, v7, vcc
	global_load_dword v7, v[4:5], off
	s_mov_b64 s[26:27], 0
	s_waitcnt vmcnt(1)
	v_mul_f32_e32 v3, v11, v12
.LBB8_22:                               ;   Parent Loop BB8_17 Depth=1
                                        ;     Parent Loop BB8_20 Depth=2
                                        ; =>    This Inner Loop Header: Depth=3
	s_waitcnt vmcnt(0)
	v_add_f32_e32 v6, v7, v3
	global_atomic_cmpswap v6, v[4:5], v[6:7], off glc
	s_waitcnt vmcnt(0)
	v_cmp_eq_u32_e32 vcc, v6, v7
	s_or_b64 s[26:27], vcc, s[26:27]
	v_mov_b32_e32 v7, v6
	s_andn2_b64 exec, exec, s[26:27]
	s_cbranch_execnz .LBB8_22
	s_branch .LBB8_19
.LBB8_23:
	s_endpgm
	.section	.rodata,"a",@progbits
	.p2align	6, 0x0
	.amdhsa_kernel _ZN9rocsparseL21csrmvt_general_kernelILj256ELj16EiiffffEEvbbT2_NS_24const_host_device_scalarIT6_EEPKT1_S7_PKS1_PKT3_PKT4_PT5_21rocsparse_index_base_b
		.amdhsa_group_segment_fixed_size 0
		.amdhsa_private_segment_fixed_size 0
		.amdhsa_kernarg_size 328
		.amdhsa_user_sgpr_count 6
		.amdhsa_user_sgpr_private_segment_buffer 1
		.amdhsa_user_sgpr_dispatch_ptr 0
		.amdhsa_user_sgpr_queue_ptr 0
		.amdhsa_user_sgpr_kernarg_segment_ptr 1
		.amdhsa_user_sgpr_dispatch_id 0
		.amdhsa_user_sgpr_flat_scratch_init 0
		.amdhsa_user_sgpr_kernarg_preload_length 0
		.amdhsa_user_sgpr_kernarg_preload_offset 0
		.amdhsa_user_sgpr_private_segment_size 0
		.amdhsa_uses_dynamic_stack 0
		.amdhsa_system_sgpr_private_segment_wavefront_offset 0
		.amdhsa_system_sgpr_workgroup_id_x 1
		.amdhsa_system_sgpr_workgroup_id_y 0
		.amdhsa_system_sgpr_workgroup_id_z 0
		.amdhsa_system_sgpr_workgroup_info 0
		.amdhsa_system_vgpr_workitem_id 0
		.amdhsa_next_free_vgpr 14
		.amdhsa_next_free_sgpr 30
		.amdhsa_accum_offset 16
		.amdhsa_reserve_vcc 1
		.amdhsa_reserve_flat_scratch 0
		.amdhsa_float_round_mode_32 0
		.amdhsa_float_round_mode_16_64 0
		.amdhsa_float_denorm_mode_32 3
		.amdhsa_float_denorm_mode_16_64 3
		.amdhsa_dx10_clamp 1
		.amdhsa_ieee_mode 1
		.amdhsa_fp16_overflow 0
		.amdhsa_tg_split 0
		.amdhsa_exception_fp_ieee_invalid_op 0
		.amdhsa_exception_fp_denorm_src 0
		.amdhsa_exception_fp_ieee_div_zero 0
		.amdhsa_exception_fp_ieee_overflow 0
		.amdhsa_exception_fp_ieee_underflow 0
		.amdhsa_exception_fp_ieee_inexact 0
		.amdhsa_exception_int_div_zero 0
	.end_amdhsa_kernel
	.section	.text._ZN9rocsparseL21csrmvt_general_kernelILj256ELj16EiiffffEEvbbT2_NS_24const_host_device_scalarIT6_EEPKT1_S7_PKS1_PKT3_PKT4_PT5_21rocsparse_index_base_b,"axG",@progbits,_ZN9rocsparseL21csrmvt_general_kernelILj256ELj16EiiffffEEvbbT2_NS_24const_host_device_scalarIT6_EEPKT1_S7_PKS1_PKT3_PKT4_PT5_21rocsparse_index_base_b,comdat
.Lfunc_end8:
	.size	_ZN9rocsparseL21csrmvt_general_kernelILj256ELj16EiiffffEEvbbT2_NS_24const_host_device_scalarIT6_EEPKT1_S7_PKS1_PKT3_PKT4_PT5_21rocsparse_index_base_b, .Lfunc_end8-_ZN9rocsparseL21csrmvt_general_kernelILj256ELj16EiiffffEEvbbT2_NS_24const_host_device_scalarIT6_EEPKT1_S7_PKS1_PKT3_PKT4_PT5_21rocsparse_index_base_b
                                        ; -- End function
	.section	.AMDGPU.csdata,"",@progbits
; Kernel info:
; codeLenInByte = 840
; NumSgprs: 34
; NumVgprs: 14
; NumAgprs: 0
; TotalNumVgprs: 14
; ScratchSize: 0
; MemoryBound: 0
; FloatMode: 240
; IeeeMode: 1
; LDSByteSize: 0 bytes/workgroup (compile time only)
; SGPRBlocks: 4
; VGPRBlocks: 1
; NumSGPRsForWavesPerEU: 34
; NumVGPRsForWavesPerEU: 14
; AccumOffset: 16
; Occupancy: 8
; WaveLimiterHint : 1
; COMPUTE_PGM_RSRC2:SCRATCH_EN: 0
; COMPUTE_PGM_RSRC2:USER_SGPR: 6
; COMPUTE_PGM_RSRC2:TRAP_HANDLER: 0
; COMPUTE_PGM_RSRC2:TGID_X_EN: 1
; COMPUTE_PGM_RSRC2:TGID_Y_EN: 0
; COMPUTE_PGM_RSRC2:TGID_Z_EN: 0
; COMPUTE_PGM_RSRC2:TIDIG_COMP_CNT: 0
; COMPUTE_PGM_RSRC3_GFX90A:ACCUM_OFFSET: 3
; COMPUTE_PGM_RSRC3_GFX90A:TG_SPLIT: 0
	.section	.text._ZN9rocsparseL21csrmvt_general_kernelILj256ELj32EiiffffEEvbbT2_NS_24const_host_device_scalarIT6_EEPKT1_S7_PKS1_PKT3_PKT4_PT5_21rocsparse_index_base_b,"axG",@progbits,_ZN9rocsparseL21csrmvt_general_kernelILj256ELj32EiiffffEEvbbT2_NS_24const_host_device_scalarIT6_EEPKT1_S7_PKS1_PKT3_PKT4_PT5_21rocsparse_index_base_b,comdat
	.globl	_ZN9rocsparseL21csrmvt_general_kernelILj256ELj32EiiffffEEvbbT2_NS_24const_host_device_scalarIT6_EEPKT1_S7_PKS1_PKT3_PKT4_PT5_21rocsparse_index_base_b ; -- Begin function _ZN9rocsparseL21csrmvt_general_kernelILj256ELj32EiiffffEEvbbT2_NS_24const_host_device_scalarIT6_EEPKT1_S7_PKS1_PKT3_PKT4_PT5_21rocsparse_index_base_b
	.p2align	8
	.type	_ZN9rocsparseL21csrmvt_general_kernelILj256ELj32EiiffffEEvbbT2_NS_24const_host_device_scalarIT6_EEPKT1_S7_PKS1_PKT3_PKT4_PT5_21rocsparse_index_base_b,@function
_ZN9rocsparseL21csrmvt_general_kernelILj256ELj32EiiffffEEvbbT2_NS_24const_host_device_scalarIT6_EEPKT1_S7_PKS1_PKT3_PKT4_PT5_21rocsparse_index_base_b: ; @_ZN9rocsparseL21csrmvt_general_kernelILj256ELj32EiiffffEEvbbT2_NS_24const_host_device_scalarIT6_EEPKT1_S7_PKS1_PKT3_PKT4_PT5_21rocsparse_index_base_b
; %bb.0:
	s_load_dwordx2 s[2:3], s[4:5], 0x40
	s_load_dwordx4 s[16:19], s[4:5], 0x8
	s_waitcnt lgkmcnt(0)
	s_bitcmp1_b32 s3, 0
	s_cselect_b64 s[0:1], -1, 0
	s_and_b64 vcc, exec, s[0:1]
	s_cbranch_vccnz .LBB9_2
; %bb.1:
	s_load_dword s16, s[16:17], 0x0
.LBB9_2:
	s_waitcnt lgkmcnt(0)
	v_cmp_eq_f32_e64 s[0:1], s16, 0
	s_and_b64 vcc, exec, s[0:1]
	s_cbranch_vccnz .LBB9_23
; %bb.3:
	s_load_dwordx2 s[20:21], s[4:5], 0x0
	s_load_dword s0, s[4:5], 0x48
	s_load_dwordx2 s[22:23], s[4:5], 0x38
	s_load_dwordx8 s[8:15], s[4:5], 0x18
	v_and_b32_e32 v1, 31, v0
	v_lshl_or_b32 v0, s6, 8, v0
	s_waitcnt lgkmcnt(0)
	s_and_b32 s1, s20, 1
	s_lshl_b32 s3, s0, 3
	v_lshrrev_b32_e32 v0, 5, v0
	s_cmp_eq_u32 s1, 0
	v_cmp_gt_i32_e64 s[0:1], s21, v0
	s_mov_b64 s[4:5], -1
	s_cbranch_scc0 .LBB9_13
; %bb.4:
	s_and_saveexec_b64 s[4:5], s[0:1]
	s_cbranch_execz .LBB9_12
; %bb.5:
	v_subrev_u32_e32 v10, s2, v1
	s_mov_b64 s[6:7], 0
	v_mov_b32_e32 v11, s19
	v_mov_b32_e32 v12, s9
	v_mov_b32_e32 v2, v0
	s_branch .LBB9_7
.LBB9_6:                                ;   in Loop: Header=BB9_7 Depth=1
	s_or_b64 exec, exec, s[24:25]
	v_add_u32_e32 v2, s3, v2
	v_cmp_le_i32_e32 vcc, s21, v2
	s_or_b64 s[6:7], vcc, s[6:7]
	s_andn2_b64 exec, exec, s[6:7]
	s_cbranch_execz .LBB9_12
.LBB9_7:                                ; =>This Loop Header: Depth=1
                                        ;     Child Loop BB9_9 Depth 2
                                        ;       Child Loop BB9_10 Depth 3
	v_ashrrev_i32_e32 v3, 31, v2
	v_lshlrev_b64 v[6:7], 2, v[2:3]
	v_add_co_u32_e32 v4, vcc, s18, v6
	v_addc_co_u32_e32 v5, vcc, v11, v7, vcc
	v_add_co_u32_e32 v8, vcc, s8, v6
	v_addc_co_u32_e32 v9, vcc, v12, v7, vcc
	global_load_dword v3, v[8:9], off
	global_load_dword v13, v[4:5], off
	s_waitcnt vmcnt(1)
	v_subrev_u32_e32 v3, s2, v3
	s_waitcnt vmcnt(0)
	v_add_u32_e32 v4, v13, v10
	v_cmp_lt_i32_e32 vcc, v4, v3
	s_and_saveexec_b64 s[24:25], vcc
	s_cbranch_execz .LBB9_6
; %bb.8:                                ;   in Loop: Header=BB9_7 Depth=1
	v_mov_b32_e32 v5, s15
	v_add_co_u32_e32 v6, vcc, s14, v6
	v_addc_co_u32_e32 v7, vcc, v5, v7, vcc
	global_load_dword v5, v[6:7], off
	s_mov_b64 s[26:27], 0
	s_waitcnt vmcnt(0)
	v_mul_f32_e32 v13, s16, v5
.LBB9_9:                                ;   Parent Loop BB9_7 Depth=1
                                        ; =>  This Loop Header: Depth=2
                                        ;       Child Loop BB9_10 Depth 3
	v_ashrrev_i32_e32 v5, 31, v4
	v_lshlrev_b64 v[6:7], 2, v[4:5]
	v_mov_b32_e32 v5, s11
	v_add_co_u32_e32 v8, vcc, s10, v6
	v_addc_co_u32_e32 v9, vcc, v5, v7, vcc
	global_load_dword v5, v[8:9], off
	v_mov_b32_e32 v8, s13
	v_add_co_u32_e32 v6, vcc, s12, v6
	v_addc_co_u32_e32 v7, vcc, v8, v7, vcc
	global_load_dword v8, v[6:7], off
	v_mov_b32_e32 v9, s23
	s_mov_b64 s[28:29], 0
	s_waitcnt vmcnt(1)
	v_subrev_u32_e32 v6, s2, v5
	v_ashrrev_i32_e32 v7, 31, v6
	v_lshlrev_b64 v[6:7], 2, v[6:7]
	v_add_co_u32_e32 v6, vcc, s22, v6
	v_addc_co_u32_e32 v7, vcc, v9, v7, vcc
	global_load_dword v9, v[6:7], off
	s_waitcnt vmcnt(1)
	v_mul_f32_e32 v5, v13, v8
.LBB9_10:                               ;   Parent Loop BB9_7 Depth=1
                                        ;     Parent Loop BB9_9 Depth=2
                                        ; =>    This Inner Loop Header: Depth=3
	s_waitcnt vmcnt(0)
	v_add_f32_e32 v8, v9, v5
	global_atomic_cmpswap v8, v[6:7], v[8:9], off glc
	s_waitcnt vmcnt(0)
	v_cmp_eq_u32_e32 vcc, v8, v9
	s_or_b64 s[28:29], vcc, s[28:29]
	v_mov_b32_e32 v9, v8
	s_andn2_b64 exec, exec, s[28:29]
	s_cbranch_execnz .LBB9_10
; %bb.11:                               ;   in Loop: Header=BB9_9 Depth=2
	s_or_b64 exec, exec, s[28:29]
	v_add_u32_e32 v4, 32, v4
	v_cmp_ge_i32_e32 vcc, v4, v3
	s_or_b64 s[26:27], vcc, s[26:27]
	s_andn2_b64 exec, exec, s[26:27]
	s_cbranch_execnz .LBB9_9
	s_branch .LBB9_6
.LBB9_12:
	s_or_b64 exec, exec, s[4:5]
	s_mov_b64 s[4:5], 0
.LBB9_13:
	s_andn2_b64 vcc, exec, s[4:5]
	s_cbranch_vccnz .LBB9_23
; %bb.14:
	s_and_saveexec_b64 s[4:5], s[0:1]
	s_cbranch_execz .LBB9_23
; %bb.15:
	v_subrev_u32_e32 v8, s2, v1
	s_mov_b64 s[0:1], 0
	v_mov_b32_e32 v9, s19
	v_mov_b32_e32 v10, s9
	s_branch .LBB9_17
.LBB9_16:                               ;   in Loop: Header=BB9_17 Depth=1
	s_or_b64 exec, exec, s[4:5]
	v_add_u32_e32 v0, s3, v0
	v_cmp_le_i32_e32 vcc, s21, v0
	s_or_b64 s[0:1], vcc, s[0:1]
	s_andn2_b64 exec, exec, s[0:1]
	s_cbranch_execz .LBB9_23
.LBB9_17:                               ; =>This Loop Header: Depth=1
                                        ;     Child Loop BB9_20 Depth 2
                                        ;       Child Loop BB9_22 Depth 3
	v_ashrrev_i32_e32 v1, 31, v0
	v_lshlrev_b64 v[4:5], 2, v[0:1]
	v_add_co_u32_e32 v2, vcc, s18, v4
	v_addc_co_u32_e32 v3, vcc, v9, v5, vcc
	v_add_co_u32_e32 v6, vcc, s8, v4
	v_addc_co_u32_e32 v7, vcc, v10, v5, vcc
	global_load_dword v1, v[6:7], off
	global_load_dword v11, v[2:3], off
	s_waitcnt vmcnt(1)
	v_subrev_u32_e32 v1, s2, v1
	s_waitcnt vmcnt(0)
	v_add_u32_e32 v2, v11, v8
	v_cmp_lt_i32_e32 vcc, v2, v1
	s_and_saveexec_b64 s[4:5], vcc
	s_cbranch_execz .LBB9_16
; %bb.18:                               ;   in Loop: Header=BB9_17 Depth=1
	v_mov_b32_e32 v3, s15
	v_add_co_u32_e32 v4, vcc, s14, v4
	v_addc_co_u32_e32 v5, vcc, v3, v5, vcc
	global_load_dword v3, v[4:5], off
	s_mov_b64 s[6:7], 0
	s_waitcnt vmcnt(0)
	v_mul_f32_e32 v11, s16, v3
	s_branch .LBB9_20
.LBB9_19:                               ;   in Loop: Header=BB9_20 Depth=2
	s_or_b64 exec, exec, s[24:25]
	v_add_u32_e32 v2, 32, v2
	v_cmp_ge_i32_e32 vcc, v2, v1
	s_or_b64 s[6:7], vcc, s[6:7]
	s_andn2_b64 exec, exec, s[6:7]
	s_cbranch_execz .LBB9_16
.LBB9_20:                               ;   Parent Loop BB9_17 Depth=1
                                        ; =>  This Loop Header: Depth=2
                                        ;       Child Loop BB9_22 Depth 3
	v_ashrrev_i32_e32 v3, 31, v2
	v_lshlrev_b64 v[4:5], 2, v[2:3]
	v_mov_b32_e32 v3, s11
	v_add_co_u32_e32 v6, vcc, s10, v4
	v_addc_co_u32_e32 v7, vcc, v3, v5, vcc
	global_load_dword v3, v[6:7], off
	s_waitcnt vmcnt(0)
	v_subrev_u32_e32 v6, s2, v3
	v_cmp_ne_u32_e32 vcc, v6, v0
	s_and_saveexec_b64 s[24:25], vcc
	s_cbranch_execz .LBB9_19
; %bb.21:                               ;   in Loop: Header=BB9_20 Depth=2
	v_mov_b32_e32 v3, s13
	v_add_co_u32_e32 v4, vcc, s12, v4
	v_ashrrev_i32_e32 v7, 31, v6
	v_addc_co_u32_e32 v5, vcc, v3, v5, vcc
	v_lshlrev_b64 v[6:7], 2, v[6:7]
	v_mov_b32_e32 v3, s23
	global_load_dword v12, v[4:5], off
	v_add_co_u32_e32 v4, vcc, s22, v6
	v_addc_co_u32_e32 v5, vcc, v3, v7, vcc
	global_load_dword v7, v[4:5], off
	s_mov_b64 s[26:27], 0
	s_waitcnt vmcnt(1)
	v_mul_f32_e32 v3, v11, v12
.LBB9_22:                               ;   Parent Loop BB9_17 Depth=1
                                        ;     Parent Loop BB9_20 Depth=2
                                        ; =>    This Inner Loop Header: Depth=3
	s_waitcnt vmcnt(0)
	v_add_f32_e32 v6, v7, v3
	global_atomic_cmpswap v6, v[4:5], v[6:7], off glc
	s_waitcnt vmcnt(0)
	v_cmp_eq_u32_e32 vcc, v6, v7
	s_or_b64 s[26:27], vcc, s[26:27]
	v_mov_b32_e32 v7, v6
	s_andn2_b64 exec, exec, s[26:27]
	s_cbranch_execnz .LBB9_22
	s_branch .LBB9_19
.LBB9_23:
	s_endpgm
	.section	.rodata,"a",@progbits
	.p2align	6, 0x0
	.amdhsa_kernel _ZN9rocsparseL21csrmvt_general_kernelILj256ELj32EiiffffEEvbbT2_NS_24const_host_device_scalarIT6_EEPKT1_S7_PKS1_PKT3_PKT4_PT5_21rocsparse_index_base_b
		.amdhsa_group_segment_fixed_size 0
		.amdhsa_private_segment_fixed_size 0
		.amdhsa_kernarg_size 328
		.amdhsa_user_sgpr_count 6
		.amdhsa_user_sgpr_private_segment_buffer 1
		.amdhsa_user_sgpr_dispatch_ptr 0
		.amdhsa_user_sgpr_queue_ptr 0
		.amdhsa_user_sgpr_kernarg_segment_ptr 1
		.amdhsa_user_sgpr_dispatch_id 0
		.amdhsa_user_sgpr_flat_scratch_init 0
		.amdhsa_user_sgpr_kernarg_preload_length 0
		.amdhsa_user_sgpr_kernarg_preload_offset 0
		.amdhsa_user_sgpr_private_segment_size 0
		.amdhsa_uses_dynamic_stack 0
		.amdhsa_system_sgpr_private_segment_wavefront_offset 0
		.amdhsa_system_sgpr_workgroup_id_x 1
		.amdhsa_system_sgpr_workgroup_id_y 0
		.amdhsa_system_sgpr_workgroup_id_z 0
		.amdhsa_system_sgpr_workgroup_info 0
		.amdhsa_system_vgpr_workitem_id 0
		.amdhsa_next_free_vgpr 14
		.amdhsa_next_free_sgpr 30
		.amdhsa_accum_offset 16
		.amdhsa_reserve_vcc 1
		.amdhsa_reserve_flat_scratch 0
		.amdhsa_float_round_mode_32 0
		.amdhsa_float_round_mode_16_64 0
		.amdhsa_float_denorm_mode_32 3
		.amdhsa_float_denorm_mode_16_64 3
		.amdhsa_dx10_clamp 1
		.amdhsa_ieee_mode 1
		.amdhsa_fp16_overflow 0
		.amdhsa_tg_split 0
		.amdhsa_exception_fp_ieee_invalid_op 0
		.amdhsa_exception_fp_denorm_src 0
		.amdhsa_exception_fp_ieee_div_zero 0
		.amdhsa_exception_fp_ieee_overflow 0
		.amdhsa_exception_fp_ieee_underflow 0
		.amdhsa_exception_fp_ieee_inexact 0
		.amdhsa_exception_int_div_zero 0
	.end_amdhsa_kernel
	.section	.text._ZN9rocsparseL21csrmvt_general_kernelILj256ELj32EiiffffEEvbbT2_NS_24const_host_device_scalarIT6_EEPKT1_S7_PKS1_PKT3_PKT4_PT5_21rocsparse_index_base_b,"axG",@progbits,_ZN9rocsparseL21csrmvt_general_kernelILj256ELj32EiiffffEEvbbT2_NS_24const_host_device_scalarIT6_EEPKT1_S7_PKS1_PKT3_PKT4_PT5_21rocsparse_index_base_b,comdat
.Lfunc_end9:
	.size	_ZN9rocsparseL21csrmvt_general_kernelILj256ELj32EiiffffEEvbbT2_NS_24const_host_device_scalarIT6_EEPKT1_S7_PKS1_PKT3_PKT4_PT5_21rocsparse_index_base_b, .Lfunc_end9-_ZN9rocsparseL21csrmvt_general_kernelILj256ELj32EiiffffEEvbbT2_NS_24const_host_device_scalarIT6_EEPKT1_S7_PKS1_PKT3_PKT4_PT5_21rocsparse_index_base_b
                                        ; -- End function
	.section	.AMDGPU.csdata,"",@progbits
; Kernel info:
; codeLenInByte = 840
; NumSgprs: 34
; NumVgprs: 14
; NumAgprs: 0
; TotalNumVgprs: 14
; ScratchSize: 0
; MemoryBound: 0
; FloatMode: 240
; IeeeMode: 1
; LDSByteSize: 0 bytes/workgroup (compile time only)
; SGPRBlocks: 4
; VGPRBlocks: 1
; NumSGPRsForWavesPerEU: 34
; NumVGPRsForWavesPerEU: 14
; AccumOffset: 16
; Occupancy: 8
; WaveLimiterHint : 1
; COMPUTE_PGM_RSRC2:SCRATCH_EN: 0
; COMPUTE_PGM_RSRC2:USER_SGPR: 6
; COMPUTE_PGM_RSRC2:TRAP_HANDLER: 0
; COMPUTE_PGM_RSRC2:TGID_X_EN: 1
; COMPUTE_PGM_RSRC2:TGID_Y_EN: 0
; COMPUTE_PGM_RSRC2:TGID_Z_EN: 0
; COMPUTE_PGM_RSRC2:TIDIG_COMP_CNT: 0
; COMPUTE_PGM_RSRC3_GFX90A:ACCUM_OFFSET: 3
; COMPUTE_PGM_RSRC3_GFX90A:TG_SPLIT: 0
	.section	.text._ZN9rocsparseL21csrmvt_general_kernelILj256ELj64EiiffffEEvbbT2_NS_24const_host_device_scalarIT6_EEPKT1_S7_PKS1_PKT3_PKT4_PT5_21rocsparse_index_base_b,"axG",@progbits,_ZN9rocsparseL21csrmvt_general_kernelILj256ELj64EiiffffEEvbbT2_NS_24const_host_device_scalarIT6_EEPKT1_S7_PKS1_PKT3_PKT4_PT5_21rocsparse_index_base_b,comdat
	.globl	_ZN9rocsparseL21csrmvt_general_kernelILj256ELj64EiiffffEEvbbT2_NS_24const_host_device_scalarIT6_EEPKT1_S7_PKS1_PKT3_PKT4_PT5_21rocsparse_index_base_b ; -- Begin function _ZN9rocsparseL21csrmvt_general_kernelILj256ELj64EiiffffEEvbbT2_NS_24const_host_device_scalarIT6_EEPKT1_S7_PKS1_PKT3_PKT4_PT5_21rocsparse_index_base_b
	.p2align	8
	.type	_ZN9rocsparseL21csrmvt_general_kernelILj256ELj64EiiffffEEvbbT2_NS_24const_host_device_scalarIT6_EEPKT1_S7_PKS1_PKT3_PKT4_PT5_21rocsparse_index_base_b,@function
_ZN9rocsparseL21csrmvt_general_kernelILj256ELj64EiiffffEEvbbT2_NS_24const_host_device_scalarIT6_EEPKT1_S7_PKS1_PKT3_PKT4_PT5_21rocsparse_index_base_b: ; @_ZN9rocsparseL21csrmvt_general_kernelILj256ELj64EiiffffEEvbbT2_NS_24const_host_device_scalarIT6_EEPKT1_S7_PKS1_PKT3_PKT4_PT5_21rocsparse_index_base_b
; %bb.0:
	s_load_dwordx2 s[2:3], s[4:5], 0x40
	s_load_dwordx4 s[16:19], s[4:5], 0x8
	s_waitcnt lgkmcnt(0)
	s_bitcmp1_b32 s3, 0
	s_cselect_b64 s[0:1], -1, 0
	s_and_b64 vcc, exec, s[0:1]
	s_cbranch_vccnz .LBB10_2
; %bb.1:
	s_load_dword s16, s[16:17], 0x0
.LBB10_2:
	s_waitcnt lgkmcnt(0)
	v_cmp_eq_f32_e64 s[0:1], s16, 0
	s_and_b64 vcc, exec, s[0:1]
	s_cbranch_vccnz .LBB10_23
; %bb.3:
	s_load_dwordx2 s[20:21], s[4:5], 0x0
	s_load_dword s0, s[4:5], 0x48
	s_load_dwordx2 s[22:23], s[4:5], 0x38
	s_load_dwordx8 s[8:15], s[4:5], 0x18
	v_and_b32_e32 v1, 63, v0
	v_lshl_or_b32 v0, s6, 8, v0
	s_waitcnt lgkmcnt(0)
	s_and_b32 s1, s20, 1
	s_lshl_b32 s3, s0, 2
	v_lshrrev_b32_e32 v0, 6, v0
	s_cmp_eq_u32 s1, 0
	v_cmp_gt_i32_e64 s[0:1], s21, v0
	s_mov_b64 s[4:5], -1
	s_cbranch_scc0 .LBB10_13
; %bb.4:
	s_and_saveexec_b64 s[4:5], s[0:1]
	s_cbranch_execz .LBB10_12
; %bb.5:
	v_subrev_u32_e32 v10, s2, v1
	s_mov_b64 s[6:7], 0
	v_mov_b32_e32 v11, s19
	v_mov_b32_e32 v12, s9
	;; [unrolled: 1-line block ×3, first 2 shown]
	s_branch .LBB10_7
.LBB10_6:                               ;   in Loop: Header=BB10_7 Depth=1
	s_or_b64 exec, exec, s[24:25]
	v_add_u32_e32 v2, s3, v2
	v_cmp_le_i32_e32 vcc, s21, v2
	s_or_b64 s[6:7], vcc, s[6:7]
	s_andn2_b64 exec, exec, s[6:7]
	s_cbranch_execz .LBB10_12
.LBB10_7:                               ; =>This Loop Header: Depth=1
                                        ;     Child Loop BB10_9 Depth 2
                                        ;       Child Loop BB10_10 Depth 3
	v_ashrrev_i32_e32 v3, 31, v2
	v_lshlrev_b64 v[6:7], 2, v[2:3]
	v_add_co_u32_e32 v4, vcc, s18, v6
	v_addc_co_u32_e32 v5, vcc, v11, v7, vcc
	v_add_co_u32_e32 v8, vcc, s8, v6
	v_addc_co_u32_e32 v9, vcc, v12, v7, vcc
	global_load_dword v3, v[8:9], off
	global_load_dword v13, v[4:5], off
	s_waitcnt vmcnt(1)
	v_subrev_u32_e32 v3, s2, v3
	s_waitcnt vmcnt(0)
	v_add_u32_e32 v4, v13, v10
	v_cmp_lt_i32_e32 vcc, v4, v3
	s_and_saveexec_b64 s[24:25], vcc
	s_cbranch_execz .LBB10_6
; %bb.8:                                ;   in Loop: Header=BB10_7 Depth=1
	v_mov_b32_e32 v5, s15
	v_add_co_u32_e32 v6, vcc, s14, v6
	v_addc_co_u32_e32 v7, vcc, v5, v7, vcc
	global_load_dword v5, v[6:7], off
	s_mov_b64 s[26:27], 0
	s_waitcnt vmcnt(0)
	v_mul_f32_e32 v13, s16, v5
.LBB10_9:                               ;   Parent Loop BB10_7 Depth=1
                                        ; =>  This Loop Header: Depth=2
                                        ;       Child Loop BB10_10 Depth 3
	v_ashrrev_i32_e32 v5, 31, v4
	v_lshlrev_b64 v[6:7], 2, v[4:5]
	v_mov_b32_e32 v5, s11
	v_add_co_u32_e32 v8, vcc, s10, v6
	v_addc_co_u32_e32 v9, vcc, v5, v7, vcc
	global_load_dword v5, v[8:9], off
	v_mov_b32_e32 v8, s13
	v_add_co_u32_e32 v6, vcc, s12, v6
	v_addc_co_u32_e32 v7, vcc, v8, v7, vcc
	global_load_dword v8, v[6:7], off
	v_mov_b32_e32 v9, s23
	s_mov_b64 s[28:29], 0
	s_waitcnt vmcnt(1)
	v_subrev_u32_e32 v6, s2, v5
	v_ashrrev_i32_e32 v7, 31, v6
	v_lshlrev_b64 v[6:7], 2, v[6:7]
	v_add_co_u32_e32 v6, vcc, s22, v6
	v_addc_co_u32_e32 v7, vcc, v9, v7, vcc
	global_load_dword v9, v[6:7], off
	s_waitcnt vmcnt(1)
	v_mul_f32_e32 v5, v13, v8
.LBB10_10:                              ;   Parent Loop BB10_7 Depth=1
                                        ;     Parent Loop BB10_9 Depth=2
                                        ; =>    This Inner Loop Header: Depth=3
	s_waitcnt vmcnt(0)
	v_add_f32_e32 v8, v9, v5
	global_atomic_cmpswap v8, v[6:7], v[8:9], off glc
	s_waitcnt vmcnt(0)
	v_cmp_eq_u32_e32 vcc, v8, v9
	s_or_b64 s[28:29], vcc, s[28:29]
	v_mov_b32_e32 v9, v8
	s_andn2_b64 exec, exec, s[28:29]
	s_cbranch_execnz .LBB10_10
; %bb.11:                               ;   in Loop: Header=BB10_9 Depth=2
	s_or_b64 exec, exec, s[28:29]
	v_add_u32_e32 v4, 64, v4
	v_cmp_ge_i32_e32 vcc, v4, v3
	s_or_b64 s[26:27], vcc, s[26:27]
	s_andn2_b64 exec, exec, s[26:27]
	s_cbranch_execnz .LBB10_9
	s_branch .LBB10_6
.LBB10_12:
	s_or_b64 exec, exec, s[4:5]
	s_mov_b64 s[4:5], 0
.LBB10_13:
	s_andn2_b64 vcc, exec, s[4:5]
	s_cbranch_vccnz .LBB10_23
; %bb.14:
	s_and_saveexec_b64 s[4:5], s[0:1]
	s_cbranch_execz .LBB10_23
; %bb.15:
	v_subrev_u32_e32 v8, s2, v1
	s_mov_b64 s[0:1], 0
	v_mov_b32_e32 v9, s19
	v_mov_b32_e32 v10, s9
	s_branch .LBB10_17
.LBB10_16:                              ;   in Loop: Header=BB10_17 Depth=1
	s_or_b64 exec, exec, s[4:5]
	v_add_u32_e32 v0, s3, v0
	v_cmp_le_i32_e32 vcc, s21, v0
	s_or_b64 s[0:1], vcc, s[0:1]
	s_andn2_b64 exec, exec, s[0:1]
	s_cbranch_execz .LBB10_23
.LBB10_17:                              ; =>This Loop Header: Depth=1
                                        ;     Child Loop BB10_20 Depth 2
                                        ;       Child Loop BB10_22 Depth 3
	v_ashrrev_i32_e32 v1, 31, v0
	v_lshlrev_b64 v[4:5], 2, v[0:1]
	v_add_co_u32_e32 v2, vcc, s18, v4
	v_addc_co_u32_e32 v3, vcc, v9, v5, vcc
	v_add_co_u32_e32 v6, vcc, s8, v4
	v_addc_co_u32_e32 v7, vcc, v10, v5, vcc
	global_load_dword v1, v[6:7], off
	global_load_dword v11, v[2:3], off
	s_waitcnt vmcnt(1)
	v_subrev_u32_e32 v1, s2, v1
	s_waitcnt vmcnt(0)
	v_add_u32_e32 v2, v11, v8
	v_cmp_lt_i32_e32 vcc, v2, v1
	s_and_saveexec_b64 s[4:5], vcc
	s_cbranch_execz .LBB10_16
; %bb.18:                               ;   in Loop: Header=BB10_17 Depth=1
	v_mov_b32_e32 v3, s15
	v_add_co_u32_e32 v4, vcc, s14, v4
	v_addc_co_u32_e32 v5, vcc, v3, v5, vcc
	global_load_dword v3, v[4:5], off
	s_mov_b64 s[6:7], 0
	s_waitcnt vmcnt(0)
	v_mul_f32_e32 v11, s16, v3
	s_branch .LBB10_20
.LBB10_19:                              ;   in Loop: Header=BB10_20 Depth=2
	s_or_b64 exec, exec, s[24:25]
	v_add_u32_e32 v2, 64, v2
	v_cmp_ge_i32_e32 vcc, v2, v1
	s_or_b64 s[6:7], vcc, s[6:7]
	s_andn2_b64 exec, exec, s[6:7]
	s_cbranch_execz .LBB10_16
.LBB10_20:                              ;   Parent Loop BB10_17 Depth=1
                                        ; =>  This Loop Header: Depth=2
                                        ;       Child Loop BB10_22 Depth 3
	v_ashrrev_i32_e32 v3, 31, v2
	v_lshlrev_b64 v[4:5], 2, v[2:3]
	v_mov_b32_e32 v3, s11
	v_add_co_u32_e32 v6, vcc, s10, v4
	v_addc_co_u32_e32 v7, vcc, v3, v5, vcc
	global_load_dword v3, v[6:7], off
	s_waitcnt vmcnt(0)
	v_subrev_u32_e32 v6, s2, v3
	v_cmp_ne_u32_e32 vcc, v6, v0
	s_and_saveexec_b64 s[24:25], vcc
	s_cbranch_execz .LBB10_19
; %bb.21:                               ;   in Loop: Header=BB10_20 Depth=2
	v_mov_b32_e32 v3, s13
	v_add_co_u32_e32 v4, vcc, s12, v4
	v_ashrrev_i32_e32 v7, 31, v6
	v_addc_co_u32_e32 v5, vcc, v3, v5, vcc
	v_lshlrev_b64 v[6:7], 2, v[6:7]
	v_mov_b32_e32 v3, s23
	global_load_dword v12, v[4:5], off
	v_add_co_u32_e32 v4, vcc, s22, v6
	v_addc_co_u32_e32 v5, vcc, v3, v7, vcc
	global_load_dword v7, v[4:5], off
	s_mov_b64 s[26:27], 0
	s_waitcnt vmcnt(1)
	v_mul_f32_e32 v3, v11, v12
.LBB10_22:                              ;   Parent Loop BB10_17 Depth=1
                                        ;     Parent Loop BB10_20 Depth=2
                                        ; =>    This Inner Loop Header: Depth=3
	s_waitcnt vmcnt(0)
	v_add_f32_e32 v6, v7, v3
	global_atomic_cmpswap v6, v[4:5], v[6:7], off glc
	s_waitcnt vmcnt(0)
	v_cmp_eq_u32_e32 vcc, v6, v7
	s_or_b64 s[26:27], vcc, s[26:27]
	v_mov_b32_e32 v7, v6
	s_andn2_b64 exec, exec, s[26:27]
	s_cbranch_execnz .LBB10_22
	s_branch .LBB10_19
.LBB10_23:
	s_endpgm
	.section	.rodata,"a",@progbits
	.p2align	6, 0x0
	.amdhsa_kernel _ZN9rocsparseL21csrmvt_general_kernelILj256ELj64EiiffffEEvbbT2_NS_24const_host_device_scalarIT6_EEPKT1_S7_PKS1_PKT3_PKT4_PT5_21rocsparse_index_base_b
		.amdhsa_group_segment_fixed_size 0
		.amdhsa_private_segment_fixed_size 0
		.amdhsa_kernarg_size 328
		.amdhsa_user_sgpr_count 6
		.amdhsa_user_sgpr_private_segment_buffer 1
		.amdhsa_user_sgpr_dispatch_ptr 0
		.amdhsa_user_sgpr_queue_ptr 0
		.amdhsa_user_sgpr_kernarg_segment_ptr 1
		.amdhsa_user_sgpr_dispatch_id 0
		.amdhsa_user_sgpr_flat_scratch_init 0
		.amdhsa_user_sgpr_kernarg_preload_length 0
		.amdhsa_user_sgpr_kernarg_preload_offset 0
		.amdhsa_user_sgpr_private_segment_size 0
		.amdhsa_uses_dynamic_stack 0
		.amdhsa_system_sgpr_private_segment_wavefront_offset 0
		.amdhsa_system_sgpr_workgroup_id_x 1
		.amdhsa_system_sgpr_workgroup_id_y 0
		.amdhsa_system_sgpr_workgroup_id_z 0
		.amdhsa_system_sgpr_workgroup_info 0
		.amdhsa_system_vgpr_workitem_id 0
		.amdhsa_next_free_vgpr 14
		.amdhsa_next_free_sgpr 30
		.amdhsa_accum_offset 16
		.amdhsa_reserve_vcc 1
		.amdhsa_reserve_flat_scratch 0
		.amdhsa_float_round_mode_32 0
		.amdhsa_float_round_mode_16_64 0
		.amdhsa_float_denorm_mode_32 3
		.amdhsa_float_denorm_mode_16_64 3
		.amdhsa_dx10_clamp 1
		.amdhsa_ieee_mode 1
		.amdhsa_fp16_overflow 0
		.amdhsa_tg_split 0
		.amdhsa_exception_fp_ieee_invalid_op 0
		.amdhsa_exception_fp_denorm_src 0
		.amdhsa_exception_fp_ieee_div_zero 0
		.amdhsa_exception_fp_ieee_overflow 0
		.amdhsa_exception_fp_ieee_underflow 0
		.amdhsa_exception_fp_ieee_inexact 0
		.amdhsa_exception_int_div_zero 0
	.end_amdhsa_kernel
	.section	.text._ZN9rocsparseL21csrmvt_general_kernelILj256ELj64EiiffffEEvbbT2_NS_24const_host_device_scalarIT6_EEPKT1_S7_PKS1_PKT3_PKT4_PT5_21rocsparse_index_base_b,"axG",@progbits,_ZN9rocsparseL21csrmvt_general_kernelILj256ELj64EiiffffEEvbbT2_NS_24const_host_device_scalarIT6_EEPKT1_S7_PKS1_PKT3_PKT4_PT5_21rocsparse_index_base_b,comdat
.Lfunc_end10:
	.size	_ZN9rocsparseL21csrmvt_general_kernelILj256ELj64EiiffffEEvbbT2_NS_24const_host_device_scalarIT6_EEPKT1_S7_PKS1_PKT3_PKT4_PT5_21rocsparse_index_base_b, .Lfunc_end10-_ZN9rocsparseL21csrmvt_general_kernelILj256ELj64EiiffffEEvbbT2_NS_24const_host_device_scalarIT6_EEPKT1_S7_PKS1_PKT3_PKT4_PT5_21rocsparse_index_base_b
                                        ; -- End function
	.section	.AMDGPU.csdata,"",@progbits
; Kernel info:
; codeLenInByte = 840
; NumSgprs: 34
; NumVgprs: 14
; NumAgprs: 0
; TotalNumVgprs: 14
; ScratchSize: 0
; MemoryBound: 0
; FloatMode: 240
; IeeeMode: 1
; LDSByteSize: 0 bytes/workgroup (compile time only)
; SGPRBlocks: 4
; VGPRBlocks: 1
; NumSGPRsForWavesPerEU: 34
; NumVGPRsForWavesPerEU: 14
; AccumOffset: 16
; Occupancy: 8
; WaveLimiterHint : 1
; COMPUTE_PGM_RSRC2:SCRATCH_EN: 0
; COMPUTE_PGM_RSRC2:USER_SGPR: 6
; COMPUTE_PGM_RSRC2:TRAP_HANDLER: 0
; COMPUTE_PGM_RSRC2:TGID_X_EN: 1
; COMPUTE_PGM_RSRC2:TGID_Y_EN: 0
; COMPUTE_PGM_RSRC2:TGID_Z_EN: 0
; COMPUTE_PGM_RSRC2:TIDIG_COMP_CNT: 0
; COMPUTE_PGM_RSRC3_GFX90A:ACCUM_OFFSET: 3
; COMPUTE_PGM_RSRC3_GFX90A:TG_SPLIT: 0
	.section	.text._ZN9rocsparseL21csrmvn_general_kernelILj256ELj2EliffffEEvbT2_NS_24const_host_device_scalarIT6_EEPKT1_S7_PKS1_PKT3_PKT4_S4_PT5_21rocsparse_index_base_b,"axG",@progbits,_ZN9rocsparseL21csrmvn_general_kernelILj256ELj2EliffffEEvbT2_NS_24const_host_device_scalarIT6_EEPKT1_S7_PKS1_PKT3_PKT4_S4_PT5_21rocsparse_index_base_b,comdat
	.globl	_ZN9rocsparseL21csrmvn_general_kernelILj256ELj2EliffffEEvbT2_NS_24const_host_device_scalarIT6_EEPKT1_S7_PKS1_PKT3_PKT4_S4_PT5_21rocsparse_index_base_b ; -- Begin function _ZN9rocsparseL21csrmvn_general_kernelILj256ELj2EliffffEEvbT2_NS_24const_host_device_scalarIT6_EEPKT1_S7_PKS1_PKT3_PKT4_S4_PT5_21rocsparse_index_base_b
	.p2align	8
	.type	_ZN9rocsparseL21csrmvn_general_kernelILj256ELj2EliffffEEvbT2_NS_24const_host_device_scalarIT6_EEPKT1_S7_PKS1_PKT3_PKT4_S4_PT5_21rocsparse_index_base_b,@function
_ZN9rocsparseL21csrmvn_general_kernelILj256ELj2EliffffEEvbT2_NS_24const_host_device_scalarIT6_EEPKT1_S7_PKS1_PKT3_PKT4_S4_PT5_21rocsparse_index_base_b: ; @_ZN9rocsparseL21csrmvn_general_kernelILj256ELj2EliffffEEvbT2_NS_24const_host_device_scalarIT6_EEPKT1_S7_PKS1_PKT3_PKT4_S4_PT5_21rocsparse_index_base_b
; %bb.0:
	s_load_dwordx2 s[20:21], s[4:5], 0x48
	s_load_dwordx4 s[16:19], s[4:5], 0x8
	s_load_dwordx2 s[22:23], s[4:5], 0x38
	s_waitcnt lgkmcnt(0)
	s_bitcmp1_b32 s21, 0
	s_cselect_b64 s[2:3], -1, 0
	s_xor_b64 s[0:1], s[2:3], -1
	s_and_b64 vcc, exec, s[2:3]
	s_cbranch_vccnz .LBB11_2
; %bb.1:
	s_load_dword s16, s[16:17], 0x0
.LBB11_2:
	s_andn2_b64 vcc, exec, s[0:1]
	s_cbranch_vccnz .LBB11_4
; %bb.3:
	s_load_dword s22, s[22:23], 0x0
.LBB11_4:
	s_waitcnt lgkmcnt(0)
	v_cmp_neq_f32_e64 s[0:1], s16, 0
	v_cmp_neq_f32_e64 s[2:3], s22, 1.0
	s_or_b64 s[0:1], s[0:1], s[2:3]
	s_andn2_b64 vcc, exec, s[0:1]
	s_cbranch_vccnz .LBB11_16
; %bb.5:
	s_load_dword s17, s[4:5], 0x4
	v_lshl_or_b32 v1, s6, 8, v0
	v_lshrrev_b32_e32 v2, 1, v1
	s_waitcnt lgkmcnt(0)
	v_cmp_gt_i32_e32 vcc, s17, v2
	s_and_saveexec_b64 s[0:1], vcc
	s_cbranch_execz .LBB11_16
; %bb.6:
	s_load_dword s0, s[4:5], 0x50
	s_load_dwordx2 s[6:7], s[4:5], 0x40
	s_load_dwordx8 s[8:15], s[4:5], 0x18
	v_and_b32_e32 v0, 1, v0
	v_subrev_co_u32_e32 v10, vcc, s20, v0
	s_waitcnt lgkmcnt(0)
	s_lshl_b32 s21, s0, 7
	v_subb_co_u32_e64 v11, s[0:1], 0, 0, vcc
	s_ashr_i32 s1, s20, 31
	s_mov_b32 s0, s20
	s_lshl_b64 s[0:1], s[0:1], 2
	s_sub_u32 s23, s14, s0
	s_mov_b32 s2, 0
	s_subb_u32 s3, s15, s1
	v_mov_b32_e32 v14, s2
	v_mov_b32_e32 v15, s3
	v_cmp_neq_f32_e64 s[2:3], s22, 0
	v_cmp_eq_u32_e64 s[0:1], 1, v0
	v_cndmask_b32_e64 v0, 0, 1, s[2:3]
	s_mov_b64 s[14:15], 0
	v_mov_b32_e32 v12, s19
	v_mov_b32_e32 v13, s9
	v_cmp_ne_u32_e64 s[2:3], 1, v0
	s_branch .LBB11_9
.LBB11_7:                               ;   in Loop: Header=BB11_9 Depth=1
	global_store_dword v[0:1], v4, off
.LBB11_8:                               ;   in Loop: Header=BB11_9 Depth=1
	s_or_b64 exec, exec, s[24:25]
	v_add_u32_e32 v2, s21, v2
	v_cmp_le_i32_e32 vcc, s17, v2
	s_or_b64 s[14:15], vcc, s[14:15]
	s_andn2_b64 exec, exec, s[14:15]
	s_cbranch_execz .LBB11_16
.LBB11_9:                               ; =>This Loop Header: Depth=1
                                        ;     Child Loop BB11_11 Depth 2
	v_ashrrev_i32_e32 v3, 31, v2
	v_lshlrev_b64 v[0:1], 3, v[2:3]
	v_add_co_u32_e32 v4, vcc, s8, v0
	v_addc_co_u32_e32 v5, vcc, v13, v1, vcc
	global_load_dwordx2 v[4:5], v[4:5], off
	v_add_co_u32_e32 v0, vcc, s18, v0
	v_addc_co_u32_e32 v1, vcc, v12, v1, vcc
	global_load_dwordx2 v[6:7], v[0:1], off
	v_mov_b32_e32 v16, 0
	s_waitcnt vmcnt(1)
	v_subrev_co_u32_e32 v0, vcc, s20, v4
	v_subb_co_u32_e32 v1, vcc, v5, v14, vcc
	s_waitcnt vmcnt(0)
	v_add_co_u32_e32 v4, vcc, v6, v10
	v_addc_co_u32_e32 v5, vcc, v7, v11, vcc
	v_cmp_lt_i64_e32 vcc, v[4:5], v[0:1]
	s_and_saveexec_b64 s[4:5], vcc
	s_cbranch_execz .LBB11_13
; %bb.10:                               ;   in Loop: Header=BB11_9 Depth=1
	v_lshlrev_b64 v[8:9], 2, v[4:5]
	v_mov_b32_e32 v7, s13
	v_add_co_u32_e32 v6, vcc, s12, v8
	v_addc_co_u32_e32 v7, vcc, v7, v9, vcc
	v_mov_b32_e32 v16, s11
	v_add_co_u32_e32 v8, vcc, s10, v8
	v_addc_co_u32_e32 v9, vcc, v16, v9, vcc
	s_mov_b64 s[24:25], 0
	v_mov_b32_e32 v16, 0
.LBB11_11:                              ;   Parent Loop BB11_9 Depth=1
                                        ; =>  This Inner Loop Header: Depth=2
	global_load_dword v18, v[8:9], off
	global_load_dword v17, v[6:7], off
	s_waitcnt vmcnt(1)
	v_ashrrev_i32_e32 v19, 31, v18
	v_lshlrev_b64 v[18:19], 2, v[18:19]
	v_add_co_u32_e32 v18, vcc, s23, v18
	v_addc_co_u32_e32 v19, vcc, v15, v19, vcc
	global_load_dword v18, v[18:19], off
	v_add_co_u32_e32 v4, vcc, 2, v4
	v_addc_co_u32_e32 v5, vcc, 0, v5, vcc
	v_add_co_u32_e32 v6, vcc, 8, v6
	v_addc_co_u32_e32 v7, vcc, 0, v7, vcc
	;; [unrolled: 2-line block ×3, first 2 shown]
	v_cmp_ge_i64_e32 vcc, v[4:5], v[0:1]
	s_waitcnt vmcnt(1)
	v_mul_f32_e32 v17, s16, v17
	s_or_b64 s[24:25], vcc, s[24:25]
	s_waitcnt vmcnt(0)
	v_fmac_f32_e32 v16, v17, v18
	s_andn2_b64 exec, exec, s[24:25]
	s_cbranch_execnz .LBB11_11
; %bb.12:                               ;   in Loop: Header=BB11_9 Depth=1
	s_or_b64 exec, exec, s[24:25]
.LBB11_13:                              ;   in Loop: Header=BB11_9 Depth=1
	s_or_b64 exec, exec, s[4:5]
	v_mov_b32_dpp v0, v16 row_shr:1 row_mask:0xf bank_mask:0xf
	s_and_saveexec_b64 s[24:25], s[0:1]
	s_cbranch_execz .LBB11_8
; %bb.14:                               ;   in Loop: Header=BB11_9 Depth=1
	v_add_f32_e32 v4, v16, v0
	v_lshlrev_b64 v[0:1], 2, v[2:3]
	v_mov_b32_e32 v3, s7
	v_add_co_u32_e64 v0, s[4:5], s6, v0
	s_and_b64 vcc, exec, s[2:3]
	v_addc_co_u32_e64 v1, s[4:5], v3, v1, s[4:5]
	s_cbranch_vccnz .LBB11_7
; %bb.15:                               ;   in Loop: Header=BB11_9 Depth=1
	global_load_dword v3, v[0:1], off
	s_waitcnt vmcnt(0)
	v_fmac_f32_e32 v4, s22, v3
	s_branch .LBB11_7
.LBB11_16:
	s_endpgm
	.section	.rodata,"a",@progbits
	.p2align	6, 0x0
	.amdhsa_kernel _ZN9rocsparseL21csrmvn_general_kernelILj256ELj2EliffffEEvbT2_NS_24const_host_device_scalarIT6_EEPKT1_S7_PKS1_PKT3_PKT4_S4_PT5_21rocsparse_index_base_b
		.amdhsa_group_segment_fixed_size 0
		.amdhsa_private_segment_fixed_size 0
		.amdhsa_kernarg_size 336
		.amdhsa_user_sgpr_count 6
		.amdhsa_user_sgpr_private_segment_buffer 1
		.amdhsa_user_sgpr_dispatch_ptr 0
		.amdhsa_user_sgpr_queue_ptr 0
		.amdhsa_user_sgpr_kernarg_segment_ptr 1
		.amdhsa_user_sgpr_dispatch_id 0
		.amdhsa_user_sgpr_flat_scratch_init 0
		.amdhsa_user_sgpr_kernarg_preload_length 0
		.amdhsa_user_sgpr_kernarg_preload_offset 0
		.amdhsa_user_sgpr_private_segment_size 0
		.amdhsa_uses_dynamic_stack 0
		.amdhsa_system_sgpr_private_segment_wavefront_offset 0
		.amdhsa_system_sgpr_workgroup_id_x 1
		.amdhsa_system_sgpr_workgroup_id_y 0
		.amdhsa_system_sgpr_workgroup_id_z 0
		.amdhsa_system_sgpr_workgroup_info 0
		.amdhsa_system_vgpr_workitem_id 0
		.amdhsa_next_free_vgpr 20
		.amdhsa_next_free_sgpr 26
		.amdhsa_accum_offset 20
		.amdhsa_reserve_vcc 1
		.amdhsa_reserve_flat_scratch 0
		.amdhsa_float_round_mode_32 0
		.amdhsa_float_round_mode_16_64 0
		.amdhsa_float_denorm_mode_32 3
		.amdhsa_float_denorm_mode_16_64 3
		.amdhsa_dx10_clamp 1
		.amdhsa_ieee_mode 1
		.amdhsa_fp16_overflow 0
		.amdhsa_tg_split 0
		.amdhsa_exception_fp_ieee_invalid_op 0
		.amdhsa_exception_fp_denorm_src 0
		.amdhsa_exception_fp_ieee_div_zero 0
		.amdhsa_exception_fp_ieee_overflow 0
		.amdhsa_exception_fp_ieee_underflow 0
		.amdhsa_exception_fp_ieee_inexact 0
		.amdhsa_exception_int_div_zero 0
	.end_amdhsa_kernel
	.section	.text._ZN9rocsparseL21csrmvn_general_kernelILj256ELj2EliffffEEvbT2_NS_24const_host_device_scalarIT6_EEPKT1_S7_PKS1_PKT3_PKT4_S4_PT5_21rocsparse_index_base_b,"axG",@progbits,_ZN9rocsparseL21csrmvn_general_kernelILj256ELj2EliffffEEvbT2_NS_24const_host_device_scalarIT6_EEPKT1_S7_PKS1_PKT3_PKT4_S4_PT5_21rocsparse_index_base_b,comdat
.Lfunc_end11:
	.size	_ZN9rocsparseL21csrmvn_general_kernelILj256ELj2EliffffEEvbT2_NS_24const_host_device_scalarIT6_EEPKT1_S7_PKS1_PKT3_PKT4_S4_PT5_21rocsparse_index_base_b, .Lfunc_end11-_ZN9rocsparseL21csrmvn_general_kernelILj256ELj2EliffffEEvbT2_NS_24const_host_device_scalarIT6_EEPKT1_S7_PKS1_PKT3_PKT4_S4_PT5_21rocsparse_index_base_b
                                        ; -- End function
	.section	.AMDGPU.csdata,"",@progbits
; Kernel info:
; codeLenInByte = 616
; NumSgprs: 30
; NumVgprs: 20
; NumAgprs: 0
; TotalNumVgprs: 20
; ScratchSize: 0
; MemoryBound: 0
; FloatMode: 240
; IeeeMode: 1
; LDSByteSize: 0 bytes/workgroup (compile time only)
; SGPRBlocks: 3
; VGPRBlocks: 2
; NumSGPRsForWavesPerEU: 30
; NumVGPRsForWavesPerEU: 20
; AccumOffset: 20
; Occupancy: 8
; WaveLimiterHint : 1
; COMPUTE_PGM_RSRC2:SCRATCH_EN: 0
; COMPUTE_PGM_RSRC2:USER_SGPR: 6
; COMPUTE_PGM_RSRC2:TRAP_HANDLER: 0
; COMPUTE_PGM_RSRC2:TGID_X_EN: 1
; COMPUTE_PGM_RSRC2:TGID_Y_EN: 0
; COMPUTE_PGM_RSRC2:TGID_Z_EN: 0
; COMPUTE_PGM_RSRC2:TIDIG_COMP_CNT: 0
; COMPUTE_PGM_RSRC3_GFX90A:ACCUM_OFFSET: 4
; COMPUTE_PGM_RSRC3_GFX90A:TG_SPLIT: 0
	.section	.text._ZN9rocsparseL21csrmvn_general_kernelILj256ELj4EliffffEEvbT2_NS_24const_host_device_scalarIT6_EEPKT1_S7_PKS1_PKT3_PKT4_S4_PT5_21rocsparse_index_base_b,"axG",@progbits,_ZN9rocsparseL21csrmvn_general_kernelILj256ELj4EliffffEEvbT2_NS_24const_host_device_scalarIT6_EEPKT1_S7_PKS1_PKT3_PKT4_S4_PT5_21rocsparse_index_base_b,comdat
	.globl	_ZN9rocsparseL21csrmvn_general_kernelILj256ELj4EliffffEEvbT2_NS_24const_host_device_scalarIT6_EEPKT1_S7_PKS1_PKT3_PKT4_S4_PT5_21rocsparse_index_base_b ; -- Begin function _ZN9rocsparseL21csrmvn_general_kernelILj256ELj4EliffffEEvbT2_NS_24const_host_device_scalarIT6_EEPKT1_S7_PKS1_PKT3_PKT4_S4_PT5_21rocsparse_index_base_b
	.p2align	8
	.type	_ZN9rocsparseL21csrmvn_general_kernelILj256ELj4EliffffEEvbT2_NS_24const_host_device_scalarIT6_EEPKT1_S7_PKS1_PKT3_PKT4_S4_PT5_21rocsparse_index_base_b,@function
_ZN9rocsparseL21csrmvn_general_kernelILj256ELj4EliffffEEvbT2_NS_24const_host_device_scalarIT6_EEPKT1_S7_PKS1_PKT3_PKT4_S4_PT5_21rocsparse_index_base_b: ; @_ZN9rocsparseL21csrmvn_general_kernelILj256ELj4EliffffEEvbT2_NS_24const_host_device_scalarIT6_EEPKT1_S7_PKS1_PKT3_PKT4_S4_PT5_21rocsparse_index_base_b
; %bb.0:
	s_load_dwordx2 s[20:21], s[4:5], 0x48
	s_load_dwordx4 s[16:19], s[4:5], 0x8
	s_load_dwordx2 s[22:23], s[4:5], 0x38
	s_waitcnt lgkmcnt(0)
	s_bitcmp1_b32 s21, 0
	s_cselect_b64 s[2:3], -1, 0
	s_xor_b64 s[0:1], s[2:3], -1
	s_and_b64 vcc, exec, s[2:3]
	s_cbranch_vccnz .LBB12_2
; %bb.1:
	s_load_dword s16, s[16:17], 0x0
.LBB12_2:
	s_andn2_b64 vcc, exec, s[0:1]
	s_cbranch_vccnz .LBB12_4
; %bb.3:
	s_load_dword s22, s[22:23], 0x0
.LBB12_4:
	s_waitcnt lgkmcnt(0)
	v_cmp_neq_f32_e64 s[0:1], s16, 0
	v_cmp_neq_f32_e64 s[2:3], s22, 1.0
	s_or_b64 s[0:1], s[0:1], s[2:3]
	s_andn2_b64 vcc, exec, s[0:1]
	s_cbranch_vccnz .LBB12_16
; %bb.5:
	s_load_dword s17, s[4:5], 0x4
	v_lshl_or_b32 v1, s6, 8, v0
	v_lshrrev_b32_e32 v2, 2, v1
	s_waitcnt lgkmcnt(0)
	v_cmp_gt_i32_e32 vcc, s17, v2
	s_and_saveexec_b64 s[0:1], vcc
	s_cbranch_execz .LBB12_16
; %bb.6:
	s_load_dword s0, s[4:5], 0x50
	s_load_dwordx2 s[6:7], s[4:5], 0x40
	s_load_dwordx8 s[8:15], s[4:5], 0x18
	v_and_b32_e32 v0, 3, v0
	v_subrev_co_u32_e32 v10, vcc, s20, v0
	s_waitcnt lgkmcnt(0)
	s_lshl_b32 s21, s0, 6
	v_subb_co_u32_e64 v11, s[0:1], 0, 0, vcc
	s_ashr_i32 s1, s20, 31
	s_mov_b32 s0, s20
	s_lshl_b64 s[0:1], s[0:1], 2
	s_sub_u32 s23, s14, s0
	s_mov_b32 s2, 0
	s_subb_u32 s3, s15, s1
	v_mov_b32_e32 v14, s2
	v_mov_b32_e32 v15, s3
	v_cmp_neq_f32_e64 s[2:3], s22, 0
	v_cmp_eq_u32_e64 s[0:1], 3, v0
	v_cndmask_b32_e64 v0, 0, 1, s[2:3]
	s_mov_b64 s[14:15], 0
	v_mov_b32_e32 v12, s19
	v_mov_b32_e32 v13, s9
	v_cmp_ne_u32_e64 s[2:3], 1, v0
	s_branch .LBB12_9
.LBB12_7:                               ;   in Loop: Header=BB12_9 Depth=1
	global_store_dword v[0:1], v4, off
.LBB12_8:                               ;   in Loop: Header=BB12_9 Depth=1
	s_or_b64 exec, exec, s[24:25]
	v_add_u32_e32 v2, s21, v2
	v_cmp_le_i32_e32 vcc, s17, v2
	s_or_b64 s[14:15], vcc, s[14:15]
	s_andn2_b64 exec, exec, s[14:15]
	s_cbranch_execz .LBB12_16
.LBB12_9:                               ; =>This Loop Header: Depth=1
                                        ;     Child Loop BB12_11 Depth 2
	v_ashrrev_i32_e32 v3, 31, v2
	v_lshlrev_b64 v[0:1], 3, v[2:3]
	v_add_co_u32_e32 v4, vcc, s8, v0
	v_addc_co_u32_e32 v5, vcc, v13, v1, vcc
	global_load_dwordx2 v[4:5], v[4:5], off
	v_add_co_u32_e32 v0, vcc, s18, v0
	v_addc_co_u32_e32 v1, vcc, v12, v1, vcc
	global_load_dwordx2 v[6:7], v[0:1], off
	v_mov_b32_e32 v16, 0
	s_waitcnt vmcnt(1)
	v_subrev_co_u32_e32 v0, vcc, s20, v4
	v_subb_co_u32_e32 v1, vcc, v5, v14, vcc
	s_waitcnt vmcnt(0)
	v_add_co_u32_e32 v4, vcc, v6, v10
	v_addc_co_u32_e32 v5, vcc, v7, v11, vcc
	v_cmp_lt_i64_e32 vcc, v[4:5], v[0:1]
	s_and_saveexec_b64 s[4:5], vcc
	s_cbranch_execz .LBB12_13
; %bb.10:                               ;   in Loop: Header=BB12_9 Depth=1
	v_lshlrev_b64 v[8:9], 2, v[4:5]
	v_mov_b32_e32 v7, s13
	v_add_co_u32_e32 v6, vcc, s12, v8
	v_addc_co_u32_e32 v7, vcc, v7, v9, vcc
	v_mov_b32_e32 v16, s11
	v_add_co_u32_e32 v8, vcc, s10, v8
	v_addc_co_u32_e32 v9, vcc, v16, v9, vcc
	s_mov_b64 s[24:25], 0
	v_mov_b32_e32 v16, 0
.LBB12_11:                              ;   Parent Loop BB12_9 Depth=1
                                        ; =>  This Inner Loop Header: Depth=2
	global_load_dword v18, v[8:9], off
	global_load_dword v17, v[6:7], off
	s_waitcnt vmcnt(1)
	v_ashrrev_i32_e32 v19, 31, v18
	v_lshlrev_b64 v[18:19], 2, v[18:19]
	v_add_co_u32_e32 v18, vcc, s23, v18
	v_addc_co_u32_e32 v19, vcc, v15, v19, vcc
	global_load_dword v18, v[18:19], off
	v_add_co_u32_e32 v4, vcc, 4, v4
	v_addc_co_u32_e32 v5, vcc, 0, v5, vcc
	v_add_co_u32_e32 v6, vcc, 16, v6
	v_addc_co_u32_e32 v7, vcc, 0, v7, vcc
	;; [unrolled: 2-line block ×3, first 2 shown]
	v_cmp_ge_i64_e32 vcc, v[4:5], v[0:1]
	s_waitcnt vmcnt(1)
	v_mul_f32_e32 v17, s16, v17
	s_or_b64 s[24:25], vcc, s[24:25]
	s_waitcnt vmcnt(0)
	v_fmac_f32_e32 v16, v17, v18
	s_andn2_b64 exec, exec, s[24:25]
	s_cbranch_execnz .LBB12_11
; %bb.12:                               ;   in Loop: Header=BB12_9 Depth=1
	s_or_b64 exec, exec, s[24:25]
.LBB12_13:                              ;   in Loop: Header=BB12_9 Depth=1
	s_or_b64 exec, exec, s[4:5]
	v_mov_b32_dpp v0, v16 row_shr:1 row_mask:0xf bank_mask:0xf
	v_add_f32_e32 v0, v16, v0
	s_nop 1
	v_mov_b32_dpp v1, v0 row_shr:2 row_mask:0xf bank_mask:0xf
	s_and_saveexec_b64 s[24:25], s[0:1]
	s_cbranch_execz .LBB12_8
; %bb.14:                               ;   in Loop: Header=BB12_9 Depth=1
	v_add_f32_e32 v4, v0, v1
	v_lshlrev_b64 v[0:1], 2, v[2:3]
	v_mov_b32_e32 v3, s7
	v_add_co_u32_e64 v0, s[4:5], s6, v0
	s_and_b64 vcc, exec, s[2:3]
	v_addc_co_u32_e64 v1, s[4:5], v3, v1, s[4:5]
	s_cbranch_vccnz .LBB12_7
; %bb.15:                               ;   in Loop: Header=BB12_9 Depth=1
	global_load_dword v3, v[0:1], off
	s_waitcnt vmcnt(0)
	v_fmac_f32_e32 v4, s22, v3
	s_branch .LBB12_7
.LBB12_16:
	s_endpgm
	.section	.rodata,"a",@progbits
	.p2align	6, 0x0
	.amdhsa_kernel _ZN9rocsparseL21csrmvn_general_kernelILj256ELj4EliffffEEvbT2_NS_24const_host_device_scalarIT6_EEPKT1_S7_PKS1_PKT3_PKT4_S4_PT5_21rocsparse_index_base_b
		.amdhsa_group_segment_fixed_size 0
		.amdhsa_private_segment_fixed_size 0
		.amdhsa_kernarg_size 336
		.amdhsa_user_sgpr_count 6
		.amdhsa_user_sgpr_private_segment_buffer 1
		.amdhsa_user_sgpr_dispatch_ptr 0
		.amdhsa_user_sgpr_queue_ptr 0
		.amdhsa_user_sgpr_kernarg_segment_ptr 1
		.amdhsa_user_sgpr_dispatch_id 0
		.amdhsa_user_sgpr_flat_scratch_init 0
		.amdhsa_user_sgpr_kernarg_preload_length 0
		.amdhsa_user_sgpr_kernarg_preload_offset 0
		.amdhsa_user_sgpr_private_segment_size 0
		.amdhsa_uses_dynamic_stack 0
		.amdhsa_system_sgpr_private_segment_wavefront_offset 0
		.amdhsa_system_sgpr_workgroup_id_x 1
		.amdhsa_system_sgpr_workgroup_id_y 0
		.amdhsa_system_sgpr_workgroup_id_z 0
		.amdhsa_system_sgpr_workgroup_info 0
		.amdhsa_system_vgpr_workitem_id 0
		.amdhsa_next_free_vgpr 20
		.amdhsa_next_free_sgpr 26
		.amdhsa_accum_offset 20
		.amdhsa_reserve_vcc 1
		.amdhsa_reserve_flat_scratch 0
		.amdhsa_float_round_mode_32 0
		.amdhsa_float_round_mode_16_64 0
		.amdhsa_float_denorm_mode_32 3
		.amdhsa_float_denorm_mode_16_64 3
		.amdhsa_dx10_clamp 1
		.amdhsa_ieee_mode 1
		.amdhsa_fp16_overflow 0
		.amdhsa_tg_split 0
		.amdhsa_exception_fp_ieee_invalid_op 0
		.amdhsa_exception_fp_denorm_src 0
		.amdhsa_exception_fp_ieee_div_zero 0
		.amdhsa_exception_fp_ieee_overflow 0
		.amdhsa_exception_fp_ieee_underflow 0
		.amdhsa_exception_fp_ieee_inexact 0
		.amdhsa_exception_int_div_zero 0
	.end_amdhsa_kernel
	.section	.text._ZN9rocsparseL21csrmvn_general_kernelILj256ELj4EliffffEEvbT2_NS_24const_host_device_scalarIT6_EEPKT1_S7_PKS1_PKT3_PKT4_S4_PT5_21rocsparse_index_base_b,"axG",@progbits,_ZN9rocsparseL21csrmvn_general_kernelILj256ELj4EliffffEEvbT2_NS_24const_host_device_scalarIT6_EEPKT1_S7_PKS1_PKT3_PKT4_S4_PT5_21rocsparse_index_base_b,comdat
.Lfunc_end12:
	.size	_ZN9rocsparseL21csrmvn_general_kernelILj256ELj4EliffffEEvbT2_NS_24const_host_device_scalarIT6_EEPKT1_S7_PKS1_PKT3_PKT4_S4_PT5_21rocsparse_index_base_b, .Lfunc_end12-_ZN9rocsparseL21csrmvn_general_kernelILj256ELj4EliffffEEvbT2_NS_24const_host_device_scalarIT6_EEPKT1_S7_PKS1_PKT3_PKT4_S4_PT5_21rocsparse_index_base_b
                                        ; -- End function
	.section	.AMDGPU.csdata,"",@progbits
; Kernel info:
; codeLenInByte = 632
; NumSgprs: 30
; NumVgprs: 20
; NumAgprs: 0
; TotalNumVgprs: 20
; ScratchSize: 0
; MemoryBound: 0
; FloatMode: 240
; IeeeMode: 1
; LDSByteSize: 0 bytes/workgroup (compile time only)
; SGPRBlocks: 3
; VGPRBlocks: 2
; NumSGPRsForWavesPerEU: 30
; NumVGPRsForWavesPerEU: 20
; AccumOffset: 20
; Occupancy: 8
; WaveLimiterHint : 1
; COMPUTE_PGM_RSRC2:SCRATCH_EN: 0
; COMPUTE_PGM_RSRC2:USER_SGPR: 6
; COMPUTE_PGM_RSRC2:TRAP_HANDLER: 0
; COMPUTE_PGM_RSRC2:TGID_X_EN: 1
; COMPUTE_PGM_RSRC2:TGID_Y_EN: 0
; COMPUTE_PGM_RSRC2:TGID_Z_EN: 0
; COMPUTE_PGM_RSRC2:TIDIG_COMP_CNT: 0
; COMPUTE_PGM_RSRC3_GFX90A:ACCUM_OFFSET: 4
; COMPUTE_PGM_RSRC3_GFX90A:TG_SPLIT: 0
	.section	.text._ZN9rocsparseL21csrmvn_general_kernelILj256ELj8EliffffEEvbT2_NS_24const_host_device_scalarIT6_EEPKT1_S7_PKS1_PKT3_PKT4_S4_PT5_21rocsparse_index_base_b,"axG",@progbits,_ZN9rocsparseL21csrmvn_general_kernelILj256ELj8EliffffEEvbT2_NS_24const_host_device_scalarIT6_EEPKT1_S7_PKS1_PKT3_PKT4_S4_PT5_21rocsparse_index_base_b,comdat
	.globl	_ZN9rocsparseL21csrmvn_general_kernelILj256ELj8EliffffEEvbT2_NS_24const_host_device_scalarIT6_EEPKT1_S7_PKS1_PKT3_PKT4_S4_PT5_21rocsparse_index_base_b ; -- Begin function _ZN9rocsparseL21csrmvn_general_kernelILj256ELj8EliffffEEvbT2_NS_24const_host_device_scalarIT6_EEPKT1_S7_PKS1_PKT3_PKT4_S4_PT5_21rocsparse_index_base_b
	.p2align	8
	.type	_ZN9rocsparseL21csrmvn_general_kernelILj256ELj8EliffffEEvbT2_NS_24const_host_device_scalarIT6_EEPKT1_S7_PKS1_PKT3_PKT4_S4_PT5_21rocsparse_index_base_b,@function
_ZN9rocsparseL21csrmvn_general_kernelILj256ELj8EliffffEEvbT2_NS_24const_host_device_scalarIT6_EEPKT1_S7_PKS1_PKT3_PKT4_S4_PT5_21rocsparse_index_base_b: ; @_ZN9rocsparseL21csrmvn_general_kernelILj256ELj8EliffffEEvbT2_NS_24const_host_device_scalarIT6_EEPKT1_S7_PKS1_PKT3_PKT4_S4_PT5_21rocsparse_index_base_b
; %bb.0:
	s_load_dwordx2 s[20:21], s[4:5], 0x48
	s_load_dwordx4 s[16:19], s[4:5], 0x8
	s_load_dwordx2 s[22:23], s[4:5], 0x38
	s_waitcnt lgkmcnt(0)
	s_bitcmp1_b32 s21, 0
	s_cselect_b64 s[2:3], -1, 0
	s_xor_b64 s[0:1], s[2:3], -1
	s_and_b64 vcc, exec, s[2:3]
	s_cbranch_vccnz .LBB13_2
; %bb.1:
	s_load_dword s16, s[16:17], 0x0
.LBB13_2:
	s_andn2_b64 vcc, exec, s[0:1]
	s_cbranch_vccnz .LBB13_4
; %bb.3:
	s_load_dword s22, s[22:23], 0x0
.LBB13_4:
	s_waitcnt lgkmcnt(0)
	v_cmp_neq_f32_e64 s[0:1], s16, 0
	v_cmp_neq_f32_e64 s[2:3], s22, 1.0
	s_or_b64 s[0:1], s[0:1], s[2:3]
	s_andn2_b64 vcc, exec, s[0:1]
	s_cbranch_vccnz .LBB13_16
; %bb.5:
	s_load_dword s17, s[4:5], 0x4
	v_lshl_or_b32 v1, s6, 8, v0
	v_lshrrev_b32_e32 v2, 3, v1
	s_waitcnt lgkmcnt(0)
	v_cmp_gt_i32_e32 vcc, s17, v2
	s_and_saveexec_b64 s[0:1], vcc
	s_cbranch_execz .LBB13_16
; %bb.6:
	s_load_dword s0, s[4:5], 0x50
	s_load_dwordx2 s[6:7], s[4:5], 0x40
	s_load_dwordx8 s[8:15], s[4:5], 0x18
	v_and_b32_e32 v0, 7, v0
	v_subrev_co_u32_e32 v10, vcc, s20, v0
	s_waitcnt lgkmcnt(0)
	s_lshl_b32 s21, s0, 5
	v_subb_co_u32_e64 v11, s[0:1], 0, 0, vcc
	s_ashr_i32 s1, s20, 31
	s_mov_b32 s0, s20
	s_lshl_b64 s[0:1], s[0:1], 2
	s_sub_u32 s23, s14, s0
	s_mov_b32 s2, 0
	s_subb_u32 s3, s15, s1
	v_mov_b32_e32 v14, s2
	v_mov_b32_e32 v15, s3
	v_cmp_neq_f32_e64 s[2:3], s22, 0
	v_cmp_eq_u32_e64 s[0:1], 7, v0
	v_cndmask_b32_e64 v0, 0, 1, s[2:3]
	s_mov_b64 s[14:15], 0
	v_mov_b32_e32 v12, s19
	v_mov_b32_e32 v13, s9
	v_cmp_ne_u32_e64 s[2:3], 1, v0
	s_branch .LBB13_9
.LBB13_7:                               ;   in Loop: Header=BB13_9 Depth=1
	global_store_dword v[0:1], v4, off
.LBB13_8:                               ;   in Loop: Header=BB13_9 Depth=1
	s_or_b64 exec, exec, s[24:25]
	v_add_u32_e32 v2, s21, v2
	v_cmp_le_i32_e32 vcc, s17, v2
	s_or_b64 s[14:15], vcc, s[14:15]
	s_andn2_b64 exec, exec, s[14:15]
	s_cbranch_execz .LBB13_16
.LBB13_9:                               ; =>This Loop Header: Depth=1
                                        ;     Child Loop BB13_11 Depth 2
	v_ashrrev_i32_e32 v3, 31, v2
	v_lshlrev_b64 v[0:1], 3, v[2:3]
	v_add_co_u32_e32 v4, vcc, s8, v0
	v_addc_co_u32_e32 v5, vcc, v13, v1, vcc
	global_load_dwordx2 v[4:5], v[4:5], off
	v_add_co_u32_e32 v0, vcc, s18, v0
	v_addc_co_u32_e32 v1, vcc, v12, v1, vcc
	global_load_dwordx2 v[6:7], v[0:1], off
	v_mov_b32_e32 v16, 0
	s_waitcnt vmcnt(1)
	v_subrev_co_u32_e32 v0, vcc, s20, v4
	v_subb_co_u32_e32 v1, vcc, v5, v14, vcc
	s_waitcnt vmcnt(0)
	v_add_co_u32_e32 v4, vcc, v6, v10
	v_addc_co_u32_e32 v5, vcc, v7, v11, vcc
	v_cmp_lt_i64_e32 vcc, v[4:5], v[0:1]
	s_and_saveexec_b64 s[4:5], vcc
	s_cbranch_execz .LBB13_13
; %bb.10:                               ;   in Loop: Header=BB13_9 Depth=1
	v_lshlrev_b64 v[8:9], 2, v[4:5]
	v_mov_b32_e32 v7, s13
	v_add_co_u32_e32 v6, vcc, s12, v8
	v_addc_co_u32_e32 v7, vcc, v7, v9, vcc
	v_mov_b32_e32 v16, s11
	v_add_co_u32_e32 v8, vcc, s10, v8
	v_addc_co_u32_e32 v9, vcc, v16, v9, vcc
	s_mov_b64 s[24:25], 0
	v_mov_b32_e32 v16, 0
.LBB13_11:                              ;   Parent Loop BB13_9 Depth=1
                                        ; =>  This Inner Loop Header: Depth=2
	global_load_dword v18, v[8:9], off
	global_load_dword v17, v[6:7], off
	s_waitcnt vmcnt(1)
	v_ashrrev_i32_e32 v19, 31, v18
	v_lshlrev_b64 v[18:19], 2, v[18:19]
	v_add_co_u32_e32 v18, vcc, s23, v18
	v_addc_co_u32_e32 v19, vcc, v15, v19, vcc
	global_load_dword v18, v[18:19], off
	v_add_co_u32_e32 v4, vcc, 8, v4
	v_addc_co_u32_e32 v5, vcc, 0, v5, vcc
	v_add_co_u32_e32 v6, vcc, 32, v6
	v_addc_co_u32_e32 v7, vcc, 0, v7, vcc
	;; [unrolled: 2-line block ×3, first 2 shown]
	v_cmp_ge_i64_e32 vcc, v[4:5], v[0:1]
	s_waitcnt vmcnt(1)
	v_mul_f32_e32 v17, s16, v17
	s_or_b64 s[24:25], vcc, s[24:25]
	s_waitcnt vmcnt(0)
	v_fmac_f32_e32 v16, v17, v18
	s_andn2_b64 exec, exec, s[24:25]
	s_cbranch_execnz .LBB13_11
; %bb.12:                               ;   in Loop: Header=BB13_9 Depth=1
	s_or_b64 exec, exec, s[24:25]
.LBB13_13:                              ;   in Loop: Header=BB13_9 Depth=1
	s_or_b64 exec, exec, s[4:5]
	v_mov_b32_dpp v0, v16 row_shr:1 row_mask:0xf bank_mask:0xf
	v_add_f32_e32 v0, v16, v0
	s_nop 1
	v_mov_b32_dpp v1, v0 row_shr:2 row_mask:0xf bank_mask:0xf
	v_add_f32_e32 v0, v0, v1
	s_nop 1
	v_mov_b32_dpp v1, v0 row_shr:4 row_mask:0xf bank_mask:0xe
	s_and_saveexec_b64 s[24:25], s[0:1]
	s_cbranch_execz .LBB13_8
; %bb.14:                               ;   in Loop: Header=BB13_9 Depth=1
	v_add_f32_e32 v4, v0, v1
	v_lshlrev_b64 v[0:1], 2, v[2:3]
	v_mov_b32_e32 v3, s7
	v_add_co_u32_e64 v0, s[4:5], s6, v0
	s_and_b64 vcc, exec, s[2:3]
	v_addc_co_u32_e64 v1, s[4:5], v3, v1, s[4:5]
	s_cbranch_vccnz .LBB13_7
; %bb.15:                               ;   in Loop: Header=BB13_9 Depth=1
	global_load_dword v3, v[0:1], off
	s_waitcnt vmcnt(0)
	v_fmac_f32_e32 v4, s22, v3
	s_branch .LBB13_7
.LBB13_16:
	s_endpgm
	.section	.rodata,"a",@progbits
	.p2align	6, 0x0
	.amdhsa_kernel _ZN9rocsparseL21csrmvn_general_kernelILj256ELj8EliffffEEvbT2_NS_24const_host_device_scalarIT6_EEPKT1_S7_PKS1_PKT3_PKT4_S4_PT5_21rocsparse_index_base_b
		.amdhsa_group_segment_fixed_size 0
		.amdhsa_private_segment_fixed_size 0
		.amdhsa_kernarg_size 336
		.amdhsa_user_sgpr_count 6
		.amdhsa_user_sgpr_private_segment_buffer 1
		.amdhsa_user_sgpr_dispatch_ptr 0
		.amdhsa_user_sgpr_queue_ptr 0
		.amdhsa_user_sgpr_kernarg_segment_ptr 1
		.amdhsa_user_sgpr_dispatch_id 0
		.amdhsa_user_sgpr_flat_scratch_init 0
		.amdhsa_user_sgpr_kernarg_preload_length 0
		.amdhsa_user_sgpr_kernarg_preload_offset 0
		.amdhsa_user_sgpr_private_segment_size 0
		.amdhsa_uses_dynamic_stack 0
		.amdhsa_system_sgpr_private_segment_wavefront_offset 0
		.amdhsa_system_sgpr_workgroup_id_x 1
		.amdhsa_system_sgpr_workgroup_id_y 0
		.amdhsa_system_sgpr_workgroup_id_z 0
		.amdhsa_system_sgpr_workgroup_info 0
		.amdhsa_system_vgpr_workitem_id 0
		.amdhsa_next_free_vgpr 20
		.amdhsa_next_free_sgpr 26
		.amdhsa_accum_offset 20
		.amdhsa_reserve_vcc 1
		.amdhsa_reserve_flat_scratch 0
		.amdhsa_float_round_mode_32 0
		.amdhsa_float_round_mode_16_64 0
		.amdhsa_float_denorm_mode_32 3
		.amdhsa_float_denorm_mode_16_64 3
		.amdhsa_dx10_clamp 1
		.amdhsa_ieee_mode 1
		.amdhsa_fp16_overflow 0
		.amdhsa_tg_split 0
		.amdhsa_exception_fp_ieee_invalid_op 0
		.amdhsa_exception_fp_denorm_src 0
		.amdhsa_exception_fp_ieee_div_zero 0
		.amdhsa_exception_fp_ieee_overflow 0
		.amdhsa_exception_fp_ieee_underflow 0
		.amdhsa_exception_fp_ieee_inexact 0
		.amdhsa_exception_int_div_zero 0
	.end_amdhsa_kernel
	.section	.text._ZN9rocsparseL21csrmvn_general_kernelILj256ELj8EliffffEEvbT2_NS_24const_host_device_scalarIT6_EEPKT1_S7_PKS1_PKT3_PKT4_S4_PT5_21rocsparse_index_base_b,"axG",@progbits,_ZN9rocsparseL21csrmvn_general_kernelILj256ELj8EliffffEEvbT2_NS_24const_host_device_scalarIT6_EEPKT1_S7_PKS1_PKT3_PKT4_S4_PT5_21rocsparse_index_base_b,comdat
.Lfunc_end13:
	.size	_ZN9rocsparseL21csrmvn_general_kernelILj256ELj8EliffffEEvbT2_NS_24const_host_device_scalarIT6_EEPKT1_S7_PKS1_PKT3_PKT4_S4_PT5_21rocsparse_index_base_b, .Lfunc_end13-_ZN9rocsparseL21csrmvn_general_kernelILj256ELj8EliffffEEvbT2_NS_24const_host_device_scalarIT6_EEPKT1_S7_PKS1_PKT3_PKT4_S4_PT5_21rocsparse_index_base_b
                                        ; -- End function
	.section	.AMDGPU.csdata,"",@progbits
; Kernel info:
; codeLenInByte = 648
; NumSgprs: 30
; NumVgprs: 20
; NumAgprs: 0
; TotalNumVgprs: 20
; ScratchSize: 0
; MemoryBound: 0
; FloatMode: 240
; IeeeMode: 1
; LDSByteSize: 0 bytes/workgroup (compile time only)
; SGPRBlocks: 3
; VGPRBlocks: 2
; NumSGPRsForWavesPerEU: 30
; NumVGPRsForWavesPerEU: 20
; AccumOffset: 20
; Occupancy: 8
; WaveLimiterHint : 1
; COMPUTE_PGM_RSRC2:SCRATCH_EN: 0
; COMPUTE_PGM_RSRC2:USER_SGPR: 6
; COMPUTE_PGM_RSRC2:TRAP_HANDLER: 0
; COMPUTE_PGM_RSRC2:TGID_X_EN: 1
; COMPUTE_PGM_RSRC2:TGID_Y_EN: 0
; COMPUTE_PGM_RSRC2:TGID_Z_EN: 0
; COMPUTE_PGM_RSRC2:TIDIG_COMP_CNT: 0
; COMPUTE_PGM_RSRC3_GFX90A:ACCUM_OFFSET: 4
; COMPUTE_PGM_RSRC3_GFX90A:TG_SPLIT: 0
	.section	.text._ZN9rocsparseL21csrmvn_general_kernelILj256ELj16EliffffEEvbT2_NS_24const_host_device_scalarIT6_EEPKT1_S7_PKS1_PKT3_PKT4_S4_PT5_21rocsparse_index_base_b,"axG",@progbits,_ZN9rocsparseL21csrmvn_general_kernelILj256ELj16EliffffEEvbT2_NS_24const_host_device_scalarIT6_EEPKT1_S7_PKS1_PKT3_PKT4_S4_PT5_21rocsparse_index_base_b,comdat
	.globl	_ZN9rocsparseL21csrmvn_general_kernelILj256ELj16EliffffEEvbT2_NS_24const_host_device_scalarIT6_EEPKT1_S7_PKS1_PKT3_PKT4_S4_PT5_21rocsparse_index_base_b ; -- Begin function _ZN9rocsparseL21csrmvn_general_kernelILj256ELj16EliffffEEvbT2_NS_24const_host_device_scalarIT6_EEPKT1_S7_PKS1_PKT3_PKT4_S4_PT5_21rocsparse_index_base_b
	.p2align	8
	.type	_ZN9rocsparseL21csrmvn_general_kernelILj256ELj16EliffffEEvbT2_NS_24const_host_device_scalarIT6_EEPKT1_S7_PKS1_PKT3_PKT4_S4_PT5_21rocsparse_index_base_b,@function
_ZN9rocsparseL21csrmvn_general_kernelILj256ELj16EliffffEEvbT2_NS_24const_host_device_scalarIT6_EEPKT1_S7_PKS1_PKT3_PKT4_S4_PT5_21rocsparse_index_base_b: ; @_ZN9rocsparseL21csrmvn_general_kernelILj256ELj16EliffffEEvbT2_NS_24const_host_device_scalarIT6_EEPKT1_S7_PKS1_PKT3_PKT4_S4_PT5_21rocsparse_index_base_b
; %bb.0:
	s_load_dwordx2 s[20:21], s[4:5], 0x48
	s_load_dwordx4 s[16:19], s[4:5], 0x8
	s_load_dwordx2 s[22:23], s[4:5], 0x38
	s_waitcnt lgkmcnt(0)
	s_bitcmp1_b32 s21, 0
	s_cselect_b64 s[2:3], -1, 0
	s_xor_b64 s[0:1], s[2:3], -1
	s_and_b64 vcc, exec, s[2:3]
	s_cbranch_vccnz .LBB14_2
; %bb.1:
	s_load_dword s16, s[16:17], 0x0
.LBB14_2:
	s_andn2_b64 vcc, exec, s[0:1]
	s_cbranch_vccnz .LBB14_4
; %bb.3:
	s_load_dword s22, s[22:23], 0x0
.LBB14_4:
	s_waitcnt lgkmcnt(0)
	v_cmp_neq_f32_e64 s[0:1], s16, 0
	v_cmp_neq_f32_e64 s[2:3], s22, 1.0
	s_or_b64 s[0:1], s[0:1], s[2:3]
	s_andn2_b64 vcc, exec, s[0:1]
	s_cbranch_vccnz .LBB14_16
; %bb.5:
	s_load_dword s17, s[4:5], 0x4
	v_lshl_or_b32 v1, s6, 8, v0
	v_lshrrev_b32_e32 v2, 4, v1
	s_waitcnt lgkmcnt(0)
	v_cmp_gt_i32_e32 vcc, s17, v2
	s_and_saveexec_b64 s[0:1], vcc
	s_cbranch_execz .LBB14_16
; %bb.6:
	s_load_dword s0, s[4:5], 0x50
	s_load_dwordx2 s[6:7], s[4:5], 0x40
	s_load_dwordx8 s[8:15], s[4:5], 0x18
	v_and_b32_e32 v0, 15, v0
	v_subrev_co_u32_e32 v10, vcc, s20, v0
	s_waitcnt lgkmcnt(0)
	s_lshl_b32 s21, s0, 4
	v_subb_co_u32_e64 v11, s[0:1], 0, 0, vcc
	s_ashr_i32 s1, s20, 31
	s_mov_b32 s0, s20
	s_lshl_b64 s[0:1], s[0:1], 2
	s_sub_u32 s23, s14, s0
	s_mov_b32 s2, 0
	s_subb_u32 s3, s15, s1
	v_mov_b32_e32 v14, s2
	v_mov_b32_e32 v15, s3
	v_cmp_neq_f32_e64 s[2:3], s22, 0
	v_cmp_eq_u32_e64 s[0:1], 15, v0
	v_cndmask_b32_e64 v0, 0, 1, s[2:3]
	s_mov_b64 s[14:15], 0
	v_mov_b32_e32 v12, s19
	v_mov_b32_e32 v13, s9
	v_cmp_ne_u32_e64 s[2:3], 1, v0
	s_branch .LBB14_9
.LBB14_7:                               ;   in Loop: Header=BB14_9 Depth=1
	global_store_dword v[0:1], v4, off
.LBB14_8:                               ;   in Loop: Header=BB14_9 Depth=1
	s_or_b64 exec, exec, s[24:25]
	v_add_u32_e32 v2, s21, v2
	v_cmp_le_i32_e32 vcc, s17, v2
	s_or_b64 s[14:15], vcc, s[14:15]
	s_andn2_b64 exec, exec, s[14:15]
	s_cbranch_execz .LBB14_16
.LBB14_9:                               ; =>This Loop Header: Depth=1
                                        ;     Child Loop BB14_11 Depth 2
	v_ashrrev_i32_e32 v3, 31, v2
	v_lshlrev_b64 v[0:1], 3, v[2:3]
	v_add_co_u32_e32 v4, vcc, s8, v0
	v_addc_co_u32_e32 v5, vcc, v13, v1, vcc
	global_load_dwordx2 v[4:5], v[4:5], off
	v_add_co_u32_e32 v0, vcc, s18, v0
	v_addc_co_u32_e32 v1, vcc, v12, v1, vcc
	global_load_dwordx2 v[6:7], v[0:1], off
	v_mov_b32_e32 v16, 0
	s_waitcnt vmcnt(1)
	v_subrev_co_u32_e32 v0, vcc, s20, v4
	v_subb_co_u32_e32 v1, vcc, v5, v14, vcc
	s_waitcnt vmcnt(0)
	v_add_co_u32_e32 v4, vcc, v6, v10
	v_addc_co_u32_e32 v5, vcc, v7, v11, vcc
	v_cmp_lt_i64_e32 vcc, v[4:5], v[0:1]
	s_and_saveexec_b64 s[4:5], vcc
	s_cbranch_execz .LBB14_13
; %bb.10:                               ;   in Loop: Header=BB14_9 Depth=1
	v_lshlrev_b64 v[8:9], 2, v[4:5]
	v_mov_b32_e32 v7, s13
	v_add_co_u32_e32 v6, vcc, s12, v8
	v_addc_co_u32_e32 v7, vcc, v7, v9, vcc
	v_mov_b32_e32 v16, s11
	v_add_co_u32_e32 v8, vcc, s10, v8
	v_addc_co_u32_e32 v9, vcc, v16, v9, vcc
	s_mov_b64 s[24:25], 0
	v_mov_b32_e32 v16, 0
.LBB14_11:                              ;   Parent Loop BB14_9 Depth=1
                                        ; =>  This Inner Loop Header: Depth=2
	global_load_dword v18, v[8:9], off
	global_load_dword v17, v[6:7], off
	s_waitcnt vmcnt(1)
	v_ashrrev_i32_e32 v19, 31, v18
	v_lshlrev_b64 v[18:19], 2, v[18:19]
	v_add_co_u32_e32 v18, vcc, s23, v18
	v_addc_co_u32_e32 v19, vcc, v15, v19, vcc
	global_load_dword v18, v[18:19], off
	v_add_co_u32_e32 v4, vcc, 16, v4
	v_addc_co_u32_e32 v5, vcc, 0, v5, vcc
	v_add_co_u32_e32 v6, vcc, 64, v6
	v_addc_co_u32_e32 v7, vcc, 0, v7, vcc
	;; [unrolled: 2-line block ×3, first 2 shown]
	v_cmp_ge_i64_e32 vcc, v[4:5], v[0:1]
	s_waitcnt vmcnt(1)
	v_mul_f32_e32 v17, s16, v17
	s_or_b64 s[24:25], vcc, s[24:25]
	s_waitcnt vmcnt(0)
	v_fmac_f32_e32 v16, v17, v18
	s_andn2_b64 exec, exec, s[24:25]
	s_cbranch_execnz .LBB14_11
; %bb.12:                               ;   in Loop: Header=BB14_9 Depth=1
	s_or_b64 exec, exec, s[24:25]
.LBB14_13:                              ;   in Loop: Header=BB14_9 Depth=1
	s_or_b64 exec, exec, s[4:5]
	v_mov_b32_dpp v0, v16 row_shr:1 row_mask:0xf bank_mask:0xf
	v_add_f32_e32 v0, v16, v0
	s_nop 1
	v_mov_b32_dpp v1, v0 row_shr:2 row_mask:0xf bank_mask:0xf
	v_add_f32_e32 v0, v0, v1
	s_nop 1
	;; [unrolled: 3-line block ×3, first 2 shown]
	v_mov_b32_dpp v1, v0 row_shr:8 row_mask:0xf bank_mask:0xc
	s_and_saveexec_b64 s[24:25], s[0:1]
	s_cbranch_execz .LBB14_8
; %bb.14:                               ;   in Loop: Header=BB14_9 Depth=1
	v_add_f32_e32 v4, v0, v1
	v_lshlrev_b64 v[0:1], 2, v[2:3]
	v_mov_b32_e32 v3, s7
	v_add_co_u32_e64 v0, s[4:5], s6, v0
	s_and_b64 vcc, exec, s[2:3]
	v_addc_co_u32_e64 v1, s[4:5], v3, v1, s[4:5]
	s_cbranch_vccnz .LBB14_7
; %bb.15:                               ;   in Loop: Header=BB14_9 Depth=1
	global_load_dword v3, v[0:1], off
	s_waitcnt vmcnt(0)
	v_fmac_f32_e32 v4, s22, v3
	s_branch .LBB14_7
.LBB14_16:
	s_endpgm
	.section	.rodata,"a",@progbits
	.p2align	6, 0x0
	.amdhsa_kernel _ZN9rocsparseL21csrmvn_general_kernelILj256ELj16EliffffEEvbT2_NS_24const_host_device_scalarIT6_EEPKT1_S7_PKS1_PKT3_PKT4_S4_PT5_21rocsparse_index_base_b
		.amdhsa_group_segment_fixed_size 0
		.amdhsa_private_segment_fixed_size 0
		.amdhsa_kernarg_size 336
		.amdhsa_user_sgpr_count 6
		.amdhsa_user_sgpr_private_segment_buffer 1
		.amdhsa_user_sgpr_dispatch_ptr 0
		.amdhsa_user_sgpr_queue_ptr 0
		.amdhsa_user_sgpr_kernarg_segment_ptr 1
		.amdhsa_user_sgpr_dispatch_id 0
		.amdhsa_user_sgpr_flat_scratch_init 0
		.amdhsa_user_sgpr_kernarg_preload_length 0
		.amdhsa_user_sgpr_kernarg_preload_offset 0
		.amdhsa_user_sgpr_private_segment_size 0
		.amdhsa_uses_dynamic_stack 0
		.amdhsa_system_sgpr_private_segment_wavefront_offset 0
		.amdhsa_system_sgpr_workgroup_id_x 1
		.amdhsa_system_sgpr_workgroup_id_y 0
		.amdhsa_system_sgpr_workgroup_id_z 0
		.amdhsa_system_sgpr_workgroup_info 0
		.amdhsa_system_vgpr_workitem_id 0
		.amdhsa_next_free_vgpr 20
		.amdhsa_next_free_sgpr 26
		.amdhsa_accum_offset 20
		.amdhsa_reserve_vcc 1
		.amdhsa_reserve_flat_scratch 0
		.amdhsa_float_round_mode_32 0
		.amdhsa_float_round_mode_16_64 0
		.amdhsa_float_denorm_mode_32 3
		.amdhsa_float_denorm_mode_16_64 3
		.amdhsa_dx10_clamp 1
		.amdhsa_ieee_mode 1
		.amdhsa_fp16_overflow 0
		.amdhsa_tg_split 0
		.amdhsa_exception_fp_ieee_invalid_op 0
		.amdhsa_exception_fp_denorm_src 0
		.amdhsa_exception_fp_ieee_div_zero 0
		.amdhsa_exception_fp_ieee_overflow 0
		.amdhsa_exception_fp_ieee_underflow 0
		.amdhsa_exception_fp_ieee_inexact 0
		.amdhsa_exception_int_div_zero 0
	.end_amdhsa_kernel
	.section	.text._ZN9rocsparseL21csrmvn_general_kernelILj256ELj16EliffffEEvbT2_NS_24const_host_device_scalarIT6_EEPKT1_S7_PKS1_PKT3_PKT4_S4_PT5_21rocsparse_index_base_b,"axG",@progbits,_ZN9rocsparseL21csrmvn_general_kernelILj256ELj16EliffffEEvbT2_NS_24const_host_device_scalarIT6_EEPKT1_S7_PKS1_PKT3_PKT4_S4_PT5_21rocsparse_index_base_b,comdat
.Lfunc_end14:
	.size	_ZN9rocsparseL21csrmvn_general_kernelILj256ELj16EliffffEEvbT2_NS_24const_host_device_scalarIT6_EEPKT1_S7_PKS1_PKT3_PKT4_S4_PT5_21rocsparse_index_base_b, .Lfunc_end14-_ZN9rocsparseL21csrmvn_general_kernelILj256ELj16EliffffEEvbT2_NS_24const_host_device_scalarIT6_EEPKT1_S7_PKS1_PKT3_PKT4_S4_PT5_21rocsparse_index_base_b
                                        ; -- End function
	.section	.AMDGPU.csdata,"",@progbits
; Kernel info:
; codeLenInByte = 664
; NumSgprs: 30
; NumVgprs: 20
; NumAgprs: 0
; TotalNumVgprs: 20
; ScratchSize: 0
; MemoryBound: 0
; FloatMode: 240
; IeeeMode: 1
; LDSByteSize: 0 bytes/workgroup (compile time only)
; SGPRBlocks: 3
; VGPRBlocks: 2
; NumSGPRsForWavesPerEU: 30
; NumVGPRsForWavesPerEU: 20
; AccumOffset: 20
; Occupancy: 8
; WaveLimiterHint : 1
; COMPUTE_PGM_RSRC2:SCRATCH_EN: 0
; COMPUTE_PGM_RSRC2:USER_SGPR: 6
; COMPUTE_PGM_RSRC2:TRAP_HANDLER: 0
; COMPUTE_PGM_RSRC2:TGID_X_EN: 1
; COMPUTE_PGM_RSRC2:TGID_Y_EN: 0
; COMPUTE_PGM_RSRC2:TGID_Z_EN: 0
; COMPUTE_PGM_RSRC2:TIDIG_COMP_CNT: 0
; COMPUTE_PGM_RSRC3_GFX90A:ACCUM_OFFSET: 4
; COMPUTE_PGM_RSRC3_GFX90A:TG_SPLIT: 0
	.section	.text._ZN9rocsparseL21csrmvn_general_kernelILj256ELj32EliffffEEvbT2_NS_24const_host_device_scalarIT6_EEPKT1_S7_PKS1_PKT3_PKT4_S4_PT5_21rocsparse_index_base_b,"axG",@progbits,_ZN9rocsparseL21csrmvn_general_kernelILj256ELj32EliffffEEvbT2_NS_24const_host_device_scalarIT6_EEPKT1_S7_PKS1_PKT3_PKT4_S4_PT5_21rocsparse_index_base_b,comdat
	.globl	_ZN9rocsparseL21csrmvn_general_kernelILj256ELj32EliffffEEvbT2_NS_24const_host_device_scalarIT6_EEPKT1_S7_PKS1_PKT3_PKT4_S4_PT5_21rocsparse_index_base_b ; -- Begin function _ZN9rocsparseL21csrmvn_general_kernelILj256ELj32EliffffEEvbT2_NS_24const_host_device_scalarIT6_EEPKT1_S7_PKS1_PKT3_PKT4_S4_PT5_21rocsparse_index_base_b
	.p2align	8
	.type	_ZN9rocsparseL21csrmvn_general_kernelILj256ELj32EliffffEEvbT2_NS_24const_host_device_scalarIT6_EEPKT1_S7_PKS1_PKT3_PKT4_S4_PT5_21rocsparse_index_base_b,@function
_ZN9rocsparseL21csrmvn_general_kernelILj256ELj32EliffffEEvbT2_NS_24const_host_device_scalarIT6_EEPKT1_S7_PKS1_PKT3_PKT4_S4_PT5_21rocsparse_index_base_b: ; @_ZN9rocsparseL21csrmvn_general_kernelILj256ELj32EliffffEEvbT2_NS_24const_host_device_scalarIT6_EEPKT1_S7_PKS1_PKT3_PKT4_S4_PT5_21rocsparse_index_base_b
; %bb.0:
	s_load_dwordx2 s[20:21], s[4:5], 0x48
	s_load_dwordx4 s[16:19], s[4:5], 0x8
	s_load_dwordx2 s[22:23], s[4:5], 0x38
	s_waitcnt lgkmcnt(0)
	s_bitcmp1_b32 s21, 0
	s_cselect_b64 s[2:3], -1, 0
	s_xor_b64 s[0:1], s[2:3], -1
	s_and_b64 vcc, exec, s[2:3]
	s_cbranch_vccnz .LBB15_2
; %bb.1:
	s_load_dword s16, s[16:17], 0x0
.LBB15_2:
	s_andn2_b64 vcc, exec, s[0:1]
	s_cbranch_vccnz .LBB15_4
; %bb.3:
	s_load_dword s22, s[22:23], 0x0
.LBB15_4:
	s_waitcnt lgkmcnt(0)
	v_cmp_neq_f32_e64 s[0:1], s16, 0
	v_cmp_neq_f32_e64 s[2:3], s22, 1.0
	s_or_b64 s[0:1], s[0:1], s[2:3]
	s_andn2_b64 vcc, exec, s[0:1]
	s_cbranch_vccnz .LBB15_16
; %bb.5:
	s_load_dword s17, s[4:5], 0x4
	v_lshl_or_b32 v1, s6, 8, v0
	v_lshrrev_b32_e32 v2, 5, v1
	s_waitcnt lgkmcnt(0)
	v_cmp_gt_i32_e32 vcc, s17, v2
	s_and_saveexec_b64 s[0:1], vcc
	s_cbranch_execz .LBB15_16
; %bb.6:
	s_load_dword s0, s[4:5], 0x50
	s_load_dwordx2 s[6:7], s[4:5], 0x40
	s_load_dwordx8 s[8:15], s[4:5], 0x18
	v_and_b32_e32 v0, 31, v0
	v_subrev_co_u32_e32 v10, vcc, s20, v0
	s_waitcnt lgkmcnt(0)
	s_lshl_b32 s21, s0, 3
	v_subb_co_u32_e64 v11, s[0:1], 0, 0, vcc
	s_ashr_i32 s1, s20, 31
	s_mov_b32 s0, s20
	s_lshl_b64 s[0:1], s[0:1], 2
	s_sub_u32 s23, s14, s0
	s_mov_b32 s2, 0
	s_subb_u32 s3, s15, s1
	v_mov_b32_e32 v14, s2
	v_mov_b32_e32 v15, s3
	v_cmp_neq_f32_e64 s[2:3], s22, 0
	v_cmp_eq_u32_e64 s[0:1], 31, v0
	v_cndmask_b32_e64 v0, 0, 1, s[2:3]
	s_mov_b64 s[14:15], 0
	v_mov_b32_e32 v12, s19
	v_mov_b32_e32 v13, s9
	v_cmp_ne_u32_e64 s[2:3], 1, v0
	s_branch .LBB15_9
.LBB15_7:                               ;   in Loop: Header=BB15_9 Depth=1
	global_store_dword v[0:1], v4, off
.LBB15_8:                               ;   in Loop: Header=BB15_9 Depth=1
	s_or_b64 exec, exec, s[24:25]
	v_add_u32_e32 v2, s21, v2
	v_cmp_le_i32_e32 vcc, s17, v2
	s_or_b64 s[14:15], vcc, s[14:15]
	s_andn2_b64 exec, exec, s[14:15]
	s_cbranch_execz .LBB15_16
.LBB15_9:                               ; =>This Loop Header: Depth=1
                                        ;     Child Loop BB15_11 Depth 2
	v_ashrrev_i32_e32 v3, 31, v2
	v_lshlrev_b64 v[0:1], 3, v[2:3]
	v_add_co_u32_e32 v4, vcc, s8, v0
	v_addc_co_u32_e32 v5, vcc, v13, v1, vcc
	global_load_dwordx2 v[4:5], v[4:5], off
	v_add_co_u32_e32 v0, vcc, s18, v0
	v_addc_co_u32_e32 v1, vcc, v12, v1, vcc
	global_load_dwordx2 v[6:7], v[0:1], off
	v_mov_b32_e32 v16, 0
	s_waitcnt vmcnt(1)
	v_subrev_co_u32_e32 v0, vcc, s20, v4
	v_subb_co_u32_e32 v1, vcc, v5, v14, vcc
	s_waitcnt vmcnt(0)
	v_add_co_u32_e32 v4, vcc, v6, v10
	v_addc_co_u32_e32 v5, vcc, v7, v11, vcc
	v_cmp_lt_i64_e32 vcc, v[4:5], v[0:1]
	s_and_saveexec_b64 s[24:25], vcc
	s_cbranch_execz .LBB15_13
; %bb.10:                               ;   in Loop: Header=BB15_9 Depth=1
	v_lshlrev_b64 v[8:9], 2, v[4:5]
	v_mov_b32_e32 v7, s13
	v_add_co_u32_e32 v6, vcc, s12, v8
	v_addc_co_u32_e32 v7, vcc, v7, v9, vcc
	v_mov_b32_e32 v16, s11
	v_add_co_u32_e32 v8, vcc, s10, v8
	v_addc_co_u32_e32 v9, vcc, v16, v9, vcc
	s_mov_b64 s[26:27], 0
	v_mov_b32_e32 v16, 0
.LBB15_11:                              ;   Parent Loop BB15_9 Depth=1
                                        ; =>  This Inner Loop Header: Depth=2
	global_load_dword v18, v[8:9], off
	global_load_dword v17, v[6:7], off
	s_waitcnt vmcnt(1)
	v_ashrrev_i32_e32 v19, 31, v18
	v_lshlrev_b64 v[18:19], 2, v[18:19]
	v_add_co_u32_e32 v18, vcc, s23, v18
	v_addc_co_u32_e32 v19, vcc, v15, v19, vcc
	global_load_dword v18, v[18:19], off
	v_add_co_u32_e32 v4, vcc, 32, v4
	v_addc_co_u32_e32 v5, vcc, 0, v5, vcc
	v_add_co_u32_e32 v6, vcc, 0x80, v6
	v_addc_co_u32_e32 v7, vcc, 0, v7, vcc
	v_add_co_u32_e32 v8, vcc, 0x80, v8
	v_cmp_ge_i64_e64 s[4:5], v[4:5], v[0:1]
	s_waitcnt vmcnt(1)
	v_mul_f32_e32 v17, s16, v17
	v_addc_co_u32_e32 v9, vcc, 0, v9, vcc
	s_or_b64 s[26:27], s[4:5], s[26:27]
	s_waitcnt vmcnt(0)
	v_fmac_f32_e32 v16, v17, v18
	s_andn2_b64 exec, exec, s[26:27]
	s_cbranch_execnz .LBB15_11
; %bb.12:                               ;   in Loop: Header=BB15_9 Depth=1
	s_or_b64 exec, exec, s[26:27]
.LBB15_13:                              ;   in Loop: Header=BB15_9 Depth=1
	s_or_b64 exec, exec, s[24:25]
	v_mov_b32_dpp v0, v16 row_shr:1 row_mask:0xf bank_mask:0xf
	v_add_f32_e32 v0, v16, v0
	s_nop 1
	v_mov_b32_dpp v1, v0 row_shr:2 row_mask:0xf bank_mask:0xf
	v_add_f32_e32 v0, v0, v1
	s_nop 1
	v_mov_b32_dpp v1, v0 row_shr:4 row_mask:0xf bank_mask:0xe
	v_add_f32_e32 v0, v0, v1
	s_nop 1
	v_mov_b32_dpp v1, v0 row_shr:8 row_mask:0xf bank_mask:0xc
	v_add_f32_e32 v0, v0, v1
	s_nop 1
	v_mov_b32_dpp v1, v0 row_bcast:15 row_mask:0xa bank_mask:0xf
	s_and_saveexec_b64 s[24:25], s[0:1]
	s_cbranch_execz .LBB15_8
; %bb.14:                               ;   in Loop: Header=BB15_9 Depth=1
	v_add_f32_e32 v4, v0, v1
	v_lshlrev_b64 v[0:1], 2, v[2:3]
	v_mov_b32_e32 v3, s7
	v_add_co_u32_e64 v0, s[4:5], s6, v0
	s_and_b64 vcc, exec, s[2:3]
	v_addc_co_u32_e64 v1, s[4:5], v3, v1, s[4:5]
	s_cbranch_vccnz .LBB15_7
; %bb.15:                               ;   in Loop: Header=BB15_9 Depth=1
	global_load_dword v3, v[0:1], off
	s_waitcnt vmcnt(0)
	v_fmac_f32_e32 v4, s22, v3
	s_branch .LBB15_7
.LBB15_16:
	s_endpgm
	.section	.rodata,"a",@progbits
	.p2align	6, 0x0
	.amdhsa_kernel _ZN9rocsparseL21csrmvn_general_kernelILj256ELj32EliffffEEvbT2_NS_24const_host_device_scalarIT6_EEPKT1_S7_PKS1_PKT3_PKT4_S4_PT5_21rocsparse_index_base_b
		.amdhsa_group_segment_fixed_size 0
		.amdhsa_private_segment_fixed_size 0
		.amdhsa_kernarg_size 336
		.amdhsa_user_sgpr_count 6
		.amdhsa_user_sgpr_private_segment_buffer 1
		.amdhsa_user_sgpr_dispatch_ptr 0
		.amdhsa_user_sgpr_queue_ptr 0
		.amdhsa_user_sgpr_kernarg_segment_ptr 1
		.amdhsa_user_sgpr_dispatch_id 0
		.amdhsa_user_sgpr_flat_scratch_init 0
		.amdhsa_user_sgpr_kernarg_preload_length 0
		.amdhsa_user_sgpr_kernarg_preload_offset 0
		.amdhsa_user_sgpr_private_segment_size 0
		.amdhsa_uses_dynamic_stack 0
		.amdhsa_system_sgpr_private_segment_wavefront_offset 0
		.amdhsa_system_sgpr_workgroup_id_x 1
		.amdhsa_system_sgpr_workgroup_id_y 0
		.amdhsa_system_sgpr_workgroup_id_z 0
		.amdhsa_system_sgpr_workgroup_info 0
		.amdhsa_system_vgpr_workitem_id 0
		.amdhsa_next_free_vgpr 20
		.amdhsa_next_free_sgpr 28
		.amdhsa_accum_offset 20
		.amdhsa_reserve_vcc 1
		.amdhsa_reserve_flat_scratch 0
		.amdhsa_float_round_mode_32 0
		.amdhsa_float_round_mode_16_64 0
		.amdhsa_float_denorm_mode_32 3
		.amdhsa_float_denorm_mode_16_64 3
		.amdhsa_dx10_clamp 1
		.amdhsa_ieee_mode 1
		.amdhsa_fp16_overflow 0
		.amdhsa_tg_split 0
		.amdhsa_exception_fp_ieee_invalid_op 0
		.amdhsa_exception_fp_denorm_src 0
		.amdhsa_exception_fp_ieee_div_zero 0
		.amdhsa_exception_fp_ieee_overflow 0
		.amdhsa_exception_fp_ieee_underflow 0
		.amdhsa_exception_fp_ieee_inexact 0
		.amdhsa_exception_int_div_zero 0
	.end_amdhsa_kernel
	.section	.text._ZN9rocsparseL21csrmvn_general_kernelILj256ELj32EliffffEEvbT2_NS_24const_host_device_scalarIT6_EEPKT1_S7_PKS1_PKT3_PKT4_S4_PT5_21rocsparse_index_base_b,"axG",@progbits,_ZN9rocsparseL21csrmvn_general_kernelILj256ELj32EliffffEEvbT2_NS_24const_host_device_scalarIT6_EEPKT1_S7_PKS1_PKT3_PKT4_S4_PT5_21rocsparse_index_base_b,comdat
.Lfunc_end15:
	.size	_ZN9rocsparseL21csrmvn_general_kernelILj256ELj32EliffffEEvbT2_NS_24const_host_device_scalarIT6_EEPKT1_S7_PKS1_PKT3_PKT4_S4_PT5_21rocsparse_index_base_b, .Lfunc_end15-_ZN9rocsparseL21csrmvn_general_kernelILj256ELj32EliffffEEvbT2_NS_24const_host_device_scalarIT6_EEPKT1_S7_PKS1_PKT3_PKT4_S4_PT5_21rocsparse_index_base_b
                                        ; -- End function
	.section	.AMDGPU.csdata,"",@progbits
; Kernel info:
; codeLenInByte = 692
; NumSgprs: 32
; NumVgprs: 20
; NumAgprs: 0
; TotalNumVgprs: 20
; ScratchSize: 0
; MemoryBound: 0
; FloatMode: 240
; IeeeMode: 1
; LDSByteSize: 0 bytes/workgroup (compile time only)
; SGPRBlocks: 3
; VGPRBlocks: 2
; NumSGPRsForWavesPerEU: 32
; NumVGPRsForWavesPerEU: 20
; AccumOffset: 20
; Occupancy: 8
; WaveLimiterHint : 1
; COMPUTE_PGM_RSRC2:SCRATCH_EN: 0
; COMPUTE_PGM_RSRC2:USER_SGPR: 6
; COMPUTE_PGM_RSRC2:TRAP_HANDLER: 0
; COMPUTE_PGM_RSRC2:TGID_X_EN: 1
; COMPUTE_PGM_RSRC2:TGID_Y_EN: 0
; COMPUTE_PGM_RSRC2:TGID_Z_EN: 0
; COMPUTE_PGM_RSRC2:TIDIG_COMP_CNT: 0
; COMPUTE_PGM_RSRC3_GFX90A:ACCUM_OFFSET: 4
; COMPUTE_PGM_RSRC3_GFX90A:TG_SPLIT: 0
	.section	.text._ZN9rocsparseL21csrmvn_general_kernelILj256ELj64EliffffEEvbT2_NS_24const_host_device_scalarIT6_EEPKT1_S7_PKS1_PKT3_PKT4_S4_PT5_21rocsparse_index_base_b,"axG",@progbits,_ZN9rocsparseL21csrmvn_general_kernelILj256ELj64EliffffEEvbT2_NS_24const_host_device_scalarIT6_EEPKT1_S7_PKS1_PKT3_PKT4_S4_PT5_21rocsparse_index_base_b,comdat
	.globl	_ZN9rocsparseL21csrmvn_general_kernelILj256ELj64EliffffEEvbT2_NS_24const_host_device_scalarIT6_EEPKT1_S7_PKS1_PKT3_PKT4_S4_PT5_21rocsparse_index_base_b ; -- Begin function _ZN9rocsparseL21csrmvn_general_kernelILj256ELj64EliffffEEvbT2_NS_24const_host_device_scalarIT6_EEPKT1_S7_PKS1_PKT3_PKT4_S4_PT5_21rocsparse_index_base_b
	.p2align	8
	.type	_ZN9rocsparseL21csrmvn_general_kernelILj256ELj64EliffffEEvbT2_NS_24const_host_device_scalarIT6_EEPKT1_S7_PKS1_PKT3_PKT4_S4_PT5_21rocsparse_index_base_b,@function
_ZN9rocsparseL21csrmvn_general_kernelILj256ELj64EliffffEEvbT2_NS_24const_host_device_scalarIT6_EEPKT1_S7_PKS1_PKT3_PKT4_S4_PT5_21rocsparse_index_base_b: ; @_ZN9rocsparseL21csrmvn_general_kernelILj256ELj64EliffffEEvbT2_NS_24const_host_device_scalarIT6_EEPKT1_S7_PKS1_PKT3_PKT4_S4_PT5_21rocsparse_index_base_b
; %bb.0:
	s_load_dwordx2 s[20:21], s[4:5], 0x48
	s_load_dwordx4 s[16:19], s[4:5], 0x8
	s_load_dwordx2 s[22:23], s[4:5], 0x38
	s_waitcnt lgkmcnt(0)
	s_bitcmp1_b32 s21, 0
	s_cselect_b64 s[2:3], -1, 0
	s_xor_b64 s[0:1], s[2:3], -1
	s_and_b64 vcc, exec, s[2:3]
	s_cbranch_vccnz .LBB16_2
; %bb.1:
	s_load_dword s16, s[16:17], 0x0
.LBB16_2:
	s_andn2_b64 vcc, exec, s[0:1]
	s_cbranch_vccnz .LBB16_4
; %bb.3:
	s_load_dword s22, s[22:23], 0x0
.LBB16_4:
	s_waitcnt lgkmcnt(0)
	v_cmp_neq_f32_e64 s[0:1], s16, 0
	v_cmp_neq_f32_e64 s[2:3], s22, 1.0
	s_or_b64 s[0:1], s[0:1], s[2:3]
	s_andn2_b64 vcc, exec, s[0:1]
	s_cbranch_vccnz .LBB16_16
; %bb.5:
	s_load_dword s17, s[4:5], 0x4
	v_lshl_or_b32 v1, s6, 8, v0
	v_lshrrev_b32_e32 v2, 6, v1
	s_waitcnt lgkmcnt(0)
	v_cmp_gt_i32_e32 vcc, s17, v2
	s_and_saveexec_b64 s[0:1], vcc
	s_cbranch_execz .LBB16_16
; %bb.6:
	s_load_dword s0, s[4:5], 0x50
	s_load_dwordx2 s[6:7], s[4:5], 0x40
	s_load_dwordx8 s[8:15], s[4:5], 0x18
	v_and_b32_e32 v0, 63, v0
	v_subrev_co_u32_e32 v10, vcc, s20, v0
	s_waitcnt lgkmcnt(0)
	s_lshl_b32 s21, s0, 2
	v_subb_co_u32_e64 v11, s[0:1], 0, 0, vcc
	s_ashr_i32 s1, s20, 31
	s_mov_b32 s0, s20
	s_lshl_b64 s[0:1], s[0:1], 2
	s_sub_u32 s23, s14, s0
	s_mov_b32 s2, 0
	s_subb_u32 s3, s15, s1
	v_mov_b32_e32 v14, s2
	v_mov_b32_e32 v15, s3
	v_cmp_neq_f32_e64 s[2:3], s22, 0
	v_cmp_eq_u32_e64 s[0:1], 63, v0
	v_cndmask_b32_e64 v0, 0, 1, s[2:3]
	s_mov_b64 s[14:15], 0
	v_mov_b32_e32 v12, s19
	v_mov_b32_e32 v13, s9
	v_cmp_ne_u32_e64 s[2:3], 1, v0
	s_branch .LBB16_9
.LBB16_7:                               ;   in Loop: Header=BB16_9 Depth=1
	global_store_dword v[0:1], v4, off
.LBB16_8:                               ;   in Loop: Header=BB16_9 Depth=1
	s_or_b64 exec, exec, s[24:25]
	v_add_u32_e32 v2, s21, v2
	v_cmp_le_i32_e32 vcc, s17, v2
	s_or_b64 s[14:15], vcc, s[14:15]
	s_andn2_b64 exec, exec, s[14:15]
	s_cbranch_execz .LBB16_16
.LBB16_9:                               ; =>This Loop Header: Depth=1
                                        ;     Child Loop BB16_11 Depth 2
	v_ashrrev_i32_e32 v3, 31, v2
	v_lshlrev_b64 v[0:1], 3, v[2:3]
	v_add_co_u32_e32 v4, vcc, s8, v0
	v_addc_co_u32_e32 v5, vcc, v13, v1, vcc
	global_load_dwordx2 v[4:5], v[4:5], off
	v_add_co_u32_e32 v0, vcc, s18, v0
	v_addc_co_u32_e32 v1, vcc, v12, v1, vcc
	global_load_dwordx2 v[6:7], v[0:1], off
	v_mov_b32_e32 v16, 0
	s_waitcnt vmcnt(1)
	v_subrev_co_u32_e32 v0, vcc, s20, v4
	v_subb_co_u32_e32 v1, vcc, v5, v14, vcc
	s_waitcnt vmcnt(0)
	v_add_co_u32_e32 v4, vcc, v6, v10
	v_addc_co_u32_e32 v5, vcc, v7, v11, vcc
	v_cmp_lt_i64_e32 vcc, v[4:5], v[0:1]
	s_and_saveexec_b64 s[24:25], vcc
	s_cbranch_execz .LBB16_13
; %bb.10:                               ;   in Loop: Header=BB16_9 Depth=1
	v_lshlrev_b64 v[8:9], 2, v[4:5]
	v_mov_b32_e32 v7, s13
	v_add_co_u32_e32 v6, vcc, s12, v8
	v_addc_co_u32_e32 v7, vcc, v7, v9, vcc
	v_mov_b32_e32 v16, s11
	v_add_co_u32_e32 v8, vcc, s10, v8
	v_addc_co_u32_e32 v9, vcc, v16, v9, vcc
	s_mov_b64 s[26:27], 0
	v_mov_b32_e32 v16, 0
.LBB16_11:                              ;   Parent Loop BB16_9 Depth=1
                                        ; =>  This Inner Loop Header: Depth=2
	global_load_dword v18, v[8:9], off
	global_load_dword v17, v[6:7], off
	s_waitcnt vmcnt(1)
	v_ashrrev_i32_e32 v19, 31, v18
	v_lshlrev_b64 v[18:19], 2, v[18:19]
	v_add_co_u32_e32 v18, vcc, s23, v18
	v_addc_co_u32_e32 v19, vcc, v15, v19, vcc
	global_load_dword v18, v[18:19], off
	v_add_co_u32_e32 v4, vcc, 64, v4
	v_addc_co_u32_e32 v5, vcc, 0, v5, vcc
	v_add_co_u32_e32 v6, vcc, 0x100, v6
	v_addc_co_u32_e32 v7, vcc, 0, v7, vcc
	v_add_co_u32_e32 v8, vcc, 0x100, v8
	v_cmp_ge_i64_e64 s[4:5], v[4:5], v[0:1]
	s_waitcnt vmcnt(1)
	v_mul_f32_e32 v17, s16, v17
	v_addc_co_u32_e32 v9, vcc, 0, v9, vcc
	s_or_b64 s[26:27], s[4:5], s[26:27]
	s_waitcnt vmcnt(0)
	v_fmac_f32_e32 v16, v17, v18
	s_andn2_b64 exec, exec, s[26:27]
	s_cbranch_execnz .LBB16_11
; %bb.12:                               ;   in Loop: Header=BB16_9 Depth=1
	s_or_b64 exec, exec, s[26:27]
.LBB16_13:                              ;   in Loop: Header=BB16_9 Depth=1
	s_or_b64 exec, exec, s[24:25]
	v_mov_b32_dpp v0, v16 row_shr:1 row_mask:0xf bank_mask:0xf
	v_add_f32_e32 v0, v16, v0
	s_nop 1
	v_mov_b32_dpp v1, v0 row_shr:2 row_mask:0xf bank_mask:0xf
	v_add_f32_e32 v0, v0, v1
	s_nop 1
	;; [unrolled: 3-line block ×4, first 2 shown]
	v_mov_b32_dpp v1, v0 row_bcast:15 row_mask:0xa bank_mask:0xf
	v_add_f32_e32 v0, v0, v1
	s_nop 1
	v_mov_b32_dpp v1, v0 row_bcast:31 row_mask:0xc bank_mask:0xf
	s_and_saveexec_b64 s[24:25], s[0:1]
	s_cbranch_execz .LBB16_8
; %bb.14:                               ;   in Loop: Header=BB16_9 Depth=1
	v_add_f32_e32 v4, v0, v1
	v_lshlrev_b64 v[0:1], 2, v[2:3]
	v_mov_b32_e32 v3, s7
	v_add_co_u32_e64 v0, s[4:5], s6, v0
	s_and_b64 vcc, exec, s[2:3]
	v_addc_co_u32_e64 v1, s[4:5], v3, v1, s[4:5]
	s_cbranch_vccnz .LBB16_7
; %bb.15:                               ;   in Loop: Header=BB16_9 Depth=1
	global_load_dword v3, v[0:1], off
	s_waitcnt vmcnt(0)
	v_fmac_f32_e32 v4, s22, v3
	s_branch .LBB16_7
.LBB16_16:
	s_endpgm
	.section	.rodata,"a",@progbits
	.p2align	6, 0x0
	.amdhsa_kernel _ZN9rocsparseL21csrmvn_general_kernelILj256ELj64EliffffEEvbT2_NS_24const_host_device_scalarIT6_EEPKT1_S7_PKS1_PKT3_PKT4_S4_PT5_21rocsparse_index_base_b
		.amdhsa_group_segment_fixed_size 0
		.amdhsa_private_segment_fixed_size 0
		.amdhsa_kernarg_size 336
		.amdhsa_user_sgpr_count 6
		.amdhsa_user_sgpr_private_segment_buffer 1
		.amdhsa_user_sgpr_dispatch_ptr 0
		.amdhsa_user_sgpr_queue_ptr 0
		.amdhsa_user_sgpr_kernarg_segment_ptr 1
		.amdhsa_user_sgpr_dispatch_id 0
		.amdhsa_user_sgpr_flat_scratch_init 0
		.amdhsa_user_sgpr_kernarg_preload_length 0
		.amdhsa_user_sgpr_kernarg_preload_offset 0
		.amdhsa_user_sgpr_private_segment_size 0
		.amdhsa_uses_dynamic_stack 0
		.amdhsa_system_sgpr_private_segment_wavefront_offset 0
		.amdhsa_system_sgpr_workgroup_id_x 1
		.amdhsa_system_sgpr_workgroup_id_y 0
		.amdhsa_system_sgpr_workgroup_id_z 0
		.amdhsa_system_sgpr_workgroup_info 0
		.amdhsa_system_vgpr_workitem_id 0
		.amdhsa_next_free_vgpr 20
		.amdhsa_next_free_sgpr 28
		.amdhsa_accum_offset 20
		.amdhsa_reserve_vcc 1
		.amdhsa_reserve_flat_scratch 0
		.amdhsa_float_round_mode_32 0
		.amdhsa_float_round_mode_16_64 0
		.amdhsa_float_denorm_mode_32 3
		.amdhsa_float_denorm_mode_16_64 3
		.amdhsa_dx10_clamp 1
		.amdhsa_ieee_mode 1
		.amdhsa_fp16_overflow 0
		.amdhsa_tg_split 0
		.amdhsa_exception_fp_ieee_invalid_op 0
		.amdhsa_exception_fp_denorm_src 0
		.amdhsa_exception_fp_ieee_div_zero 0
		.amdhsa_exception_fp_ieee_overflow 0
		.amdhsa_exception_fp_ieee_underflow 0
		.amdhsa_exception_fp_ieee_inexact 0
		.amdhsa_exception_int_div_zero 0
	.end_amdhsa_kernel
	.section	.text._ZN9rocsparseL21csrmvn_general_kernelILj256ELj64EliffffEEvbT2_NS_24const_host_device_scalarIT6_EEPKT1_S7_PKS1_PKT3_PKT4_S4_PT5_21rocsparse_index_base_b,"axG",@progbits,_ZN9rocsparseL21csrmvn_general_kernelILj256ELj64EliffffEEvbT2_NS_24const_host_device_scalarIT6_EEPKT1_S7_PKS1_PKT3_PKT4_S4_PT5_21rocsparse_index_base_b,comdat
.Lfunc_end16:
	.size	_ZN9rocsparseL21csrmvn_general_kernelILj256ELj64EliffffEEvbT2_NS_24const_host_device_scalarIT6_EEPKT1_S7_PKS1_PKT3_PKT4_S4_PT5_21rocsparse_index_base_b, .Lfunc_end16-_ZN9rocsparseL21csrmvn_general_kernelILj256ELj64EliffffEEvbT2_NS_24const_host_device_scalarIT6_EEPKT1_S7_PKS1_PKT3_PKT4_S4_PT5_21rocsparse_index_base_b
                                        ; -- End function
	.section	.AMDGPU.csdata,"",@progbits
; Kernel info:
; codeLenInByte = 708
; NumSgprs: 32
; NumVgprs: 20
; NumAgprs: 0
; TotalNumVgprs: 20
; ScratchSize: 0
; MemoryBound: 0
; FloatMode: 240
; IeeeMode: 1
; LDSByteSize: 0 bytes/workgroup (compile time only)
; SGPRBlocks: 3
; VGPRBlocks: 2
; NumSGPRsForWavesPerEU: 32
; NumVGPRsForWavesPerEU: 20
; AccumOffset: 20
; Occupancy: 8
; WaveLimiterHint : 1
; COMPUTE_PGM_RSRC2:SCRATCH_EN: 0
; COMPUTE_PGM_RSRC2:USER_SGPR: 6
; COMPUTE_PGM_RSRC2:TRAP_HANDLER: 0
; COMPUTE_PGM_RSRC2:TGID_X_EN: 1
; COMPUTE_PGM_RSRC2:TGID_Y_EN: 0
; COMPUTE_PGM_RSRC2:TGID_Z_EN: 0
; COMPUTE_PGM_RSRC2:TIDIG_COMP_CNT: 0
; COMPUTE_PGM_RSRC3_GFX90A:ACCUM_OFFSET: 4
; COMPUTE_PGM_RSRC3_GFX90A:TG_SPLIT: 0
	.section	.text._ZN9rocsparseL21csrmvt_general_kernelILj256ELj4EliffffEEvbbT2_NS_24const_host_device_scalarIT6_EEPKT1_S7_PKS1_PKT3_PKT4_PT5_21rocsparse_index_base_b,"axG",@progbits,_ZN9rocsparseL21csrmvt_general_kernelILj256ELj4EliffffEEvbbT2_NS_24const_host_device_scalarIT6_EEPKT1_S7_PKS1_PKT3_PKT4_PT5_21rocsparse_index_base_b,comdat
	.globl	_ZN9rocsparseL21csrmvt_general_kernelILj256ELj4EliffffEEvbbT2_NS_24const_host_device_scalarIT6_EEPKT1_S7_PKS1_PKT3_PKT4_PT5_21rocsparse_index_base_b ; -- Begin function _ZN9rocsparseL21csrmvt_general_kernelILj256ELj4EliffffEEvbbT2_NS_24const_host_device_scalarIT6_EEPKT1_S7_PKS1_PKT3_PKT4_PT5_21rocsparse_index_base_b
	.p2align	8
	.type	_ZN9rocsparseL21csrmvt_general_kernelILj256ELj4EliffffEEvbbT2_NS_24const_host_device_scalarIT6_EEPKT1_S7_PKS1_PKT3_PKT4_PT5_21rocsparse_index_base_b,@function
_ZN9rocsparseL21csrmvt_general_kernelILj256ELj4EliffffEEvbbT2_NS_24const_host_device_scalarIT6_EEPKT1_S7_PKS1_PKT3_PKT4_PT5_21rocsparse_index_base_b: ; @_ZN9rocsparseL21csrmvt_general_kernelILj256ELj4EliffffEEvbbT2_NS_24const_host_device_scalarIT6_EEPKT1_S7_PKS1_PKT3_PKT4_PT5_21rocsparse_index_base_b
; %bb.0:
	s_load_dwordx2 s[2:3], s[4:5], 0x40
	s_load_dwordx4 s[16:19], s[4:5], 0x8
	s_waitcnt lgkmcnt(0)
	s_bitcmp1_b32 s3, 0
	s_cselect_b64 s[0:1], -1, 0
	s_and_b64 vcc, exec, s[0:1]
	s_cbranch_vccnz .LBB17_2
; %bb.1:
	s_load_dword s16, s[16:17], 0x0
.LBB17_2:
	s_waitcnt lgkmcnt(0)
	v_cmp_eq_f32_e64 s[0:1], s16, 0
	s_and_b64 vcc, exec, s[0:1]
	s_cbranch_vccnz .LBB17_23
; %bb.3:
	s_load_dwordx2 s[20:21], s[4:5], 0x0
	s_load_dword s0, s[4:5], 0x48
	s_load_dwordx2 s[22:23], s[4:5], 0x38
	s_load_dwordx8 s[8:15], s[4:5], 0x18
	v_and_b32_e32 v1, 3, v0
	v_lshl_or_b32 v0, s6, 8, v0
	s_waitcnt lgkmcnt(0)
	s_and_b32 s1, s20, 1
	s_lshl_b32 s3, s0, 6
	v_lshrrev_b32_e32 v0, 2, v0
	s_cmp_eq_u32 s1, 0
	v_cmp_gt_i32_e64 s[0:1], s21, v0
	s_mov_b64 s[4:5], -1
	s_cbranch_scc0 .LBB17_13
; %bb.4:
	s_and_saveexec_b64 s[4:5], s[0:1]
	s_cbranch_execz .LBB17_12
; %bb.5:
	v_subrev_co_u32_e32 v12, vcc, s2, v1
	s_mov_b32 s17, 0
	v_subb_co_u32_e64 v13, s[6:7], 0, 0, vcc
	s_mov_b64 s[6:7], 0
	v_mov_b32_e32 v14, s19
	v_mov_b32_e32 v15, s9
	;; [unrolled: 1-line block ×4, first 2 shown]
	s_branch .LBB17_7
.LBB17_6:                               ;   in Loop: Header=BB17_7 Depth=1
	s_or_b64 exec, exec, s[24:25]
	v_add_u32_e32 v2, s3, v2
	v_cmp_le_i32_e32 vcc, s21, v2
	s_or_b64 s[6:7], vcc, s[6:7]
	s_andn2_b64 exec, exec, s[6:7]
	s_cbranch_execz .LBB17_12
.LBB17_7:                               ; =>This Loop Header: Depth=1
                                        ;     Child Loop BB17_9 Depth 2
                                        ;       Child Loop BB17_10 Depth 3
	v_ashrrev_i32_e32 v3, 31, v2
	v_lshlrev_b64 v[4:5], 3, v[2:3]
	v_add_co_u32_e32 v6, vcc, s8, v4
	v_addc_co_u32_e32 v7, vcc, v15, v5, vcc
	global_load_dwordx2 v[6:7], v[6:7], off
	v_add_co_u32_e32 v4, vcc, s18, v4
	v_addc_co_u32_e32 v5, vcc, v14, v5, vcc
	global_load_dwordx2 v[8:9], v[4:5], off
	s_waitcnt vmcnt(1)
	v_subrev_co_u32_e32 v4, vcc, s2, v6
	v_subb_co_u32_e32 v5, vcc, v7, v16, vcc
	s_waitcnt vmcnt(0)
	v_add_co_u32_e32 v6, vcc, v8, v12
	v_addc_co_u32_e32 v7, vcc, v9, v13, vcc
	v_cmp_lt_i64_e32 vcc, v[6:7], v[4:5]
	s_and_saveexec_b64 s[24:25], vcc
	s_cbranch_execz .LBB17_6
; %bb.8:                                ;   in Loop: Header=BB17_7 Depth=1
	v_lshlrev_b64 v[8:9], 2, v[2:3]
	v_mov_b32_e32 v3, s15
	v_add_co_u32_e32 v8, vcc, s14, v8
	v_addc_co_u32_e32 v9, vcc, v3, v9, vcc
	global_load_dword v3, v[8:9], off
	s_mov_b64 s[26:27], 0
	s_waitcnt vmcnt(0)
	v_mul_f32_e32 v3, s16, v3
.LBB17_9:                               ;   Parent Loop BB17_7 Depth=1
                                        ; =>  This Loop Header: Depth=2
                                        ;       Child Loop BB17_10 Depth 3
	v_lshlrev_b64 v[8:9], 2, v[6:7]
	v_mov_b32_e32 v11, s11
	v_add_co_u32_e32 v10, vcc, s10, v8
	v_addc_co_u32_e32 v11, vcc, v11, v9, vcc
	global_load_dword v10, v[10:11], off
	v_mov_b32_e32 v11, s13
	v_add_co_u32_e32 v8, vcc, s12, v8
	v_addc_co_u32_e32 v9, vcc, v11, v9, vcc
	global_load_dword v18, v[8:9], off
	v_mov_b32_e32 v17, s23
	s_mov_b64 s[28:29], 0
	s_waitcnt vmcnt(1)
	v_subrev_u32_e32 v8, s2, v10
	v_ashrrev_i32_e32 v9, 31, v8
	v_lshlrev_b64 v[8:9], 2, v[8:9]
	v_add_co_u32_e32 v8, vcc, s22, v8
	v_addc_co_u32_e32 v9, vcc, v17, v9, vcc
	global_load_dword v11, v[8:9], off
	s_waitcnt vmcnt(1)
	v_mul_f32_e32 v17, v3, v18
.LBB17_10:                              ;   Parent Loop BB17_7 Depth=1
                                        ;     Parent Loop BB17_9 Depth=2
                                        ; =>    This Inner Loop Header: Depth=3
	s_waitcnt vmcnt(0)
	v_add_f32_e32 v10, v11, v17
	global_atomic_cmpswap v10, v[8:9], v[10:11], off glc
	s_waitcnt vmcnt(0)
	v_cmp_eq_u32_e32 vcc, v10, v11
	s_or_b64 s[28:29], vcc, s[28:29]
	v_mov_b32_e32 v11, v10
	s_andn2_b64 exec, exec, s[28:29]
	s_cbranch_execnz .LBB17_10
; %bb.11:                               ;   in Loop: Header=BB17_9 Depth=2
	s_or_b64 exec, exec, s[28:29]
	v_add_co_u32_e32 v6, vcc, 4, v6
	v_addc_co_u32_e32 v7, vcc, 0, v7, vcc
	v_cmp_ge_i64_e32 vcc, v[6:7], v[4:5]
	s_or_b64 s[26:27], vcc, s[26:27]
	s_andn2_b64 exec, exec, s[26:27]
	s_cbranch_execnz .LBB17_9
	s_branch .LBB17_6
.LBB17_12:
	s_or_b64 exec, exec, s[4:5]
	s_mov_b64 s[4:5], 0
.LBB17_13:
	s_andn2_b64 vcc, exec, s[4:5]
	s_cbranch_vccnz .LBB17_23
; %bb.14:
	s_and_saveexec_b64 s[4:5], s[0:1]
	s_cbranch_execz .LBB17_23
; %bb.15:
	v_subrev_co_u32_e32 v10, vcc, s2, v1
	s_mov_b32 s4, 0
	v_subb_co_u32_e64 v11, s[0:1], 0, 0, vcc
	s_mov_b64 s[0:1], 0
	v_mov_b32_e32 v12, s19
	v_mov_b32_e32 v13, s9
	;; [unrolled: 1-line block ×3, first 2 shown]
	s_branch .LBB17_17
.LBB17_16:                              ;   in Loop: Header=BB17_17 Depth=1
	s_or_b64 exec, exec, s[4:5]
	v_add_u32_e32 v0, s3, v0
	v_cmp_le_i32_e32 vcc, s21, v0
	s_or_b64 s[0:1], vcc, s[0:1]
	s_andn2_b64 exec, exec, s[0:1]
	s_cbranch_execz .LBB17_23
.LBB17_17:                              ; =>This Loop Header: Depth=1
                                        ;     Child Loop BB17_20 Depth 2
                                        ;       Child Loop BB17_22 Depth 3
	v_ashrrev_i32_e32 v1, 31, v0
	v_lshlrev_b64 v[2:3], 3, v[0:1]
	v_add_co_u32_e32 v4, vcc, s8, v2
	v_addc_co_u32_e32 v5, vcc, v13, v3, vcc
	global_load_dwordx2 v[4:5], v[4:5], off
	v_add_co_u32_e32 v2, vcc, s18, v2
	v_addc_co_u32_e32 v3, vcc, v12, v3, vcc
	global_load_dwordx2 v[6:7], v[2:3], off
	s_waitcnt vmcnt(1)
	v_subrev_co_u32_e32 v2, vcc, s2, v4
	v_subb_co_u32_e32 v3, vcc, v5, v14, vcc
	s_waitcnt vmcnt(0)
	v_add_co_u32_e32 v4, vcc, v6, v10
	v_addc_co_u32_e32 v5, vcc, v7, v11, vcc
	v_cmp_lt_i64_e32 vcc, v[4:5], v[2:3]
	s_and_saveexec_b64 s[4:5], vcc
	s_cbranch_execz .LBB17_16
; %bb.18:                               ;   in Loop: Header=BB17_17 Depth=1
	v_lshlrev_b64 v[6:7], 2, v[0:1]
	v_mov_b32_e32 v1, s15
	v_add_co_u32_e32 v6, vcc, s14, v6
	v_addc_co_u32_e32 v7, vcc, v1, v7, vcc
	global_load_dword v1, v[6:7], off
	s_mov_b64 s[6:7], 0
	s_waitcnt vmcnt(0)
	v_mul_f32_e32 v1, s16, v1
	s_branch .LBB17_20
.LBB17_19:                              ;   in Loop: Header=BB17_20 Depth=2
	s_or_b64 exec, exec, s[24:25]
	v_add_co_u32_e32 v4, vcc, 4, v4
	v_addc_co_u32_e32 v5, vcc, 0, v5, vcc
	v_cmp_ge_i64_e32 vcc, v[4:5], v[2:3]
	s_or_b64 s[6:7], vcc, s[6:7]
	s_andn2_b64 exec, exec, s[6:7]
	s_cbranch_execz .LBB17_16
.LBB17_20:                              ;   Parent Loop BB17_17 Depth=1
                                        ; =>  This Loop Header: Depth=2
                                        ;       Child Loop BB17_22 Depth 3
	v_lshlrev_b64 v[6:7], 2, v[4:5]
	v_mov_b32_e32 v9, s11
	v_add_co_u32_e32 v8, vcc, s10, v6
	v_addc_co_u32_e32 v9, vcc, v9, v7, vcc
	global_load_dword v8, v[8:9], off
	s_waitcnt vmcnt(0)
	v_subrev_u32_e32 v8, s2, v8
	v_cmp_ne_u32_e32 vcc, v8, v0
	s_and_saveexec_b64 s[24:25], vcc
	s_cbranch_execz .LBB17_19
; %bb.21:                               ;   in Loop: Header=BB17_20 Depth=2
	v_mov_b32_e32 v9, s13
	v_add_co_u32_e32 v6, vcc, s12, v6
	v_addc_co_u32_e32 v7, vcc, v9, v7, vcc
	v_ashrrev_i32_e32 v9, 31, v8
	v_lshlrev_b64 v[8:9], 2, v[8:9]
	v_mov_b32_e32 v15, s23
	global_load_dword v16, v[6:7], off
	v_add_co_u32_e32 v6, vcc, s22, v8
	v_addc_co_u32_e32 v7, vcc, v15, v9, vcc
	global_load_dword v9, v[6:7], off
	s_mov_b64 s[26:27], 0
	s_waitcnt vmcnt(1)
	v_mul_f32_e32 v15, v1, v16
.LBB17_22:                              ;   Parent Loop BB17_17 Depth=1
                                        ;     Parent Loop BB17_20 Depth=2
                                        ; =>    This Inner Loop Header: Depth=3
	s_waitcnt vmcnt(0)
	v_add_f32_e32 v8, v9, v15
	global_atomic_cmpswap v8, v[6:7], v[8:9], off glc
	s_waitcnt vmcnt(0)
	v_cmp_eq_u32_e32 vcc, v8, v9
	s_or_b64 s[26:27], vcc, s[26:27]
	v_mov_b32_e32 v9, v8
	s_andn2_b64 exec, exec, s[26:27]
	s_cbranch_execnz .LBB17_22
	s_branch .LBB17_19
.LBB17_23:
	s_endpgm
	.section	.rodata,"a",@progbits
	.p2align	6, 0x0
	.amdhsa_kernel _ZN9rocsparseL21csrmvt_general_kernelILj256ELj4EliffffEEvbbT2_NS_24const_host_device_scalarIT6_EEPKT1_S7_PKS1_PKT3_PKT4_PT5_21rocsparse_index_base_b
		.amdhsa_group_segment_fixed_size 0
		.amdhsa_private_segment_fixed_size 0
		.amdhsa_kernarg_size 328
		.amdhsa_user_sgpr_count 6
		.amdhsa_user_sgpr_private_segment_buffer 1
		.amdhsa_user_sgpr_dispatch_ptr 0
		.amdhsa_user_sgpr_queue_ptr 0
		.amdhsa_user_sgpr_kernarg_segment_ptr 1
		.amdhsa_user_sgpr_dispatch_id 0
		.amdhsa_user_sgpr_flat_scratch_init 0
		.amdhsa_user_sgpr_kernarg_preload_length 0
		.amdhsa_user_sgpr_kernarg_preload_offset 0
		.amdhsa_user_sgpr_private_segment_size 0
		.amdhsa_uses_dynamic_stack 0
		.amdhsa_system_sgpr_private_segment_wavefront_offset 0
		.amdhsa_system_sgpr_workgroup_id_x 1
		.amdhsa_system_sgpr_workgroup_id_y 0
		.amdhsa_system_sgpr_workgroup_id_z 0
		.amdhsa_system_sgpr_workgroup_info 0
		.amdhsa_system_vgpr_workitem_id 0
		.amdhsa_next_free_vgpr 19
		.amdhsa_next_free_sgpr 30
		.amdhsa_accum_offset 20
		.amdhsa_reserve_vcc 1
		.amdhsa_reserve_flat_scratch 0
		.amdhsa_float_round_mode_32 0
		.amdhsa_float_round_mode_16_64 0
		.amdhsa_float_denorm_mode_32 3
		.amdhsa_float_denorm_mode_16_64 3
		.amdhsa_dx10_clamp 1
		.amdhsa_ieee_mode 1
		.amdhsa_fp16_overflow 0
		.amdhsa_tg_split 0
		.amdhsa_exception_fp_ieee_invalid_op 0
		.amdhsa_exception_fp_denorm_src 0
		.amdhsa_exception_fp_ieee_div_zero 0
		.amdhsa_exception_fp_ieee_overflow 0
		.amdhsa_exception_fp_ieee_underflow 0
		.amdhsa_exception_fp_ieee_inexact 0
		.amdhsa_exception_int_div_zero 0
	.end_amdhsa_kernel
	.section	.text._ZN9rocsparseL21csrmvt_general_kernelILj256ELj4EliffffEEvbbT2_NS_24const_host_device_scalarIT6_EEPKT1_S7_PKS1_PKT3_PKT4_PT5_21rocsparse_index_base_b,"axG",@progbits,_ZN9rocsparseL21csrmvt_general_kernelILj256ELj4EliffffEEvbbT2_NS_24const_host_device_scalarIT6_EEPKT1_S7_PKS1_PKT3_PKT4_PT5_21rocsparse_index_base_b,comdat
.Lfunc_end17:
	.size	_ZN9rocsparseL21csrmvt_general_kernelILj256ELj4EliffffEEvbbT2_NS_24const_host_device_scalarIT6_EEPKT1_S7_PKS1_PKT3_PKT4_PT5_21rocsparse_index_base_b, .Lfunc_end17-_ZN9rocsparseL21csrmvt_general_kernelILj256ELj4EliffffEEvbbT2_NS_24const_host_device_scalarIT6_EEPKT1_S7_PKS1_PKT3_PKT4_PT5_21rocsparse_index_base_b
                                        ; -- End function
	.section	.AMDGPU.csdata,"",@progbits
; Kernel info:
; codeLenInByte = 904
; NumSgprs: 34
; NumVgprs: 19
; NumAgprs: 0
; TotalNumVgprs: 19
; ScratchSize: 0
; MemoryBound: 0
; FloatMode: 240
; IeeeMode: 1
; LDSByteSize: 0 bytes/workgroup (compile time only)
; SGPRBlocks: 4
; VGPRBlocks: 2
; NumSGPRsForWavesPerEU: 34
; NumVGPRsForWavesPerEU: 19
; AccumOffset: 20
; Occupancy: 8
; WaveLimiterHint : 1
; COMPUTE_PGM_RSRC2:SCRATCH_EN: 0
; COMPUTE_PGM_RSRC2:USER_SGPR: 6
; COMPUTE_PGM_RSRC2:TRAP_HANDLER: 0
; COMPUTE_PGM_RSRC2:TGID_X_EN: 1
; COMPUTE_PGM_RSRC2:TGID_Y_EN: 0
; COMPUTE_PGM_RSRC2:TGID_Z_EN: 0
; COMPUTE_PGM_RSRC2:TIDIG_COMP_CNT: 0
; COMPUTE_PGM_RSRC3_GFX90A:ACCUM_OFFSET: 4
; COMPUTE_PGM_RSRC3_GFX90A:TG_SPLIT: 0
	.section	.text._ZN9rocsparseL21csrmvt_general_kernelILj256ELj8EliffffEEvbbT2_NS_24const_host_device_scalarIT6_EEPKT1_S7_PKS1_PKT3_PKT4_PT5_21rocsparse_index_base_b,"axG",@progbits,_ZN9rocsparseL21csrmvt_general_kernelILj256ELj8EliffffEEvbbT2_NS_24const_host_device_scalarIT6_EEPKT1_S7_PKS1_PKT3_PKT4_PT5_21rocsparse_index_base_b,comdat
	.globl	_ZN9rocsparseL21csrmvt_general_kernelILj256ELj8EliffffEEvbbT2_NS_24const_host_device_scalarIT6_EEPKT1_S7_PKS1_PKT3_PKT4_PT5_21rocsparse_index_base_b ; -- Begin function _ZN9rocsparseL21csrmvt_general_kernelILj256ELj8EliffffEEvbbT2_NS_24const_host_device_scalarIT6_EEPKT1_S7_PKS1_PKT3_PKT4_PT5_21rocsparse_index_base_b
	.p2align	8
	.type	_ZN9rocsparseL21csrmvt_general_kernelILj256ELj8EliffffEEvbbT2_NS_24const_host_device_scalarIT6_EEPKT1_S7_PKS1_PKT3_PKT4_PT5_21rocsparse_index_base_b,@function
_ZN9rocsparseL21csrmvt_general_kernelILj256ELj8EliffffEEvbbT2_NS_24const_host_device_scalarIT6_EEPKT1_S7_PKS1_PKT3_PKT4_PT5_21rocsparse_index_base_b: ; @_ZN9rocsparseL21csrmvt_general_kernelILj256ELj8EliffffEEvbbT2_NS_24const_host_device_scalarIT6_EEPKT1_S7_PKS1_PKT3_PKT4_PT5_21rocsparse_index_base_b
; %bb.0:
	s_load_dwordx2 s[2:3], s[4:5], 0x40
	s_load_dwordx4 s[16:19], s[4:5], 0x8
	s_waitcnt lgkmcnt(0)
	s_bitcmp1_b32 s3, 0
	s_cselect_b64 s[0:1], -1, 0
	s_and_b64 vcc, exec, s[0:1]
	s_cbranch_vccnz .LBB18_2
; %bb.1:
	s_load_dword s16, s[16:17], 0x0
.LBB18_2:
	s_waitcnt lgkmcnt(0)
	v_cmp_eq_f32_e64 s[0:1], s16, 0
	s_and_b64 vcc, exec, s[0:1]
	s_cbranch_vccnz .LBB18_23
; %bb.3:
	s_load_dwordx2 s[20:21], s[4:5], 0x0
	s_load_dword s0, s[4:5], 0x48
	s_load_dwordx2 s[22:23], s[4:5], 0x38
	s_load_dwordx8 s[8:15], s[4:5], 0x18
	v_and_b32_e32 v1, 7, v0
	v_lshl_or_b32 v0, s6, 8, v0
	s_waitcnt lgkmcnt(0)
	s_and_b32 s1, s20, 1
	s_lshl_b32 s3, s0, 5
	v_lshrrev_b32_e32 v0, 3, v0
	s_cmp_eq_u32 s1, 0
	v_cmp_gt_i32_e64 s[0:1], s21, v0
	s_mov_b64 s[4:5], -1
	s_cbranch_scc0 .LBB18_13
; %bb.4:
	s_and_saveexec_b64 s[4:5], s[0:1]
	s_cbranch_execz .LBB18_12
; %bb.5:
	v_subrev_co_u32_e32 v12, vcc, s2, v1
	s_mov_b32 s17, 0
	v_subb_co_u32_e64 v13, s[6:7], 0, 0, vcc
	s_mov_b64 s[6:7], 0
	v_mov_b32_e32 v14, s19
	v_mov_b32_e32 v15, s9
	;; [unrolled: 1-line block ×4, first 2 shown]
	s_branch .LBB18_7
.LBB18_6:                               ;   in Loop: Header=BB18_7 Depth=1
	s_or_b64 exec, exec, s[24:25]
	v_add_u32_e32 v2, s3, v2
	v_cmp_le_i32_e32 vcc, s21, v2
	s_or_b64 s[6:7], vcc, s[6:7]
	s_andn2_b64 exec, exec, s[6:7]
	s_cbranch_execz .LBB18_12
.LBB18_7:                               ; =>This Loop Header: Depth=1
                                        ;     Child Loop BB18_9 Depth 2
                                        ;       Child Loop BB18_10 Depth 3
	v_ashrrev_i32_e32 v3, 31, v2
	v_lshlrev_b64 v[4:5], 3, v[2:3]
	v_add_co_u32_e32 v6, vcc, s8, v4
	v_addc_co_u32_e32 v7, vcc, v15, v5, vcc
	global_load_dwordx2 v[6:7], v[6:7], off
	v_add_co_u32_e32 v4, vcc, s18, v4
	v_addc_co_u32_e32 v5, vcc, v14, v5, vcc
	global_load_dwordx2 v[8:9], v[4:5], off
	s_waitcnt vmcnt(1)
	v_subrev_co_u32_e32 v4, vcc, s2, v6
	v_subb_co_u32_e32 v5, vcc, v7, v16, vcc
	s_waitcnt vmcnt(0)
	v_add_co_u32_e32 v6, vcc, v8, v12
	v_addc_co_u32_e32 v7, vcc, v9, v13, vcc
	v_cmp_lt_i64_e32 vcc, v[6:7], v[4:5]
	s_and_saveexec_b64 s[24:25], vcc
	s_cbranch_execz .LBB18_6
; %bb.8:                                ;   in Loop: Header=BB18_7 Depth=1
	v_lshlrev_b64 v[8:9], 2, v[2:3]
	v_mov_b32_e32 v3, s15
	v_add_co_u32_e32 v8, vcc, s14, v8
	v_addc_co_u32_e32 v9, vcc, v3, v9, vcc
	global_load_dword v3, v[8:9], off
	s_mov_b64 s[26:27], 0
	s_waitcnt vmcnt(0)
	v_mul_f32_e32 v3, s16, v3
.LBB18_9:                               ;   Parent Loop BB18_7 Depth=1
                                        ; =>  This Loop Header: Depth=2
                                        ;       Child Loop BB18_10 Depth 3
	v_lshlrev_b64 v[8:9], 2, v[6:7]
	v_mov_b32_e32 v11, s11
	v_add_co_u32_e32 v10, vcc, s10, v8
	v_addc_co_u32_e32 v11, vcc, v11, v9, vcc
	global_load_dword v10, v[10:11], off
	v_mov_b32_e32 v11, s13
	v_add_co_u32_e32 v8, vcc, s12, v8
	v_addc_co_u32_e32 v9, vcc, v11, v9, vcc
	global_load_dword v18, v[8:9], off
	v_mov_b32_e32 v17, s23
	s_mov_b64 s[28:29], 0
	s_waitcnt vmcnt(1)
	v_subrev_u32_e32 v8, s2, v10
	v_ashrrev_i32_e32 v9, 31, v8
	v_lshlrev_b64 v[8:9], 2, v[8:9]
	v_add_co_u32_e32 v8, vcc, s22, v8
	v_addc_co_u32_e32 v9, vcc, v17, v9, vcc
	global_load_dword v11, v[8:9], off
	s_waitcnt vmcnt(1)
	v_mul_f32_e32 v17, v3, v18
.LBB18_10:                              ;   Parent Loop BB18_7 Depth=1
                                        ;     Parent Loop BB18_9 Depth=2
                                        ; =>    This Inner Loop Header: Depth=3
	s_waitcnt vmcnt(0)
	v_add_f32_e32 v10, v11, v17
	global_atomic_cmpswap v10, v[8:9], v[10:11], off glc
	s_waitcnt vmcnt(0)
	v_cmp_eq_u32_e32 vcc, v10, v11
	s_or_b64 s[28:29], vcc, s[28:29]
	v_mov_b32_e32 v11, v10
	s_andn2_b64 exec, exec, s[28:29]
	s_cbranch_execnz .LBB18_10
; %bb.11:                               ;   in Loop: Header=BB18_9 Depth=2
	s_or_b64 exec, exec, s[28:29]
	v_add_co_u32_e32 v6, vcc, 8, v6
	v_addc_co_u32_e32 v7, vcc, 0, v7, vcc
	v_cmp_ge_i64_e32 vcc, v[6:7], v[4:5]
	s_or_b64 s[26:27], vcc, s[26:27]
	s_andn2_b64 exec, exec, s[26:27]
	s_cbranch_execnz .LBB18_9
	s_branch .LBB18_6
.LBB18_12:
	s_or_b64 exec, exec, s[4:5]
	s_mov_b64 s[4:5], 0
.LBB18_13:
	s_andn2_b64 vcc, exec, s[4:5]
	s_cbranch_vccnz .LBB18_23
; %bb.14:
	s_and_saveexec_b64 s[4:5], s[0:1]
	s_cbranch_execz .LBB18_23
; %bb.15:
	v_subrev_co_u32_e32 v10, vcc, s2, v1
	s_mov_b32 s4, 0
	v_subb_co_u32_e64 v11, s[0:1], 0, 0, vcc
	s_mov_b64 s[0:1], 0
	v_mov_b32_e32 v12, s19
	v_mov_b32_e32 v13, s9
	;; [unrolled: 1-line block ×3, first 2 shown]
	s_branch .LBB18_17
.LBB18_16:                              ;   in Loop: Header=BB18_17 Depth=1
	s_or_b64 exec, exec, s[4:5]
	v_add_u32_e32 v0, s3, v0
	v_cmp_le_i32_e32 vcc, s21, v0
	s_or_b64 s[0:1], vcc, s[0:1]
	s_andn2_b64 exec, exec, s[0:1]
	s_cbranch_execz .LBB18_23
.LBB18_17:                              ; =>This Loop Header: Depth=1
                                        ;     Child Loop BB18_20 Depth 2
                                        ;       Child Loop BB18_22 Depth 3
	v_ashrrev_i32_e32 v1, 31, v0
	v_lshlrev_b64 v[2:3], 3, v[0:1]
	v_add_co_u32_e32 v4, vcc, s8, v2
	v_addc_co_u32_e32 v5, vcc, v13, v3, vcc
	global_load_dwordx2 v[4:5], v[4:5], off
	v_add_co_u32_e32 v2, vcc, s18, v2
	v_addc_co_u32_e32 v3, vcc, v12, v3, vcc
	global_load_dwordx2 v[6:7], v[2:3], off
	s_waitcnt vmcnt(1)
	v_subrev_co_u32_e32 v2, vcc, s2, v4
	v_subb_co_u32_e32 v3, vcc, v5, v14, vcc
	s_waitcnt vmcnt(0)
	v_add_co_u32_e32 v4, vcc, v6, v10
	v_addc_co_u32_e32 v5, vcc, v7, v11, vcc
	v_cmp_lt_i64_e32 vcc, v[4:5], v[2:3]
	s_and_saveexec_b64 s[4:5], vcc
	s_cbranch_execz .LBB18_16
; %bb.18:                               ;   in Loop: Header=BB18_17 Depth=1
	v_lshlrev_b64 v[6:7], 2, v[0:1]
	v_mov_b32_e32 v1, s15
	v_add_co_u32_e32 v6, vcc, s14, v6
	v_addc_co_u32_e32 v7, vcc, v1, v7, vcc
	global_load_dword v1, v[6:7], off
	s_mov_b64 s[6:7], 0
	s_waitcnt vmcnt(0)
	v_mul_f32_e32 v1, s16, v1
	s_branch .LBB18_20
.LBB18_19:                              ;   in Loop: Header=BB18_20 Depth=2
	s_or_b64 exec, exec, s[24:25]
	v_add_co_u32_e32 v4, vcc, 8, v4
	v_addc_co_u32_e32 v5, vcc, 0, v5, vcc
	v_cmp_ge_i64_e32 vcc, v[4:5], v[2:3]
	s_or_b64 s[6:7], vcc, s[6:7]
	s_andn2_b64 exec, exec, s[6:7]
	s_cbranch_execz .LBB18_16
.LBB18_20:                              ;   Parent Loop BB18_17 Depth=1
                                        ; =>  This Loop Header: Depth=2
                                        ;       Child Loop BB18_22 Depth 3
	v_lshlrev_b64 v[6:7], 2, v[4:5]
	v_mov_b32_e32 v9, s11
	v_add_co_u32_e32 v8, vcc, s10, v6
	v_addc_co_u32_e32 v9, vcc, v9, v7, vcc
	global_load_dword v8, v[8:9], off
	s_waitcnt vmcnt(0)
	v_subrev_u32_e32 v8, s2, v8
	v_cmp_ne_u32_e32 vcc, v8, v0
	s_and_saveexec_b64 s[24:25], vcc
	s_cbranch_execz .LBB18_19
; %bb.21:                               ;   in Loop: Header=BB18_20 Depth=2
	v_mov_b32_e32 v9, s13
	v_add_co_u32_e32 v6, vcc, s12, v6
	v_addc_co_u32_e32 v7, vcc, v9, v7, vcc
	v_ashrrev_i32_e32 v9, 31, v8
	v_lshlrev_b64 v[8:9], 2, v[8:9]
	v_mov_b32_e32 v15, s23
	global_load_dword v16, v[6:7], off
	v_add_co_u32_e32 v6, vcc, s22, v8
	v_addc_co_u32_e32 v7, vcc, v15, v9, vcc
	global_load_dword v9, v[6:7], off
	s_mov_b64 s[26:27], 0
	s_waitcnt vmcnt(1)
	v_mul_f32_e32 v15, v1, v16
.LBB18_22:                              ;   Parent Loop BB18_17 Depth=1
                                        ;     Parent Loop BB18_20 Depth=2
                                        ; =>    This Inner Loop Header: Depth=3
	s_waitcnt vmcnt(0)
	v_add_f32_e32 v8, v9, v15
	global_atomic_cmpswap v8, v[6:7], v[8:9], off glc
	s_waitcnt vmcnt(0)
	v_cmp_eq_u32_e32 vcc, v8, v9
	s_or_b64 s[26:27], vcc, s[26:27]
	v_mov_b32_e32 v9, v8
	s_andn2_b64 exec, exec, s[26:27]
	s_cbranch_execnz .LBB18_22
	s_branch .LBB18_19
.LBB18_23:
	s_endpgm
	.section	.rodata,"a",@progbits
	.p2align	6, 0x0
	.amdhsa_kernel _ZN9rocsparseL21csrmvt_general_kernelILj256ELj8EliffffEEvbbT2_NS_24const_host_device_scalarIT6_EEPKT1_S7_PKS1_PKT3_PKT4_PT5_21rocsparse_index_base_b
		.amdhsa_group_segment_fixed_size 0
		.amdhsa_private_segment_fixed_size 0
		.amdhsa_kernarg_size 328
		.amdhsa_user_sgpr_count 6
		.amdhsa_user_sgpr_private_segment_buffer 1
		.amdhsa_user_sgpr_dispatch_ptr 0
		.amdhsa_user_sgpr_queue_ptr 0
		.amdhsa_user_sgpr_kernarg_segment_ptr 1
		.amdhsa_user_sgpr_dispatch_id 0
		.amdhsa_user_sgpr_flat_scratch_init 0
		.amdhsa_user_sgpr_kernarg_preload_length 0
		.amdhsa_user_sgpr_kernarg_preload_offset 0
		.amdhsa_user_sgpr_private_segment_size 0
		.amdhsa_uses_dynamic_stack 0
		.amdhsa_system_sgpr_private_segment_wavefront_offset 0
		.amdhsa_system_sgpr_workgroup_id_x 1
		.amdhsa_system_sgpr_workgroup_id_y 0
		.amdhsa_system_sgpr_workgroup_id_z 0
		.amdhsa_system_sgpr_workgroup_info 0
		.amdhsa_system_vgpr_workitem_id 0
		.amdhsa_next_free_vgpr 19
		.amdhsa_next_free_sgpr 30
		.amdhsa_accum_offset 20
		.amdhsa_reserve_vcc 1
		.amdhsa_reserve_flat_scratch 0
		.amdhsa_float_round_mode_32 0
		.amdhsa_float_round_mode_16_64 0
		.amdhsa_float_denorm_mode_32 3
		.amdhsa_float_denorm_mode_16_64 3
		.amdhsa_dx10_clamp 1
		.amdhsa_ieee_mode 1
		.amdhsa_fp16_overflow 0
		.amdhsa_tg_split 0
		.amdhsa_exception_fp_ieee_invalid_op 0
		.amdhsa_exception_fp_denorm_src 0
		.amdhsa_exception_fp_ieee_div_zero 0
		.amdhsa_exception_fp_ieee_overflow 0
		.amdhsa_exception_fp_ieee_underflow 0
		.amdhsa_exception_fp_ieee_inexact 0
		.amdhsa_exception_int_div_zero 0
	.end_amdhsa_kernel
	.section	.text._ZN9rocsparseL21csrmvt_general_kernelILj256ELj8EliffffEEvbbT2_NS_24const_host_device_scalarIT6_EEPKT1_S7_PKS1_PKT3_PKT4_PT5_21rocsparse_index_base_b,"axG",@progbits,_ZN9rocsparseL21csrmvt_general_kernelILj256ELj8EliffffEEvbbT2_NS_24const_host_device_scalarIT6_EEPKT1_S7_PKS1_PKT3_PKT4_PT5_21rocsparse_index_base_b,comdat
.Lfunc_end18:
	.size	_ZN9rocsparseL21csrmvt_general_kernelILj256ELj8EliffffEEvbbT2_NS_24const_host_device_scalarIT6_EEPKT1_S7_PKS1_PKT3_PKT4_PT5_21rocsparse_index_base_b, .Lfunc_end18-_ZN9rocsparseL21csrmvt_general_kernelILj256ELj8EliffffEEvbbT2_NS_24const_host_device_scalarIT6_EEPKT1_S7_PKS1_PKT3_PKT4_PT5_21rocsparse_index_base_b
                                        ; -- End function
	.section	.AMDGPU.csdata,"",@progbits
; Kernel info:
; codeLenInByte = 904
; NumSgprs: 34
; NumVgprs: 19
; NumAgprs: 0
; TotalNumVgprs: 19
; ScratchSize: 0
; MemoryBound: 0
; FloatMode: 240
; IeeeMode: 1
; LDSByteSize: 0 bytes/workgroup (compile time only)
; SGPRBlocks: 4
; VGPRBlocks: 2
; NumSGPRsForWavesPerEU: 34
; NumVGPRsForWavesPerEU: 19
; AccumOffset: 20
; Occupancy: 8
; WaveLimiterHint : 1
; COMPUTE_PGM_RSRC2:SCRATCH_EN: 0
; COMPUTE_PGM_RSRC2:USER_SGPR: 6
; COMPUTE_PGM_RSRC2:TRAP_HANDLER: 0
; COMPUTE_PGM_RSRC2:TGID_X_EN: 1
; COMPUTE_PGM_RSRC2:TGID_Y_EN: 0
; COMPUTE_PGM_RSRC2:TGID_Z_EN: 0
; COMPUTE_PGM_RSRC2:TIDIG_COMP_CNT: 0
; COMPUTE_PGM_RSRC3_GFX90A:ACCUM_OFFSET: 4
; COMPUTE_PGM_RSRC3_GFX90A:TG_SPLIT: 0
	.section	.text._ZN9rocsparseL21csrmvt_general_kernelILj256ELj16EliffffEEvbbT2_NS_24const_host_device_scalarIT6_EEPKT1_S7_PKS1_PKT3_PKT4_PT5_21rocsparse_index_base_b,"axG",@progbits,_ZN9rocsparseL21csrmvt_general_kernelILj256ELj16EliffffEEvbbT2_NS_24const_host_device_scalarIT6_EEPKT1_S7_PKS1_PKT3_PKT4_PT5_21rocsparse_index_base_b,comdat
	.globl	_ZN9rocsparseL21csrmvt_general_kernelILj256ELj16EliffffEEvbbT2_NS_24const_host_device_scalarIT6_EEPKT1_S7_PKS1_PKT3_PKT4_PT5_21rocsparse_index_base_b ; -- Begin function _ZN9rocsparseL21csrmvt_general_kernelILj256ELj16EliffffEEvbbT2_NS_24const_host_device_scalarIT6_EEPKT1_S7_PKS1_PKT3_PKT4_PT5_21rocsparse_index_base_b
	.p2align	8
	.type	_ZN9rocsparseL21csrmvt_general_kernelILj256ELj16EliffffEEvbbT2_NS_24const_host_device_scalarIT6_EEPKT1_S7_PKS1_PKT3_PKT4_PT5_21rocsparse_index_base_b,@function
_ZN9rocsparseL21csrmvt_general_kernelILj256ELj16EliffffEEvbbT2_NS_24const_host_device_scalarIT6_EEPKT1_S7_PKS1_PKT3_PKT4_PT5_21rocsparse_index_base_b: ; @_ZN9rocsparseL21csrmvt_general_kernelILj256ELj16EliffffEEvbbT2_NS_24const_host_device_scalarIT6_EEPKT1_S7_PKS1_PKT3_PKT4_PT5_21rocsparse_index_base_b
; %bb.0:
	s_load_dwordx2 s[2:3], s[4:5], 0x40
	s_load_dwordx4 s[16:19], s[4:5], 0x8
	s_waitcnt lgkmcnt(0)
	s_bitcmp1_b32 s3, 0
	s_cselect_b64 s[0:1], -1, 0
	s_and_b64 vcc, exec, s[0:1]
	s_cbranch_vccnz .LBB19_2
; %bb.1:
	s_load_dword s16, s[16:17], 0x0
.LBB19_2:
	s_waitcnt lgkmcnt(0)
	v_cmp_eq_f32_e64 s[0:1], s16, 0
	s_and_b64 vcc, exec, s[0:1]
	s_cbranch_vccnz .LBB19_23
; %bb.3:
	s_load_dwordx2 s[20:21], s[4:5], 0x0
	s_load_dword s0, s[4:5], 0x48
	s_load_dwordx2 s[22:23], s[4:5], 0x38
	s_load_dwordx8 s[8:15], s[4:5], 0x18
	v_and_b32_e32 v1, 15, v0
	v_lshl_or_b32 v0, s6, 8, v0
	s_waitcnt lgkmcnt(0)
	s_and_b32 s1, s20, 1
	s_lshl_b32 s3, s0, 4
	v_lshrrev_b32_e32 v0, 4, v0
	s_cmp_eq_u32 s1, 0
	v_cmp_gt_i32_e64 s[0:1], s21, v0
	s_mov_b64 s[4:5], -1
	s_cbranch_scc0 .LBB19_13
; %bb.4:
	s_and_saveexec_b64 s[4:5], s[0:1]
	s_cbranch_execz .LBB19_12
; %bb.5:
	v_subrev_co_u32_e32 v12, vcc, s2, v1
	s_mov_b32 s17, 0
	v_subb_co_u32_e64 v13, s[6:7], 0, 0, vcc
	s_mov_b64 s[6:7], 0
	v_mov_b32_e32 v14, s19
	v_mov_b32_e32 v15, s9
	;; [unrolled: 1-line block ×4, first 2 shown]
	s_branch .LBB19_7
.LBB19_6:                               ;   in Loop: Header=BB19_7 Depth=1
	s_or_b64 exec, exec, s[24:25]
	v_add_u32_e32 v2, s3, v2
	v_cmp_le_i32_e32 vcc, s21, v2
	s_or_b64 s[6:7], vcc, s[6:7]
	s_andn2_b64 exec, exec, s[6:7]
	s_cbranch_execz .LBB19_12
.LBB19_7:                               ; =>This Loop Header: Depth=1
                                        ;     Child Loop BB19_9 Depth 2
                                        ;       Child Loop BB19_10 Depth 3
	v_ashrrev_i32_e32 v3, 31, v2
	v_lshlrev_b64 v[4:5], 3, v[2:3]
	v_add_co_u32_e32 v6, vcc, s8, v4
	v_addc_co_u32_e32 v7, vcc, v15, v5, vcc
	global_load_dwordx2 v[6:7], v[6:7], off
	v_add_co_u32_e32 v4, vcc, s18, v4
	v_addc_co_u32_e32 v5, vcc, v14, v5, vcc
	global_load_dwordx2 v[8:9], v[4:5], off
	s_waitcnt vmcnt(1)
	v_subrev_co_u32_e32 v4, vcc, s2, v6
	v_subb_co_u32_e32 v5, vcc, v7, v16, vcc
	s_waitcnt vmcnt(0)
	v_add_co_u32_e32 v6, vcc, v8, v12
	v_addc_co_u32_e32 v7, vcc, v9, v13, vcc
	v_cmp_lt_i64_e32 vcc, v[6:7], v[4:5]
	s_and_saveexec_b64 s[24:25], vcc
	s_cbranch_execz .LBB19_6
; %bb.8:                                ;   in Loop: Header=BB19_7 Depth=1
	v_lshlrev_b64 v[8:9], 2, v[2:3]
	v_mov_b32_e32 v3, s15
	v_add_co_u32_e32 v8, vcc, s14, v8
	v_addc_co_u32_e32 v9, vcc, v3, v9, vcc
	global_load_dword v3, v[8:9], off
	s_mov_b64 s[26:27], 0
	s_waitcnt vmcnt(0)
	v_mul_f32_e32 v3, s16, v3
.LBB19_9:                               ;   Parent Loop BB19_7 Depth=1
                                        ; =>  This Loop Header: Depth=2
                                        ;       Child Loop BB19_10 Depth 3
	v_lshlrev_b64 v[8:9], 2, v[6:7]
	v_mov_b32_e32 v11, s11
	v_add_co_u32_e32 v10, vcc, s10, v8
	v_addc_co_u32_e32 v11, vcc, v11, v9, vcc
	global_load_dword v10, v[10:11], off
	v_mov_b32_e32 v11, s13
	v_add_co_u32_e32 v8, vcc, s12, v8
	v_addc_co_u32_e32 v9, vcc, v11, v9, vcc
	global_load_dword v18, v[8:9], off
	v_mov_b32_e32 v17, s23
	s_mov_b64 s[28:29], 0
	s_waitcnt vmcnt(1)
	v_subrev_u32_e32 v8, s2, v10
	v_ashrrev_i32_e32 v9, 31, v8
	v_lshlrev_b64 v[8:9], 2, v[8:9]
	v_add_co_u32_e32 v8, vcc, s22, v8
	v_addc_co_u32_e32 v9, vcc, v17, v9, vcc
	global_load_dword v11, v[8:9], off
	s_waitcnt vmcnt(1)
	v_mul_f32_e32 v17, v3, v18
.LBB19_10:                              ;   Parent Loop BB19_7 Depth=1
                                        ;     Parent Loop BB19_9 Depth=2
                                        ; =>    This Inner Loop Header: Depth=3
	s_waitcnt vmcnt(0)
	v_add_f32_e32 v10, v11, v17
	global_atomic_cmpswap v10, v[8:9], v[10:11], off glc
	s_waitcnt vmcnt(0)
	v_cmp_eq_u32_e32 vcc, v10, v11
	s_or_b64 s[28:29], vcc, s[28:29]
	v_mov_b32_e32 v11, v10
	s_andn2_b64 exec, exec, s[28:29]
	s_cbranch_execnz .LBB19_10
; %bb.11:                               ;   in Loop: Header=BB19_9 Depth=2
	s_or_b64 exec, exec, s[28:29]
	v_add_co_u32_e32 v6, vcc, 16, v6
	v_addc_co_u32_e32 v7, vcc, 0, v7, vcc
	v_cmp_ge_i64_e32 vcc, v[6:7], v[4:5]
	s_or_b64 s[26:27], vcc, s[26:27]
	s_andn2_b64 exec, exec, s[26:27]
	s_cbranch_execnz .LBB19_9
	s_branch .LBB19_6
.LBB19_12:
	s_or_b64 exec, exec, s[4:5]
	s_mov_b64 s[4:5], 0
.LBB19_13:
	s_andn2_b64 vcc, exec, s[4:5]
	s_cbranch_vccnz .LBB19_23
; %bb.14:
	s_and_saveexec_b64 s[4:5], s[0:1]
	s_cbranch_execz .LBB19_23
; %bb.15:
	v_subrev_co_u32_e32 v10, vcc, s2, v1
	s_mov_b32 s4, 0
	v_subb_co_u32_e64 v11, s[0:1], 0, 0, vcc
	s_mov_b64 s[0:1], 0
	v_mov_b32_e32 v12, s19
	v_mov_b32_e32 v13, s9
	;; [unrolled: 1-line block ×3, first 2 shown]
	s_branch .LBB19_17
.LBB19_16:                              ;   in Loop: Header=BB19_17 Depth=1
	s_or_b64 exec, exec, s[4:5]
	v_add_u32_e32 v0, s3, v0
	v_cmp_le_i32_e32 vcc, s21, v0
	s_or_b64 s[0:1], vcc, s[0:1]
	s_andn2_b64 exec, exec, s[0:1]
	s_cbranch_execz .LBB19_23
.LBB19_17:                              ; =>This Loop Header: Depth=1
                                        ;     Child Loop BB19_20 Depth 2
                                        ;       Child Loop BB19_22 Depth 3
	v_ashrrev_i32_e32 v1, 31, v0
	v_lshlrev_b64 v[2:3], 3, v[0:1]
	v_add_co_u32_e32 v4, vcc, s8, v2
	v_addc_co_u32_e32 v5, vcc, v13, v3, vcc
	global_load_dwordx2 v[4:5], v[4:5], off
	v_add_co_u32_e32 v2, vcc, s18, v2
	v_addc_co_u32_e32 v3, vcc, v12, v3, vcc
	global_load_dwordx2 v[6:7], v[2:3], off
	s_waitcnt vmcnt(1)
	v_subrev_co_u32_e32 v2, vcc, s2, v4
	v_subb_co_u32_e32 v3, vcc, v5, v14, vcc
	s_waitcnt vmcnt(0)
	v_add_co_u32_e32 v4, vcc, v6, v10
	v_addc_co_u32_e32 v5, vcc, v7, v11, vcc
	v_cmp_lt_i64_e32 vcc, v[4:5], v[2:3]
	s_and_saveexec_b64 s[4:5], vcc
	s_cbranch_execz .LBB19_16
; %bb.18:                               ;   in Loop: Header=BB19_17 Depth=1
	v_lshlrev_b64 v[6:7], 2, v[0:1]
	v_mov_b32_e32 v1, s15
	v_add_co_u32_e32 v6, vcc, s14, v6
	v_addc_co_u32_e32 v7, vcc, v1, v7, vcc
	global_load_dword v1, v[6:7], off
	s_mov_b64 s[6:7], 0
	s_waitcnt vmcnt(0)
	v_mul_f32_e32 v1, s16, v1
	s_branch .LBB19_20
.LBB19_19:                              ;   in Loop: Header=BB19_20 Depth=2
	s_or_b64 exec, exec, s[24:25]
	v_add_co_u32_e32 v4, vcc, 16, v4
	v_addc_co_u32_e32 v5, vcc, 0, v5, vcc
	v_cmp_ge_i64_e32 vcc, v[4:5], v[2:3]
	s_or_b64 s[6:7], vcc, s[6:7]
	s_andn2_b64 exec, exec, s[6:7]
	s_cbranch_execz .LBB19_16
.LBB19_20:                              ;   Parent Loop BB19_17 Depth=1
                                        ; =>  This Loop Header: Depth=2
                                        ;       Child Loop BB19_22 Depth 3
	v_lshlrev_b64 v[6:7], 2, v[4:5]
	v_mov_b32_e32 v9, s11
	v_add_co_u32_e32 v8, vcc, s10, v6
	v_addc_co_u32_e32 v9, vcc, v9, v7, vcc
	global_load_dword v8, v[8:9], off
	s_waitcnt vmcnt(0)
	v_subrev_u32_e32 v8, s2, v8
	v_cmp_ne_u32_e32 vcc, v8, v0
	s_and_saveexec_b64 s[24:25], vcc
	s_cbranch_execz .LBB19_19
; %bb.21:                               ;   in Loop: Header=BB19_20 Depth=2
	v_mov_b32_e32 v9, s13
	v_add_co_u32_e32 v6, vcc, s12, v6
	v_addc_co_u32_e32 v7, vcc, v9, v7, vcc
	v_ashrrev_i32_e32 v9, 31, v8
	v_lshlrev_b64 v[8:9], 2, v[8:9]
	v_mov_b32_e32 v15, s23
	global_load_dword v16, v[6:7], off
	v_add_co_u32_e32 v6, vcc, s22, v8
	v_addc_co_u32_e32 v7, vcc, v15, v9, vcc
	global_load_dword v9, v[6:7], off
	s_mov_b64 s[26:27], 0
	s_waitcnt vmcnt(1)
	v_mul_f32_e32 v15, v1, v16
.LBB19_22:                              ;   Parent Loop BB19_17 Depth=1
                                        ;     Parent Loop BB19_20 Depth=2
                                        ; =>    This Inner Loop Header: Depth=3
	s_waitcnt vmcnt(0)
	v_add_f32_e32 v8, v9, v15
	global_atomic_cmpswap v8, v[6:7], v[8:9], off glc
	s_waitcnt vmcnt(0)
	v_cmp_eq_u32_e32 vcc, v8, v9
	s_or_b64 s[26:27], vcc, s[26:27]
	v_mov_b32_e32 v9, v8
	s_andn2_b64 exec, exec, s[26:27]
	s_cbranch_execnz .LBB19_22
	s_branch .LBB19_19
.LBB19_23:
	s_endpgm
	.section	.rodata,"a",@progbits
	.p2align	6, 0x0
	.amdhsa_kernel _ZN9rocsparseL21csrmvt_general_kernelILj256ELj16EliffffEEvbbT2_NS_24const_host_device_scalarIT6_EEPKT1_S7_PKS1_PKT3_PKT4_PT5_21rocsparse_index_base_b
		.amdhsa_group_segment_fixed_size 0
		.amdhsa_private_segment_fixed_size 0
		.amdhsa_kernarg_size 328
		.amdhsa_user_sgpr_count 6
		.amdhsa_user_sgpr_private_segment_buffer 1
		.amdhsa_user_sgpr_dispatch_ptr 0
		.amdhsa_user_sgpr_queue_ptr 0
		.amdhsa_user_sgpr_kernarg_segment_ptr 1
		.amdhsa_user_sgpr_dispatch_id 0
		.amdhsa_user_sgpr_flat_scratch_init 0
		.amdhsa_user_sgpr_kernarg_preload_length 0
		.amdhsa_user_sgpr_kernarg_preload_offset 0
		.amdhsa_user_sgpr_private_segment_size 0
		.amdhsa_uses_dynamic_stack 0
		.amdhsa_system_sgpr_private_segment_wavefront_offset 0
		.amdhsa_system_sgpr_workgroup_id_x 1
		.amdhsa_system_sgpr_workgroup_id_y 0
		.amdhsa_system_sgpr_workgroup_id_z 0
		.amdhsa_system_sgpr_workgroup_info 0
		.amdhsa_system_vgpr_workitem_id 0
		.amdhsa_next_free_vgpr 19
		.amdhsa_next_free_sgpr 30
		.amdhsa_accum_offset 20
		.amdhsa_reserve_vcc 1
		.amdhsa_reserve_flat_scratch 0
		.amdhsa_float_round_mode_32 0
		.amdhsa_float_round_mode_16_64 0
		.amdhsa_float_denorm_mode_32 3
		.amdhsa_float_denorm_mode_16_64 3
		.amdhsa_dx10_clamp 1
		.amdhsa_ieee_mode 1
		.amdhsa_fp16_overflow 0
		.amdhsa_tg_split 0
		.amdhsa_exception_fp_ieee_invalid_op 0
		.amdhsa_exception_fp_denorm_src 0
		.amdhsa_exception_fp_ieee_div_zero 0
		.amdhsa_exception_fp_ieee_overflow 0
		.amdhsa_exception_fp_ieee_underflow 0
		.amdhsa_exception_fp_ieee_inexact 0
		.amdhsa_exception_int_div_zero 0
	.end_amdhsa_kernel
	.section	.text._ZN9rocsparseL21csrmvt_general_kernelILj256ELj16EliffffEEvbbT2_NS_24const_host_device_scalarIT6_EEPKT1_S7_PKS1_PKT3_PKT4_PT5_21rocsparse_index_base_b,"axG",@progbits,_ZN9rocsparseL21csrmvt_general_kernelILj256ELj16EliffffEEvbbT2_NS_24const_host_device_scalarIT6_EEPKT1_S7_PKS1_PKT3_PKT4_PT5_21rocsparse_index_base_b,comdat
.Lfunc_end19:
	.size	_ZN9rocsparseL21csrmvt_general_kernelILj256ELj16EliffffEEvbbT2_NS_24const_host_device_scalarIT6_EEPKT1_S7_PKS1_PKT3_PKT4_PT5_21rocsparse_index_base_b, .Lfunc_end19-_ZN9rocsparseL21csrmvt_general_kernelILj256ELj16EliffffEEvbbT2_NS_24const_host_device_scalarIT6_EEPKT1_S7_PKS1_PKT3_PKT4_PT5_21rocsparse_index_base_b
                                        ; -- End function
	.section	.AMDGPU.csdata,"",@progbits
; Kernel info:
; codeLenInByte = 904
; NumSgprs: 34
; NumVgprs: 19
; NumAgprs: 0
; TotalNumVgprs: 19
; ScratchSize: 0
; MemoryBound: 0
; FloatMode: 240
; IeeeMode: 1
; LDSByteSize: 0 bytes/workgroup (compile time only)
; SGPRBlocks: 4
; VGPRBlocks: 2
; NumSGPRsForWavesPerEU: 34
; NumVGPRsForWavesPerEU: 19
; AccumOffset: 20
; Occupancy: 8
; WaveLimiterHint : 1
; COMPUTE_PGM_RSRC2:SCRATCH_EN: 0
; COMPUTE_PGM_RSRC2:USER_SGPR: 6
; COMPUTE_PGM_RSRC2:TRAP_HANDLER: 0
; COMPUTE_PGM_RSRC2:TGID_X_EN: 1
; COMPUTE_PGM_RSRC2:TGID_Y_EN: 0
; COMPUTE_PGM_RSRC2:TGID_Z_EN: 0
; COMPUTE_PGM_RSRC2:TIDIG_COMP_CNT: 0
; COMPUTE_PGM_RSRC3_GFX90A:ACCUM_OFFSET: 4
; COMPUTE_PGM_RSRC3_GFX90A:TG_SPLIT: 0
	.section	.text._ZN9rocsparseL21csrmvt_general_kernelILj256ELj32EliffffEEvbbT2_NS_24const_host_device_scalarIT6_EEPKT1_S7_PKS1_PKT3_PKT4_PT5_21rocsparse_index_base_b,"axG",@progbits,_ZN9rocsparseL21csrmvt_general_kernelILj256ELj32EliffffEEvbbT2_NS_24const_host_device_scalarIT6_EEPKT1_S7_PKS1_PKT3_PKT4_PT5_21rocsparse_index_base_b,comdat
	.globl	_ZN9rocsparseL21csrmvt_general_kernelILj256ELj32EliffffEEvbbT2_NS_24const_host_device_scalarIT6_EEPKT1_S7_PKS1_PKT3_PKT4_PT5_21rocsparse_index_base_b ; -- Begin function _ZN9rocsparseL21csrmvt_general_kernelILj256ELj32EliffffEEvbbT2_NS_24const_host_device_scalarIT6_EEPKT1_S7_PKS1_PKT3_PKT4_PT5_21rocsparse_index_base_b
	.p2align	8
	.type	_ZN9rocsparseL21csrmvt_general_kernelILj256ELj32EliffffEEvbbT2_NS_24const_host_device_scalarIT6_EEPKT1_S7_PKS1_PKT3_PKT4_PT5_21rocsparse_index_base_b,@function
_ZN9rocsparseL21csrmvt_general_kernelILj256ELj32EliffffEEvbbT2_NS_24const_host_device_scalarIT6_EEPKT1_S7_PKS1_PKT3_PKT4_PT5_21rocsparse_index_base_b: ; @_ZN9rocsparseL21csrmvt_general_kernelILj256ELj32EliffffEEvbbT2_NS_24const_host_device_scalarIT6_EEPKT1_S7_PKS1_PKT3_PKT4_PT5_21rocsparse_index_base_b
; %bb.0:
	s_load_dwordx2 s[2:3], s[4:5], 0x40
	s_load_dwordx4 s[16:19], s[4:5], 0x8
	s_waitcnt lgkmcnt(0)
	s_bitcmp1_b32 s3, 0
	s_cselect_b64 s[0:1], -1, 0
	s_and_b64 vcc, exec, s[0:1]
	s_cbranch_vccnz .LBB20_2
; %bb.1:
	s_load_dword s16, s[16:17], 0x0
.LBB20_2:
	s_waitcnt lgkmcnt(0)
	v_cmp_eq_f32_e64 s[0:1], s16, 0
	s_and_b64 vcc, exec, s[0:1]
	s_cbranch_vccnz .LBB20_23
; %bb.3:
	s_load_dwordx2 s[20:21], s[4:5], 0x0
	s_load_dword s0, s[4:5], 0x48
	s_load_dwordx2 s[22:23], s[4:5], 0x38
	s_load_dwordx8 s[8:15], s[4:5], 0x18
	v_and_b32_e32 v1, 31, v0
	v_lshl_or_b32 v0, s6, 8, v0
	s_waitcnt lgkmcnt(0)
	s_and_b32 s1, s20, 1
	s_lshl_b32 s3, s0, 3
	v_lshrrev_b32_e32 v0, 5, v0
	s_cmp_eq_u32 s1, 0
	v_cmp_gt_i32_e64 s[0:1], s21, v0
	s_mov_b64 s[4:5], -1
	s_cbranch_scc0 .LBB20_13
; %bb.4:
	s_and_saveexec_b64 s[4:5], s[0:1]
	s_cbranch_execz .LBB20_12
; %bb.5:
	v_subrev_co_u32_e32 v12, vcc, s2, v1
	s_mov_b32 s17, 0
	v_subb_co_u32_e64 v13, s[6:7], 0, 0, vcc
	s_mov_b64 s[6:7], 0
	v_mov_b32_e32 v14, s19
	v_mov_b32_e32 v15, s9
	;; [unrolled: 1-line block ×4, first 2 shown]
	s_branch .LBB20_7
.LBB20_6:                               ;   in Loop: Header=BB20_7 Depth=1
	s_or_b64 exec, exec, s[24:25]
	v_add_u32_e32 v2, s3, v2
	v_cmp_le_i32_e32 vcc, s21, v2
	s_or_b64 s[6:7], vcc, s[6:7]
	s_andn2_b64 exec, exec, s[6:7]
	s_cbranch_execz .LBB20_12
.LBB20_7:                               ; =>This Loop Header: Depth=1
                                        ;     Child Loop BB20_9 Depth 2
                                        ;       Child Loop BB20_10 Depth 3
	v_ashrrev_i32_e32 v3, 31, v2
	v_lshlrev_b64 v[4:5], 3, v[2:3]
	v_add_co_u32_e32 v6, vcc, s8, v4
	v_addc_co_u32_e32 v7, vcc, v15, v5, vcc
	global_load_dwordx2 v[6:7], v[6:7], off
	v_add_co_u32_e32 v4, vcc, s18, v4
	v_addc_co_u32_e32 v5, vcc, v14, v5, vcc
	global_load_dwordx2 v[8:9], v[4:5], off
	s_waitcnt vmcnt(1)
	v_subrev_co_u32_e32 v4, vcc, s2, v6
	v_subb_co_u32_e32 v5, vcc, v7, v16, vcc
	s_waitcnt vmcnt(0)
	v_add_co_u32_e32 v6, vcc, v8, v12
	v_addc_co_u32_e32 v7, vcc, v9, v13, vcc
	v_cmp_lt_i64_e32 vcc, v[6:7], v[4:5]
	s_and_saveexec_b64 s[24:25], vcc
	s_cbranch_execz .LBB20_6
; %bb.8:                                ;   in Loop: Header=BB20_7 Depth=1
	v_lshlrev_b64 v[8:9], 2, v[2:3]
	v_mov_b32_e32 v3, s15
	v_add_co_u32_e32 v8, vcc, s14, v8
	v_addc_co_u32_e32 v9, vcc, v3, v9, vcc
	global_load_dword v3, v[8:9], off
	s_mov_b64 s[26:27], 0
	s_waitcnt vmcnt(0)
	v_mul_f32_e32 v3, s16, v3
.LBB20_9:                               ;   Parent Loop BB20_7 Depth=1
                                        ; =>  This Loop Header: Depth=2
                                        ;       Child Loop BB20_10 Depth 3
	v_lshlrev_b64 v[8:9], 2, v[6:7]
	v_mov_b32_e32 v11, s11
	v_add_co_u32_e32 v10, vcc, s10, v8
	v_addc_co_u32_e32 v11, vcc, v11, v9, vcc
	global_load_dword v10, v[10:11], off
	v_mov_b32_e32 v11, s13
	v_add_co_u32_e32 v8, vcc, s12, v8
	v_addc_co_u32_e32 v9, vcc, v11, v9, vcc
	global_load_dword v18, v[8:9], off
	v_mov_b32_e32 v17, s23
	s_mov_b64 s[28:29], 0
	s_waitcnt vmcnt(1)
	v_subrev_u32_e32 v8, s2, v10
	v_ashrrev_i32_e32 v9, 31, v8
	v_lshlrev_b64 v[8:9], 2, v[8:9]
	v_add_co_u32_e32 v8, vcc, s22, v8
	v_addc_co_u32_e32 v9, vcc, v17, v9, vcc
	global_load_dword v11, v[8:9], off
	s_waitcnt vmcnt(1)
	v_mul_f32_e32 v17, v3, v18
.LBB20_10:                              ;   Parent Loop BB20_7 Depth=1
                                        ;     Parent Loop BB20_9 Depth=2
                                        ; =>    This Inner Loop Header: Depth=3
	s_waitcnt vmcnt(0)
	v_add_f32_e32 v10, v11, v17
	global_atomic_cmpswap v10, v[8:9], v[10:11], off glc
	s_waitcnt vmcnt(0)
	v_cmp_eq_u32_e32 vcc, v10, v11
	s_or_b64 s[28:29], vcc, s[28:29]
	v_mov_b32_e32 v11, v10
	s_andn2_b64 exec, exec, s[28:29]
	s_cbranch_execnz .LBB20_10
; %bb.11:                               ;   in Loop: Header=BB20_9 Depth=2
	s_or_b64 exec, exec, s[28:29]
	v_add_co_u32_e32 v6, vcc, 32, v6
	v_addc_co_u32_e32 v7, vcc, 0, v7, vcc
	v_cmp_ge_i64_e32 vcc, v[6:7], v[4:5]
	s_or_b64 s[26:27], vcc, s[26:27]
	s_andn2_b64 exec, exec, s[26:27]
	s_cbranch_execnz .LBB20_9
	s_branch .LBB20_6
.LBB20_12:
	s_or_b64 exec, exec, s[4:5]
	s_mov_b64 s[4:5], 0
.LBB20_13:
	s_andn2_b64 vcc, exec, s[4:5]
	s_cbranch_vccnz .LBB20_23
; %bb.14:
	s_and_saveexec_b64 s[4:5], s[0:1]
	s_cbranch_execz .LBB20_23
; %bb.15:
	v_subrev_co_u32_e32 v10, vcc, s2, v1
	s_mov_b32 s4, 0
	v_subb_co_u32_e64 v11, s[0:1], 0, 0, vcc
	s_mov_b64 s[0:1], 0
	v_mov_b32_e32 v12, s19
	v_mov_b32_e32 v13, s9
	;; [unrolled: 1-line block ×3, first 2 shown]
	s_branch .LBB20_17
.LBB20_16:                              ;   in Loop: Header=BB20_17 Depth=1
	s_or_b64 exec, exec, s[4:5]
	v_add_u32_e32 v0, s3, v0
	v_cmp_le_i32_e32 vcc, s21, v0
	s_or_b64 s[0:1], vcc, s[0:1]
	s_andn2_b64 exec, exec, s[0:1]
	s_cbranch_execz .LBB20_23
.LBB20_17:                              ; =>This Loop Header: Depth=1
                                        ;     Child Loop BB20_20 Depth 2
                                        ;       Child Loop BB20_22 Depth 3
	v_ashrrev_i32_e32 v1, 31, v0
	v_lshlrev_b64 v[2:3], 3, v[0:1]
	v_add_co_u32_e32 v4, vcc, s8, v2
	v_addc_co_u32_e32 v5, vcc, v13, v3, vcc
	global_load_dwordx2 v[4:5], v[4:5], off
	v_add_co_u32_e32 v2, vcc, s18, v2
	v_addc_co_u32_e32 v3, vcc, v12, v3, vcc
	global_load_dwordx2 v[6:7], v[2:3], off
	s_waitcnt vmcnt(1)
	v_subrev_co_u32_e32 v2, vcc, s2, v4
	v_subb_co_u32_e32 v3, vcc, v5, v14, vcc
	s_waitcnt vmcnt(0)
	v_add_co_u32_e32 v4, vcc, v6, v10
	v_addc_co_u32_e32 v5, vcc, v7, v11, vcc
	v_cmp_lt_i64_e32 vcc, v[4:5], v[2:3]
	s_and_saveexec_b64 s[4:5], vcc
	s_cbranch_execz .LBB20_16
; %bb.18:                               ;   in Loop: Header=BB20_17 Depth=1
	v_lshlrev_b64 v[6:7], 2, v[0:1]
	v_mov_b32_e32 v1, s15
	v_add_co_u32_e32 v6, vcc, s14, v6
	v_addc_co_u32_e32 v7, vcc, v1, v7, vcc
	global_load_dword v1, v[6:7], off
	s_mov_b64 s[6:7], 0
	s_waitcnt vmcnt(0)
	v_mul_f32_e32 v1, s16, v1
	s_branch .LBB20_20
.LBB20_19:                              ;   in Loop: Header=BB20_20 Depth=2
	s_or_b64 exec, exec, s[24:25]
	v_add_co_u32_e32 v4, vcc, 32, v4
	v_addc_co_u32_e32 v5, vcc, 0, v5, vcc
	v_cmp_ge_i64_e32 vcc, v[4:5], v[2:3]
	s_or_b64 s[6:7], vcc, s[6:7]
	s_andn2_b64 exec, exec, s[6:7]
	s_cbranch_execz .LBB20_16
.LBB20_20:                              ;   Parent Loop BB20_17 Depth=1
                                        ; =>  This Loop Header: Depth=2
                                        ;       Child Loop BB20_22 Depth 3
	v_lshlrev_b64 v[6:7], 2, v[4:5]
	v_mov_b32_e32 v9, s11
	v_add_co_u32_e32 v8, vcc, s10, v6
	v_addc_co_u32_e32 v9, vcc, v9, v7, vcc
	global_load_dword v8, v[8:9], off
	s_waitcnt vmcnt(0)
	v_subrev_u32_e32 v8, s2, v8
	v_cmp_ne_u32_e32 vcc, v8, v0
	s_and_saveexec_b64 s[24:25], vcc
	s_cbranch_execz .LBB20_19
; %bb.21:                               ;   in Loop: Header=BB20_20 Depth=2
	v_mov_b32_e32 v9, s13
	v_add_co_u32_e32 v6, vcc, s12, v6
	v_addc_co_u32_e32 v7, vcc, v9, v7, vcc
	v_ashrrev_i32_e32 v9, 31, v8
	v_lshlrev_b64 v[8:9], 2, v[8:9]
	v_mov_b32_e32 v15, s23
	global_load_dword v16, v[6:7], off
	v_add_co_u32_e32 v6, vcc, s22, v8
	v_addc_co_u32_e32 v7, vcc, v15, v9, vcc
	global_load_dword v9, v[6:7], off
	s_mov_b64 s[26:27], 0
	s_waitcnt vmcnt(1)
	v_mul_f32_e32 v15, v1, v16
.LBB20_22:                              ;   Parent Loop BB20_17 Depth=1
                                        ;     Parent Loop BB20_20 Depth=2
                                        ; =>    This Inner Loop Header: Depth=3
	s_waitcnt vmcnt(0)
	v_add_f32_e32 v8, v9, v15
	global_atomic_cmpswap v8, v[6:7], v[8:9], off glc
	s_waitcnt vmcnt(0)
	v_cmp_eq_u32_e32 vcc, v8, v9
	s_or_b64 s[26:27], vcc, s[26:27]
	v_mov_b32_e32 v9, v8
	s_andn2_b64 exec, exec, s[26:27]
	s_cbranch_execnz .LBB20_22
	s_branch .LBB20_19
.LBB20_23:
	s_endpgm
	.section	.rodata,"a",@progbits
	.p2align	6, 0x0
	.amdhsa_kernel _ZN9rocsparseL21csrmvt_general_kernelILj256ELj32EliffffEEvbbT2_NS_24const_host_device_scalarIT6_EEPKT1_S7_PKS1_PKT3_PKT4_PT5_21rocsparse_index_base_b
		.amdhsa_group_segment_fixed_size 0
		.amdhsa_private_segment_fixed_size 0
		.amdhsa_kernarg_size 328
		.amdhsa_user_sgpr_count 6
		.amdhsa_user_sgpr_private_segment_buffer 1
		.amdhsa_user_sgpr_dispatch_ptr 0
		.amdhsa_user_sgpr_queue_ptr 0
		.amdhsa_user_sgpr_kernarg_segment_ptr 1
		.amdhsa_user_sgpr_dispatch_id 0
		.amdhsa_user_sgpr_flat_scratch_init 0
		.amdhsa_user_sgpr_kernarg_preload_length 0
		.amdhsa_user_sgpr_kernarg_preload_offset 0
		.amdhsa_user_sgpr_private_segment_size 0
		.amdhsa_uses_dynamic_stack 0
		.amdhsa_system_sgpr_private_segment_wavefront_offset 0
		.amdhsa_system_sgpr_workgroup_id_x 1
		.amdhsa_system_sgpr_workgroup_id_y 0
		.amdhsa_system_sgpr_workgroup_id_z 0
		.amdhsa_system_sgpr_workgroup_info 0
		.amdhsa_system_vgpr_workitem_id 0
		.amdhsa_next_free_vgpr 19
		.amdhsa_next_free_sgpr 30
		.amdhsa_accum_offset 20
		.amdhsa_reserve_vcc 1
		.amdhsa_reserve_flat_scratch 0
		.amdhsa_float_round_mode_32 0
		.amdhsa_float_round_mode_16_64 0
		.amdhsa_float_denorm_mode_32 3
		.amdhsa_float_denorm_mode_16_64 3
		.amdhsa_dx10_clamp 1
		.amdhsa_ieee_mode 1
		.amdhsa_fp16_overflow 0
		.amdhsa_tg_split 0
		.amdhsa_exception_fp_ieee_invalid_op 0
		.amdhsa_exception_fp_denorm_src 0
		.amdhsa_exception_fp_ieee_div_zero 0
		.amdhsa_exception_fp_ieee_overflow 0
		.amdhsa_exception_fp_ieee_underflow 0
		.amdhsa_exception_fp_ieee_inexact 0
		.amdhsa_exception_int_div_zero 0
	.end_amdhsa_kernel
	.section	.text._ZN9rocsparseL21csrmvt_general_kernelILj256ELj32EliffffEEvbbT2_NS_24const_host_device_scalarIT6_EEPKT1_S7_PKS1_PKT3_PKT4_PT5_21rocsparse_index_base_b,"axG",@progbits,_ZN9rocsparseL21csrmvt_general_kernelILj256ELj32EliffffEEvbbT2_NS_24const_host_device_scalarIT6_EEPKT1_S7_PKS1_PKT3_PKT4_PT5_21rocsparse_index_base_b,comdat
.Lfunc_end20:
	.size	_ZN9rocsparseL21csrmvt_general_kernelILj256ELj32EliffffEEvbbT2_NS_24const_host_device_scalarIT6_EEPKT1_S7_PKS1_PKT3_PKT4_PT5_21rocsparse_index_base_b, .Lfunc_end20-_ZN9rocsparseL21csrmvt_general_kernelILj256ELj32EliffffEEvbbT2_NS_24const_host_device_scalarIT6_EEPKT1_S7_PKS1_PKT3_PKT4_PT5_21rocsparse_index_base_b
                                        ; -- End function
	.section	.AMDGPU.csdata,"",@progbits
; Kernel info:
; codeLenInByte = 904
; NumSgprs: 34
; NumVgprs: 19
; NumAgprs: 0
; TotalNumVgprs: 19
; ScratchSize: 0
; MemoryBound: 0
; FloatMode: 240
; IeeeMode: 1
; LDSByteSize: 0 bytes/workgroup (compile time only)
; SGPRBlocks: 4
; VGPRBlocks: 2
; NumSGPRsForWavesPerEU: 34
; NumVGPRsForWavesPerEU: 19
; AccumOffset: 20
; Occupancy: 8
; WaveLimiterHint : 1
; COMPUTE_PGM_RSRC2:SCRATCH_EN: 0
; COMPUTE_PGM_RSRC2:USER_SGPR: 6
; COMPUTE_PGM_RSRC2:TRAP_HANDLER: 0
; COMPUTE_PGM_RSRC2:TGID_X_EN: 1
; COMPUTE_PGM_RSRC2:TGID_Y_EN: 0
; COMPUTE_PGM_RSRC2:TGID_Z_EN: 0
; COMPUTE_PGM_RSRC2:TIDIG_COMP_CNT: 0
; COMPUTE_PGM_RSRC3_GFX90A:ACCUM_OFFSET: 4
; COMPUTE_PGM_RSRC3_GFX90A:TG_SPLIT: 0
	.section	.text._ZN9rocsparseL21csrmvt_general_kernelILj256ELj64EliffffEEvbbT2_NS_24const_host_device_scalarIT6_EEPKT1_S7_PKS1_PKT3_PKT4_PT5_21rocsparse_index_base_b,"axG",@progbits,_ZN9rocsparseL21csrmvt_general_kernelILj256ELj64EliffffEEvbbT2_NS_24const_host_device_scalarIT6_EEPKT1_S7_PKS1_PKT3_PKT4_PT5_21rocsparse_index_base_b,comdat
	.globl	_ZN9rocsparseL21csrmvt_general_kernelILj256ELj64EliffffEEvbbT2_NS_24const_host_device_scalarIT6_EEPKT1_S7_PKS1_PKT3_PKT4_PT5_21rocsparse_index_base_b ; -- Begin function _ZN9rocsparseL21csrmvt_general_kernelILj256ELj64EliffffEEvbbT2_NS_24const_host_device_scalarIT6_EEPKT1_S7_PKS1_PKT3_PKT4_PT5_21rocsparse_index_base_b
	.p2align	8
	.type	_ZN9rocsparseL21csrmvt_general_kernelILj256ELj64EliffffEEvbbT2_NS_24const_host_device_scalarIT6_EEPKT1_S7_PKS1_PKT3_PKT4_PT5_21rocsparse_index_base_b,@function
_ZN9rocsparseL21csrmvt_general_kernelILj256ELj64EliffffEEvbbT2_NS_24const_host_device_scalarIT6_EEPKT1_S7_PKS1_PKT3_PKT4_PT5_21rocsparse_index_base_b: ; @_ZN9rocsparseL21csrmvt_general_kernelILj256ELj64EliffffEEvbbT2_NS_24const_host_device_scalarIT6_EEPKT1_S7_PKS1_PKT3_PKT4_PT5_21rocsparse_index_base_b
; %bb.0:
	s_load_dwordx2 s[2:3], s[4:5], 0x40
	s_load_dwordx4 s[16:19], s[4:5], 0x8
	s_waitcnt lgkmcnt(0)
	s_bitcmp1_b32 s3, 0
	s_cselect_b64 s[0:1], -1, 0
	s_and_b64 vcc, exec, s[0:1]
	s_cbranch_vccnz .LBB21_2
; %bb.1:
	s_load_dword s16, s[16:17], 0x0
.LBB21_2:
	s_waitcnt lgkmcnt(0)
	v_cmp_eq_f32_e64 s[0:1], s16, 0
	s_and_b64 vcc, exec, s[0:1]
	s_cbranch_vccnz .LBB21_23
; %bb.3:
	s_load_dwordx2 s[20:21], s[4:5], 0x0
	s_load_dword s0, s[4:5], 0x48
	s_load_dwordx2 s[22:23], s[4:5], 0x38
	s_load_dwordx8 s[8:15], s[4:5], 0x18
	v_and_b32_e32 v1, 63, v0
	v_lshl_or_b32 v0, s6, 8, v0
	s_waitcnt lgkmcnt(0)
	s_and_b32 s1, s20, 1
	s_lshl_b32 s3, s0, 2
	v_lshrrev_b32_e32 v0, 6, v0
	s_cmp_eq_u32 s1, 0
	v_cmp_gt_i32_e64 s[0:1], s21, v0
	s_mov_b64 s[4:5], -1
	s_cbranch_scc0 .LBB21_13
; %bb.4:
	s_and_saveexec_b64 s[4:5], s[0:1]
	s_cbranch_execz .LBB21_12
; %bb.5:
	v_subrev_co_u32_e32 v12, vcc, s2, v1
	s_mov_b32 s17, 0
	v_subb_co_u32_e64 v13, s[6:7], 0, 0, vcc
	s_mov_b64 s[6:7], 0
	v_mov_b32_e32 v14, s19
	v_mov_b32_e32 v15, s9
	;; [unrolled: 1-line block ×4, first 2 shown]
	s_branch .LBB21_7
.LBB21_6:                               ;   in Loop: Header=BB21_7 Depth=1
	s_or_b64 exec, exec, s[24:25]
	v_add_u32_e32 v2, s3, v2
	v_cmp_le_i32_e32 vcc, s21, v2
	s_or_b64 s[6:7], vcc, s[6:7]
	s_andn2_b64 exec, exec, s[6:7]
	s_cbranch_execz .LBB21_12
.LBB21_7:                               ; =>This Loop Header: Depth=1
                                        ;     Child Loop BB21_9 Depth 2
                                        ;       Child Loop BB21_10 Depth 3
	v_ashrrev_i32_e32 v3, 31, v2
	v_lshlrev_b64 v[4:5], 3, v[2:3]
	v_add_co_u32_e32 v6, vcc, s8, v4
	v_addc_co_u32_e32 v7, vcc, v15, v5, vcc
	global_load_dwordx2 v[6:7], v[6:7], off
	v_add_co_u32_e32 v4, vcc, s18, v4
	v_addc_co_u32_e32 v5, vcc, v14, v5, vcc
	global_load_dwordx2 v[8:9], v[4:5], off
	s_waitcnt vmcnt(1)
	v_subrev_co_u32_e32 v4, vcc, s2, v6
	v_subb_co_u32_e32 v5, vcc, v7, v16, vcc
	s_waitcnt vmcnt(0)
	v_add_co_u32_e32 v6, vcc, v8, v12
	v_addc_co_u32_e32 v7, vcc, v9, v13, vcc
	v_cmp_lt_i64_e32 vcc, v[6:7], v[4:5]
	s_and_saveexec_b64 s[24:25], vcc
	s_cbranch_execz .LBB21_6
; %bb.8:                                ;   in Loop: Header=BB21_7 Depth=1
	v_lshlrev_b64 v[8:9], 2, v[2:3]
	v_mov_b32_e32 v3, s15
	v_add_co_u32_e32 v8, vcc, s14, v8
	v_addc_co_u32_e32 v9, vcc, v3, v9, vcc
	global_load_dword v3, v[8:9], off
	s_mov_b64 s[26:27], 0
	s_waitcnt vmcnt(0)
	v_mul_f32_e32 v3, s16, v3
.LBB21_9:                               ;   Parent Loop BB21_7 Depth=1
                                        ; =>  This Loop Header: Depth=2
                                        ;       Child Loop BB21_10 Depth 3
	v_lshlrev_b64 v[8:9], 2, v[6:7]
	v_mov_b32_e32 v11, s11
	v_add_co_u32_e32 v10, vcc, s10, v8
	v_addc_co_u32_e32 v11, vcc, v11, v9, vcc
	global_load_dword v10, v[10:11], off
	v_mov_b32_e32 v11, s13
	v_add_co_u32_e32 v8, vcc, s12, v8
	v_addc_co_u32_e32 v9, vcc, v11, v9, vcc
	global_load_dword v18, v[8:9], off
	v_mov_b32_e32 v17, s23
	s_mov_b64 s[28:29], 0
	s_waitcnt vmcnt(1)
	v_subrev_u32_e32 v8, s2, v10
	v_ashrrev_i32_e32 v9, 31, v8
	v_lshlrev_b64 v[8:9], 2, v[8:9]
	v_add_co_u32_e32 v8, vcc, s22, v8
	v_addc_co_u32_e32 v9, vcc, v17, v9, vcc
	global_load_dword v11, v[8:9], off
	s_waitcnt vmcnt(1)
	v_mul_f32_e32 v17, v3, v18
.LBB21_10:                              ;   Parent Loop BB21_7 Depth=1
                                        ;     Parent Loop BB21_9 Depth=2
                                        ; =>    This Inner Loop Header: Depth=3
	s_waitcnt vmcnt(0)
	v_add_f32_e32 v10, v11, v17
	global_atomic_cmpswap v10, v[8:9], v[10:11], off glc
	s_waitcnt vmcnt(0)
	v_cmp_eq_u32_e32 vcc, v10, v11
	s_or_b64 s[28:29], vcc, s[28:29]
	v_mov_b32_e32 v11, v10
	s_andn2_b64 exec, exec, s[28:29]
	s_cbranch_execnz .LBB21_10
; %bb.11:                               ;   in Loop: Header=BB21_9 Depth=2
	s_or_b64 exec, exec, s[28:29]
	v_add_co_u32_e32 v6, vcc, 64, v6
	v_addc_co_u32_e32 v7, vcc, 0, v7, vcc
	v_cmp_ge_i64_e32 vcc, v[6:7], v[4:5]
	s_or_b64 s[26:27], vcc, s[26:27]
	s_andn2_b64 exec, exec, s[26:27]
	s_cbranch_execnz .LBB21_9
	s_branch .LBB21_6
.LBB21_12:
	s_or_b64 exec, exec, s[4:5]
	s_mov_b64 s[4:5], 0
.LBB21_13:
	s_andn2_b64 vcc, exec, s[4:5]
	s_cbranch_vccnz .LBB21_23
; %bb.14:
	s_and_saveexec_b64 s[4:5], s[0:1]
	s_cbranch_execz .LBB21_23
; %bb.15:
	v_subrev_co_u32_e32 v10, vcc, s2, v1
	s_mov_b32 s4, 0
	v_subb_co_u32_e64 v11, s[0:1], 0, 0, vcc
	s_mov_b64 s[0:1], 0
	v_mov_b32_e32 v12, s19
	v_mov_b32_e32 v13, s9
	;; [unrolled: 1-line block ×3, first 2 shown]
	s_branch .LBB21_17
.LBB21_16:                              ;   in Loop: Header=BB21_17 Depth=1
	s_or_b64 exec, exec, s[4:5]
	v_add_u32_e32 v0, s3, v0
	v_cmp_le_i32_e32 vcc, s21, v0
	s_or_b64 s[0:1], vcc, s[0:1]
	s_andn2_b64 exec, exec, s[0:1]
	s_cbranch_execz .LBB21_23
.LBB21_17:                              ; =>This Loop Header: Depth=1
                                        ;     Child Loop BB21_20 Depth 2
                                        ;       Child Loop BB21_22 Depth 3
	v_ashrrev_i32_e32 v1, 31, v0
	v_lshlrev_b64 v[2:3], 3, v[0:1]
	v_add_co_u32_e32 v4, vcc, s8, v2
	v_addc_co_u32_e32 v5, vcc, v13, v3, vcc
	global_load_dwordx2 v[4:5], v[4:5], off
	v_add_co_u32_e32 v2, vcc, s18, v2
	v_addc_co_u32_e32 v3, vcc, v12, v3, vcc
	global_load_dwordx2 v[6:7], v[2:3], off
	s_waitcnt vmcnt(1)
	v_subrev_co_u32_e32 v2, vcc, s2, v4
	v_subb_co_u32_e32 v3, vcc, v5, v14, vcc
	s_waitcnt vmcnt(0)
	v_add_co_u32_e32 v4, vcc, v6, v10
	v_addc_co_u32_e32 v5, vcc, v7, v11, vcc
	v_cmp_lt_i64_e32 vcc, v[4:5], v[2:3]
	s_and_saveexec_b64 s[4:5], vcc
	s_cbranch_execz .LBB21_16
; %bb.18:                               ;   in Loop: Header=BB21_17 Depth=1
	v_lshlrev_b64 v[6:7], 2, v[0:1]
	v_mov_b32_e32 v1, s15
	v_add_co_u32_e32 v6, vcc, s14, v6
	v_addc_co_u32_e32 v7, vcc, v1, v7, vcc
	global_load_dword v1, v[6:7], off
	s_mov_b64 s[6:7], 0
	s_waitcnt vmcnt(0)
	v_mul_f32_e32 v1, s16, v1
	s_branch .LBB21_20
.LBB21_19:                              ;   in Loop: Header=BB21_20 Depth=2
	s_or_b64 exec, exec, s[24:25]
	v_add_co_u32_e32 v4, vcc, 64, v4
	v_addc_co_u32_e32 v5, vcc, 0, v5, vcc
	v_cmp_ge_i64_e32 vcc, v[4:5], v[2:3]
	s_or_b64 s[6:7], vcc, s[6:7]
	s_andn2_b64 exec, exec, s[6:7]
	s_cbranch_execz .LBB21_16
.LBB21_20:                              ;   Parent Loop BB21_17 Depth=1
                                        ; =>  This Loop Header: Depth=2
                                        ;       Child Loop BB21_22 Depth 3
	v_lshlrev_b64 v[6:7], 2, v[4:5]
	v_mov_b32_e32 v9, s11
	v_add_co_u32_e32 v8, vcc, s10, v6
	v_addc_co_u32_e32 v9, vcc, v9, v7, vcc
	global_load_dword v8, v[8:9], off
	s_waitcnt vmcnt(0)
	v_subrev_u32_e32 v8, s2, v8
	v_cmp_ne_u32_e32 vcc, v8, v0
	s_and_saveexec_b64 s[24:25], vcc
	s_cbranch_execz .LBB21_19
; %bb.21:                               ;   in Loop: Header=BB21_20 Depth=2
	v_mov_b32_e32 v9, s13
	v_add_co_u32_e32 v6, vcc, s12, v6
	v_addc_co_u32_e32 v7, vcc, v9, v7, vcc
	v_ashrrev_i32_e32 v9, 31, v8
	v_lshlrev_b64 v[8:9], 2, v[8:9]
	v_mov_b32_e32 v15, s23
	global_load_dword v16, v[6:7], off
	v_add_co_u32_e32 v6, vcc, s22, v8
	v_addc_co_u32_e32 v7, vcc, v15, v9, vcc
	global_load_dword v9, v[6:7], off
	s_mov_b64 s[26:27], 0
	s_waitcnt vmcnt(1)
	v_mul_f32_e32 v15, v1, v16
.LBB21_22:                              ;   Parent Loop BB21_17 Depth=1
                                        ;     Parent Loop BB21_20 Depth=2
                                        ; =>    This Inner Loop Header: Depth=3
	s_waitcnt vmcnt(0)
	v_add_f32_e32 v8, v9, v15
	global_atomic_cmpswap v8, v[6:7], v[8:9], off glc
	s_waitcnt vmcnt(0)
	v_cmp_eq_u32_e32 vcc, v8, v9
	s_or_b64 s[26:27], vcc, s[26:27]
	v_mov_b32_e32 v9, v8
	s_andn2_b64 exec, exec, s[26:27]
	s_cbranch_execnz .LBB21_22
	s_branch .LBB21_19
.LBB21_23:
	s_endpgm
	.section	.rodata,"a",@progbits
	.p2align	6, 0x0
	.amdhsa_kernel _ZN9rocsparseL21csrmvt_general_kernelILj256ELj64EliffffEEvbbT2_NS_24const_host_device_scalarIT6_EEPKT1_S7_PKS1_PKT3_PKT4_PT5_21rocsparse_index_base_b
		.amdhsa_group_segment_fixed_size 0
		.amdhsa_private_segment_fixed_size 0
		.amdhsa_kernarg_size 328
		.amdhsa_user_sgpr_count 6
		.amdhsa_user_sgpr_private_segment_buffer 1
		.amdhsa_user_sgpr_dispatch_ptr 0
		.amdhsa_user_sgpr_queue_ptr 0
		.amdhsa_user_sgpr_kernarg_segment_ptr 1
		.amdhsa_user_sgpr_dispatch_id 0
		.amdhsa_user_sgpr_flat_scratch_init 0
		.amdhsa_user_sgpr_kernarg_preload_length 0
		.amdhsa_user_sgpr_kernarg_preload_offset 0
		.amdhsa_user_sgpr_private_segment_size 0
		.amdhsa_uses_dynamic_stack 0
		.amdhsa_system_sgpr_private_segment_wavefront_offset 0
		.amdhsa_system_sgpr_workgroup_id_x 1
		.amdhsa_system_sgpr_workgroup_id_y 0
		.amdhsa_system_sgpr_workgroup_id_z 0
		.amdhsa_system_sgpr_workgroup_info 0
		.amdhsa_system_vgpr_workitem_id 0
		.amdhsa_next_free_vgpr 19
		.amdhsa_next_free_sgpr 30
		.amdhsa_accum_offset 20
		.amdhsa_reserve_vcc 1
		.amdhsa_reserve_flat_scratch 0
		.amdhsa_float_round_mode_32 0
		.amdhsa_float_round_mode_16_64 0
		.amdhsa_float_denorm_mode_32 3
		.amdhsa_float_denorm_mode_16_64 3
		.amdhsa_dx10_clamp 1
		.amdhsa_ieee_mode 1
		.amdhsa_fp16_overflow 0
		.amdhsa_tg_split 0
		.amdhsa_exception_fp_ieee_invalid_op 0
		.amdhsa_exception_fp_denorm_src 0
		.amdhsa_exception_fp_ieee_div_zero 0
		.amdhsa_exception_fp_ieee_overflow 0
		.amdhsa_exception_fp_ieee_underflow 0
		.amdhsa_exception_fp_ieee_inexact 0
		.amdhsa_exception_int_div_zero 0
	.end_amdhsa_kernel
	.section	.text._ZN9rocsparseL21csrmvt_general_kernelILj256ELj64EliffffEEvbbT2_NS_24const_host_device_scalarIT6_EEPKT1_S7_PKS1_PKT3_PKT4_PT5_21rocsparse_index_base_b,"axG",@progbits,_ZN9rocsparseL21csrmvt_general_kernelILj256ELj64EliffffEEvbbT2_NS_24const_host_device_scalarIT6_EEPKT1_S7_PKS1_PKT3_PKT4_PT5_21rocsparse_index_base_b,comdat
.Lfunc_end21:
	.size	_ZN9rocsparseL21csrmvt_general_kernelILj256ELj64EliffffEEvbbT2_NS_24const_host_device_scalarIT6_EEPKT1_S7_PKS1_PKT3_PKT4_PT5_21rocsparse_index_base_b, .Lfunc_end21-_ZN9rocsparseL21csrmvt_general_kernelILj256ELj64EliffffEEvbbT2_NS_24const_host_device_scalarIT6_EEPKT1_S7_PKS1_PKT3_PKT4_PT5_21rocsparse_index_base_b
                                        ; -- End function
	.section	.AMDGPU.csdata,"",@progbits
; Kernel info:
; codeLenInByte = 904
; NumSgprs: 34
; NumVgprs: 19
; NumAgprs: 0
; TotalNumVgprs: 19
; ScratchSize: 0
; MemoryBound: 0
; FloatMode: 240
; IeeeMode: 1
; LDSByteSize: 0 bytes/workgroup (compile time only)
; SGPRBlocks: 4
; VGPRBlocks: 2
; NumSGPRsForWavesPerEU: 34
; NumVGPRsForWavesPerEU: 19
; AccumOffset: 20
; Occupancy: 8
; WaveLimiterHint : 1
; COMPUTE_PGM_RSRC2:SCRATCH_EN: 0
; COMPUTE_PGM_RSRC2:USER_SGPR: 6
; COMPUTE_PGM_RSRC2:TRAP_HANDLER: 0
; COMPUTE_PGM_RSRC2:TGID_X_EN: 1
; COMPUTE_PGM_RSRC2:TGID_Y_EN: 0
; COMPUTE_PGM_RSRC2:TGID_Z_EN: 0
; COMPUTE_PGM_RSRC2:TIDIG_COMP_CNT: 0
; COMPUTE_PGM_RSRC3_GFX90A:ACCUM_OFFSET: 4
; COMPUTE_PGM_RSRC3_GFX90A:TG_SPLIT: 0
	.section	.text._ZN9rocsparseL21csrmvn_general_kernelILj256ELj2EllffffEEvbT2_NS_24const_host_device_scalarIT6_EEPKT1_S7_PKS1_PKT3_PKT4_S4_PT5_21rocsparse_index_base_b,"axG",@progbits,_ZN9rocsparseL21csrmvn_general_kernelILj256ELj2EllffffEEvbT2_NS_24const_host_device_scalarIT6_EEPKT1_S7_PKS1_PKT3_PKT4_S4_PT5_21rocsparse_index_base_b,comdat
	.globl	_ZN9rocsparseL21csrmvn_general_kernelILj256ELj2EllffffEEvbT2_NS_24const_host_device_scalarIT6_EEPKT1_S7_PKS1_PKT3_PKT4_S4_PT5_21rocsparse_index_base_b ; -- Begin function _ZN9rocsparseL21csrmvn_general_kernelILj256ELj2EllffffEEvbT2_NS_24const_host_device_scalarIT6_EEPKT1_S7_PKS1_PKT3_PKT4_S4_PT5_21rocsparse_index_base_b
	.p2align	8
	.type	_ZN9rocsparseL21csrmvn_general_kernelILj256ELj2EllffffEEvbT2_NS_24const_host_device_scalarIT6_EEPKT1_S7_PKS1_PKT3_PKT4_S4_PT5_21rocsparse_index_base_b,@function
_ZN9rocsparseL21csrmvn_general_kernelILj256ELj2EllffffEEvbT2_NS_24const_host_device_scalarIT6_EEPKT1_S7_PKS1_PKT3_PKT4_S4_PT5_21rocsparse_index_base_b: ; @_ZN9rocsparseL21csrmvn_general_kernelILj256ELj2EllffffEEvbT2_NS_24const_host_device_scalarIT6_EEPKT1_S7_PKS1_PKT3_PKT4_S4_PT5_21rocsparse_index_base_b
; %bb.0:
	s_load_dwordx2 s[20:21], s[4:5], 0x50
	s_load_dwordx2 s[22:23], s[4:5], 0x40
	s_load_dwordx8 s[8:15], s[4:5], 0x8
	s_waitcnt lgkmcnt(0)
	s_bitcmp1_b32 s21, 0
	s_cselect_b64 s[2:3], -1, 0
	s_xor_b64 s[0:1], s[2:3], -1
	s_and_b64 vcc, exec, s[2:3]
	s_cbranch_vccnz .LBB22_2
; %bb.1:
	s_load_dword s10, s[10:11], 0x0
.LBB22_2:
	s_andn2_b64 vcc, exec, s[0:1]
	s_cbranch_vccnz .LBB22_4
; %bb.3:
	s_load_dword s22, s[22:23], 0x0
.LBB22_4:
	s_waitcnt lgkmcnt(0)
	v_cmp_neq_f32_e64 s[0:1], s10, 0
	v_cmp_neq_f32_e64 s[2:3], s22, 1.0
	s_or_b64 s[0:1], s[0:1], s[2:3]
	s_andn2_b64 vcc, exec, s[0:1]
	s_cbranch_vccnz .LBB22_16
; %bb.5:
	v_lshl_or_b32 v1, s6, 8, v0
	v_lshrrev_b32_e32 v2, 1, v1
	v_mov_b32_e32 v3, 0
	v_cmp_gt_i64_e32 vcc, s[8:9], v[2:3]
	s_and_saveexec_b64 s[0:1], vcc
	s_cbranch_execz .LBB22_16
; %bb.6:
	s_load_dword s2, s[4:5], 0x58
	s_load_dwordx2 s[6:7], s[4:5], 0x48
	s_load_dwordx4 s[16:19], s[4:5], 0x28
	s_load_dwordx2 s[0:1], s[4:5], 0x38
	v_and_b32_e32 v0, 1, v0
	v_subrev_co_u32_e32 v10, vcc, s20, v0
	s_waitcnt lgkmcnt(0)
	s_lshl_b32 s11, s2, 7
	v_subb_co_u32_e64 v11, s[2:3], 0, 0, vcc
	s_ashr_i32 s3, s20, 31
	s_mov_b32 s2, s20
	s_lshl_b64 s[2:3], s[2:3], 2
	s_sub_u32 s21, s0, s2
	s_mov_b32 s23, 0
	s_subb_u32 s2, s1, s3
	v_cmp_eq_u32_e64 s[0:1], 1, v0
	s_mov_b64 s[4:5], 0
	v_mov_b32_e32 v12, s13
	v_mov_b32_e32 v13, s15
	;; [unrolled: 1-line block ×4, first 2 shown]
	v_cmp_neq_f32_e64 s[24:25], s22, 0
	v_mov_b32_e32 v16, s23
	s_branch .LBB22_9
.LBB22_7:                               ;   in Loop: Header=BB22_9 Depth=1
	global_store_dword v[0:1], v4, off
.LBB22_8:                               ;   in Loop: Header=BB22_9 Depth=1
	s_or_b64 exec, exec, s[26:27]
	v_add_co_u32_e32 v2, vcc, s11, v2
	v_addc_co_u32_e32 v3, vcc, v3, v16, vcc
	v_cmp_le_i64_e32 vcc, s[8:9], v[2:3]
	s_or_b64 s[4:5], vcc, s[4:5]
	s_andn2_b64 exec, exec, s[4:5]
	s_cbranch_execz .LBB22_16
.LBB22_9:                               ; =>This Loop Header: Depth=1
                                        ;     Child Loop BB22_11 Depth 2
	v_lshlrev_b64 v[0:1], 3, v[2:3]
	v_add_co_u32_e32 v4, vcc, s14, v0
	v_addc_co_u32_e32 v5, vcc, v13, v1, vcc
	global_load_dwordx2 v[4:5], v[4:5], off
	v_add_co_u32_e32 v0, vcc, s12, v0
	v_addc_co_u32_e32 v1, vcc, v12, v1, vcc
	global_load_dwordx2 v[6:7], v[0:1], off
	v_mov_b32_e32 v17, 0
	s_waitcnt vmcnt(1)
	v_subrev_co_u32_e32 v0, vcc, s20, v4
	v_subb_co_u32_e32 v1, vcc, v5, v14, vcc
	s_waitcnt vmcnt(0)
	v_add_co_u32_e32 v4, vcc, v6, v10
	v_addc_co_u32_e32 v5, vcc, v7, v11, vcc
	v_cmp_lt_i64_e32 vcc, v[4:5], v[0:1]
	s_and_saveexec_b64 s[2:3], vcc
	s_cbranch_execz .LBB22_13
; %bb.10:                               ;   in Loop: Header=BB22_9 Depth=1
	v_lshlrev_b64 v[6:7], 2, v[4:5]
	v_mov_b32_e32 v8, s19
	v_add_co_u32_e32 v6, vcc, s18, v6
	v_addc_co_u32_e32 v7, vcc, v8, v7, vcc
	v_lshlrev_b64 v[8:9], 3, v[4:5]
	v_mov_b32_e32 v17, s17
	v_add_co_u32_e32 v8, vcc, s16, v8
	v_addc_co_u32_e32 v9, vcc, v17, v9, vcc
	s_mov_b64 s[26:27], 0
	v_mov_b32_e32 v17, 0
.LBB22_11:                              ;   Parent Loop BB22_9 Depth=1
                                        ; =>  This Inner Loop Header: Depth=2
	global_load_dwordx2 v[18:19], v[8:9], off
	global_load_dword v20, v[6:7], off
	s_waitcnt vmcnt(1)
	v_lshlrev_b64 v[18:19], 2, v[18:19]
	v_add_co_u32_e32 v18, vcc, s21, v18
	v_addc_co_u32_e32 v19, vcc, v15, v19, vcc
	global_load_dword v18, v[18:19], off
	v_add_co_u32_e32 v4, vcc, 2, v4
	v_addc_co_u32_e32 v5, vcc, 0, v5, vcc
	v_add_co_u32_e32 v6, vcc, 8, v6
	v_addc_co_u32_e32 v7, vcc, 0, v7, vcc
	;; [unrolled: 2-line block ×3, first 2 shown]
	v_cmp_ge_i64_e32 vcc, v[4:5], v[0:1]
	s_waitcnt vmcnt(1)
	v_mul_f32_e32 v19, s10, v20
	s_or_b64 s[26:27], vcc, s[26:27]
	s_waitcnt vmcnt(0)
	v_fmac_f32_e32 v17, v19, v18
	s_andn2_b64 exec, exec, s[26:27]
	s_cbranch_execnz .LBB22_11
; %bb.12:                               ;   in Loop: Header=BB22_9 Depth=1
	s_or_b64 exec, exec, s[26:27]
.LBB22_13:                              ;   in Loop: Header=BB22_9 Depth=1
	s_or_b64 exec, exec, s[2:3]
	v_mov_b32_dpp v0, v17 row_shr:1 row_mask:0xf bank_mask:0xf
	s_and_saveexec_b64 s[26:27], s[0:1]
	s_cbranch_execz .LBB22_8
; %bb.14:                               ;   in Loop: Header=BB22_9 Depth=1
	v_add_f32_e32 v4, v17, v0
	v_lshlrev_b64 v[0:1], 2, v[2:3]
	v_mov_b32_e32 v5, s7
	v_add_co_u32_e64 v0, s[2:3], s6, v0
	s_andn2_b64 vcc, exec, s[24:25]
	v_addc_co_u32_e64 v1, s[2:3], v5, v1, s[2:3]
	s_cbranch_vccnz .LBB22_7
; %bb.15:                               ;   in Loop: Header=BB22_9 Depth=1
	global_load_dword v5, v[0:1], off
	s_waitcnt vmcnt(0)
	v_fmac_f32_e32 v4, s22, v5
	s_branch .LBB22_7
.LBB22_16:
	s_endpgm
	.section	.rodata,"a",@progbits
	.p2align	6, 0x0
	.amdhsa_kernel _ZN9rocsparseL21csrmvn_general_kernelILj256ELj2EllffffEEvbT2_NS_24const_host_device_scalarIT6_EEPKT1_S7_PKS1_PKT3_PKT4_S4_PT5_21rocsparse_index_base_b
		.amdhsa_group_segment_fixed_size 0
		.amdhsa_private_segment_fixed_size 0
		.amdhsa_kernarg_size 344
		.amdhsa_user_sgpr_count 6
		.amdhsa_user_sgpr_private_segment_buffer 1
		.amdhsa_user_sgpr_dispatch_ptr 0
		.amdhsa_user_sgpr_queue_ptr 0
		.amdhsa_user_sgpr_kernarg_segment_ptr 1
		.amdhsa_user_sgpr_dispatch_id 0
		.amdhsa_user_sgpr_flat_scratch_init 0
		.amdhsa_user_sgpr_kernarg_preload_length 0
		.amdhsa_user_sgpr_kernarg_preload_offset 0
		.amdhsa_user_sgpr_private_segment_size 0
		.amdhsa_uses_dynamic_stack 0
		.amdhsa_system_sgpr_private_segment_wavefront_offset 0
		.amdhsa_system_sgpr_workgroup_id_x 1
		.amdhsa_system_sgpr_workgroup_id_y 0
		.amdhsa_system_sgpr_workgroup_id_z 0
		.amdhsa_system_sgpr_workgroup_info 0
		.amdhsa_system_vgpr_workitem_id 0
		.amdhsa_next_free_vgpr 21
		.amdhsa_next_free_sgpr 28
		.amdhsa_accum_offset 24
		.amdhsa_reserve_vcc 1
		.amdhsa_reserve_flat_scratch 0
		.amdhsa_float_round_mode_32 0
		.amdhsa_float_round_mode_16_64 0
		.amdhsa_float_denorm_mode_32 3
		.amdhsa_float_denorm_mode_16_64 3
		.amdhsa_dx10_clamp 1
		.amdhsa_ieee_mode 1
		.amdhsa_fp16_overflow 0
		.amdhsa_tg_split 0
		.amdhsa_exception_fp_ieee_invalid_op 0
		.amdhsa_exception_fp_denorm_src 0
		.amdhsa_exception_fp_ieee_div_zero 0
		.amdhsa_exception_fp_ieee_overflow 0
		.amdhsa_exception_fp_ieee_underflow 0
		.amdhsa_exception_fp_ieee_inexact 0
		.amdhsa_exception_int_div_zero 0
	.end_amdhsa_kernel
	.section	.text._ZN9rocsparseL21csrmvn_general_kernelILj256ELj2EllffffEEvbT2_NS_24const_host_device_scalarIT6_EEPKT1_S7_PKS1_PKT3_PKT4_S4_PT5_21rocsparse_index_base_b,"axG",@progbits,_ZN9rocsparseL21csrmvn_general_kernelILj256ELj2EllffffEEvbT2_NS_24const_host_device_scalarIT6_EEPKT1_S7_PKS1_PKT3_PKT4_S4_PT5_21rocsparse_index_base_b,comdat
.Lfunc_end22:
	.size	_ZN9rocsparseL21csrmvn_general_kernelILj256ELj2EllffffEEvbT2_NS_24const_host_device_scalarIT6_EEPKT1_S7_PKS1_PKT3_PKT4_S4_PT5_21rocsparse_index_base_b, .Lfunc_end22-_ZN9rocsparseL21csrmvn_general_kernelILj256ELj2EllffffEEvbT2_NS_24const_host_device_scalarIT6_EEPKT1_S7_PKS1_PKT3_PKT4_S4_PT5_21rocsparse_index_base_b
                                        ; -- End function
	.section	.AMDGPU.csdata,"",@progbits
; Kernel info:
; codeLenInByte = 608
; NumSgprs: 32
; NumVgprs: 21
; NumAgprs: 0
; TotalNumVgprs: 21
; ScratchSize: 0
; MemoryBound: 0
; FloatMode: 240
; IeeeMode: 1
; LDSByteSize: 0 bytes/workgroup (compile time only)
; SGPRBlocks: 3
; VGPRBlocks: 2
; NumSGPRsForWavesPerEU: 32
; NumVGPRsForWavesPerEU: 21
; AccumOffset: 24
; Occupancy: 8
; WaveLimiterHint : 1
; COMPUTE_PGM_RSRC2:SCRATCH_EN: 0
; COMPUTE_PGM_RSRC2:USER_SGPR: 6
; COMPUTE_PGM_RSRC2:TRAP_HANDLER: 0
; COMPUTE_PGM_RSRC2:TGID_X_EN: 1
; COMPUTE_PGM_RSRC2:TGID_Y_EN: 0
; COMPUTE_PGM_RSRC2:TGID_Z_EN: 0
; COMPUTE_PGM_RSRC2:TIDIG_COMP_CNT: 0
; COMPUTE_PGM_RSRC3_GFX90A:ACCUM_OFFSET: 5
; COMPUTE_PGM_RSRC3_GFX90A:TG_SPLIT: 0
	.section	.text._ZN9rocsparseL21csrmvn_general_kernelILj256ELj4EllffffEEvbT2_NS_24const_host_device_scalarIT6_EEPKT1_S7_PKS1_PKT3_PKT4_S4_PT5_21rocsparse_index_base_b,"axG",@progbits,_ZN9rocsparseL21csrmvn_general_kernelILj256ELj4EllffffEEvbT2_NS_24const_host_device_scalarIT6_EEPKT1_S7_PKS1_PKT3_PKT4_S4_PT5_21rocsparse_index_base_b,comdat
	.globl	_ZN9rocsparseL21csrmvn_general_kernelILj256ELj4EllffffEEvbT2_NS_24const_host_device_scalarIT6_EEPKT1_S7_PKS1_PKT3_PKT4_S4_PT5_21rocsparse_index_base_b ; -- Begin function _ZN9rocsparseL21csrmvn_general_kernelILj256ELj4EllffffEEvbT2_NS_24const_host_device_scalarIT6_EEPKT1_S7_PKS1_PKT3_PKT4_S4_PT5_21rocsparse_index_base_b
	.p2align	8
	.type	_ZN9rocsparseL21csrmvn_general_kernelILj256ELj4EllffffEEvbT2_NS_24const_host_device_scalarIT6_EEPKT1_S7_PKS1_PKT3_PKT4_S4_PT5_21rocsparse_index_base_b,@function
_ZN9rocsparseL21csrmvn_general_kernelILj256ELj4EllffffEEvbT2_NS_24const_host_device_scalarIT6_EEPKT1_S7_PKS1_PKT3_PKT4_S4_PT5_21rocsparse_index_base_b: ; @_ZN9rocsparseL21csrmvn_general_kernelILj256ELj4EllffffEEvbT2_NS_24const_host_device_scalarIT6_EEPKT1_S7_PKS1_PKT3_PKT4_S4_PT5_21rocsparse_index_base_b
; %bb.0:
	s_load_dwordx2 s[20:21], s[4:5], 0x50
	s_load_dwordx2 s[22:23], s[4:5], 0x40
	s_load_dwordx8 s[8:15], s[4:5], 0x8
	s_waitcnt lgkmcnt(0)
	s_bitcmp1_b32 s21, 0
	s_cselect_b64 s[2:3], -1, 0
	s_xor_b64 s[0:1], s[2:3], -1
	s_and_b64 vcc, exec, s[2:3]
	s_cbranch_vccnz .LBB23_2
; %bb.1:
	s_load_dword s10, s[10:11], 0x0
.LBB23_2:
	s_andn2_b64 vcc, exec, s[0:1]
	s_cbranch_vccnz .LBB23_4
; %bb.3:
	s_load_dword s22, s[22:23], 0x0
.LBB23_4:
	s_waitcnt lgkmcnt(0)
	v_cmp_neq_f32_e64 s[0:1], s10, 0
	v_cmp_neq_f32_e64 s[2:3], s22, 1.0
	s_or_b64 s[0:1], s[0:1], s[2:3]
	s_andn2_b64 vcc, exec, s[0:1]
	s_cbranch_vccnz .LBB23_16
; %bb.5:
	v_lshl_or_b32 v1, s6, 8, v0
	v_lshrrev_b32_e32 v2, 2, v1
	v_mov_b32_e32 v3, 0
	v_cmp_gt_i64_e32 vcc, s[8:9], v[2:3]
	s_and_saveexec_b64 s[0:1], vcc
	s_cbranch_execz .LBB23_16
; %bb.6:
	s_load_dword s2, s[4:5], 0x58
	s_load_dwordx2 s[6:7], s[4:5], 0x48
	s_load_dwordx4 s[16:19], s[4:5], 0x28
	s_load_dwordx2 s[0:1], s[4:5], 0x38
	v_and_b32_e32 v0, 3, v0
	v_subrev_co_u32_e32 v10, vcc, s20, v0
	s_waitcnt lgkmcnt(0)
	s_lshl_b32 s21, s2, 6
	v_subb_co_u32_e64 v11, s[2:3], 0, 0, vcc
	s_ashr_i32 s3, s20, 31
	s_mov_b32 s2, s20
	s_lshl_b64 s[2:3], s[2:3], 2
	s_sub_u32 s23, s0, s2
	s_mov_b32 s11, 0
	s_subb_u32 s2, s1, s3
	v_cmp_eq_u32_e64 s[0:1], 3, v0
	s_mov_b64 s[4:5], 0
	v_mov_b32_e32 v12, s13
	v_mov_b32_e32 v13, s15
	;; [unrolled: 1-line block ×4, first 2 shown]
	v_cmp_neq_f32_e64 s[24:25], s22, 0
	s_branch .LBB23_9
.LBB23_7:                               ;   in Loop: Header=BB23_9 Depth=1
	global_store_dword v[0:1], v4, off
.LBB23_8:                               ;   in Loop: Header=BB23_9 Depth=1
	s_or_b64 exec, exec, s[26:27]
	v_mov_b32_e32 v0, s11
	v_add_co_u32_e32 v2, vcc, s21, v2
	v_addc_co_u32_e32 v3, vcc, v3, v0, vcc
	v_cmp_le_i64_e32 vcc, s[8:9], v[2:3]
	s_or_b64 s[4:5], vcc, s[4:5]
	s_andn2_b64 exec, exec, s[4:5]
	s_cbranch_execz .LBB23_16
.LBB23_9:                               ; =>This Loop Header: Depth=1
                                        ;     Child Loop BB23_11 Depth 2
	v_lshlrev_b64 v[0:1], 3, v[2:3]
	v_add_co_u32_e32 v4, vcc, s14, v0
	v_addc_co_u32_e32 v5, vcc, v13, v1, vcc
	global_load_dwordx2 v[4:5], v[4:5], off
	v_add_co_u32_e32 v0, vcc, s12, v0
	v_addc_co_u32_e32 v1, vcc, v12, v1, vcc
	global_load_dwordx2 v[6:7], v[0:1], off
	v_mov_b32_e32 v16, 0
	s_waitcnt vmcnt(1)
	v_subrev_co_u32_e32 v0, vcc, s20, v4
	v_subb_co_u32_e32 v1, vcc, v5, v14, vcc
	s_waitcnt vmcnt(0)
	v_add_co_u32_e32 v4, vcc, v6, v10
	v_addc_co_u32_e32 v5, vcc, v7, v11, vcc
	v_cmp_lt_i64_e32 vcc, v[4:5], v[0:1]
	s_and_saveexec_b64 s[2:3], vcc
	s_cbranch_execz .LBB23_13
; %bb.10:                               ;   in Loop: Header=BB23_9 Depth=1
	v_lshlrev_b64 v[6:7], 2, v[4:5]
	v_mov_b32_e32 v8, s19
	v_add_co_u32_e32 v6, vcc, s18, v6
	v_addc_co_u32_e32 v7, vcc, v8, v7, vcc
	v_lshlrev_b64 v[8:9], 3, v[4:5]
	v_mov_b32_e32 v16, s17
	v_add_co_u32_e32 v8, vcc, s16, v8
	v_addc_co_u32_e32 v9, vcc, v16, v9, vcc
	s_mov_b64 s[26:27], 0
	v_mov_b32_e32 v16, 0
.LBB23_11:                              ;   Parent Loop BB23_9 Depth=1
                                        ; =>  This Inner Loop Header: Depth=2
	global_load_dwordx2 v[18:19], v[8:9], off
	global_load_dword v17, v[6:7], off
	s_waitcnt vmcnt(1)
	v_lshlrev_b64 v[18:19], 2, v[18:19]
	v_add_co_u32_e32 v18, vcc, s23, v18
	v_addc_co_u32_e32 v19, vcc, v15, v19, vcc
	global_load_dword v18, v[18:19], off
	v_add_co_u32_e32 v4, vcc, 4, v4
	v_addc_co_u32_e32 v5, vcc, 0, v5, vcc
	v_add_co_u32_e32 v6, vcc, 16, v6
	v_addc_co_u32_e32 v7, vcc, 0, v7, vcc
	v_add_co_u32_e32 v8, vcc, 32, v8
	v_addc_co_u32_e32 v9, vcc, 0, v9, vcc
	v_cmp_ge_i64_e32 vcc, v[4:5], v[0:1]
	s_waitcnt vmcnt(1)
	v_mul_f32_e32 v17, s10, v17
	s_or_b64 s[26:27], vcc, s[26:27]
	s_waitcnt vmcnt(0)
	v_fmac_f32_e32 v16, v17, v18
	s_andn2_b64 exec, exec, s[26:27]
	s_cbranch_execnz .LBB23_11
; %bb.12:                               ;   in Loop: Header=BB23_9 Depth=1
	s_or_b64 exec, exec, s[26:27]
.LBB23_13:                              ;   in Loop: Header=BB23_9 Depth=1
	s_or_b64 exec, exec, s[2:3]
	v_mov_b32_dpp v0, v16 row_shr:1 row_mask:0xf bank_mask:0xf
	v_add_f32_e32 v0, v16, v0
	s_nop 1
	v_mov_b32_dpp v1, v0 row_shr:2 row_mask:0xf bank_mask:0xf
	s_and_saveexec_b64 s[26:27], s[0:1]
	s_cbranch_execz .LBB23_8
; %bb.14:                               ;   in Loop: Header=BB23_9 Depth=1
	v_add_f32_e32 v4, v0, v1
	v_lshlrev_b64 v[0:1], 2, v[2:3]
	v_mov_b32_e32 v5, s7
	v_add_co_u32_e64 v0, s[2:3], s6, v0
	s_andn2_b64 vcc, exec, s[24:25]
	v_addc_co_u32_e64 v1, s[2:3], v5, v1, s[2:3]
	s_cbranch_vccnz .LBB23_7
; %bb.15:                               ;   in Loop: Header=BB23_9 Depth=1
	global_load_dword v5, v[0:1], off
	s_waitcnt vmcnt(0)
	v_fmac_f32_e32 v4, s22, v5
	s_branch .LBB23_7
.LBB23_16:
	s_endpgm
	.section	.rodata,"a",@progbits
	.p2align	6, 0x0
	.amdhsa_kernel _ZN9rocsparseL21csrmvn_general_kernelILj256ELj4EllffffEEvbT2_NS_24const_host_device_scalarIT6_EEPKT1_S7_PKS1_PKT3_PKT4_S4_PT5_21rocsparse_index_base_b
		.amdhsa_group_segment_fixed_size 0
		.amdhsa_private_segment_fixed_size 0
		.amdhsa_kernarg_size 344
		.amdhsa_user_sgpr_count 6
		.amdhsa_user_sgpr_private_segment_buffer 1
		.amdhsa_user_sgpr_dispatch_ptr 0
		.amdhsa_user_sgpr_queue_ptr 0
		.amdhsa_user_sgpr_kernarg_segment_ptr 1
		.amdhsa_user_sgpr_dispatch_id 0
		.amdhsa_user_sgpr_flat_scratch_init 0
		.amdhsa_user_sgpr_kernarg_preload_length 0
		.amdhsa_user_sgpr_kernarg_preload_offset 0
		.amdhsa_user_sgpr_private_segment_size 0
		.amdhsa_uses_dynamic_stack 0
		.amdhsa_system_sgpr_private_segment_wavefront_offset 0
		.amdhsa_system_sgpr_workgroup_id_x 1
		.amdhsa_system_sgpr_workgroup_id_y 0
		.amdhsa_system_sgpr_workgroup_id_z 0
		.amdhsa_system_sgpr_workgroup_info 0
		.amdhsa_system_vgpr_workitem_id 0
		.amdhsa_next_free_vgpr 20
		.amdhsa_next_free_sgpr 28
		.amdhsa_accum_offset 20
		.amdhsa_reserve_vcc 1
		.amdhsa_reserve_flat_scratch 0
		.amdhsa_float_round_mode_32 0
		.amdhsa_float_round_mode_16_64 0
		.amdhsa_float_denorm_mode_32 3
		.amdhsa_float_denorm_mode_16_64 3
		.amdhsa_dx10_clamp 1
		.amdhsa_ieee_mode 1
		.amdhsa_fp16_overflow 0
		.amdhsa_tg_split 0
		.amdhsa_exception_fp_ieee_invalid_op 0
		.amdhsa_exception_fp_denorm_src 0
		.amdhsa_exception_fp_ieee_div_zero 0
		.amdhsa_exception_fp_ieee_overflow 0
		.amdhsa_exception_fp_ieee_underflow 0
		.amdhsa_exception_fp_ieee_inexact 0
		.amdhsa_exception_int_div_zero 0
	.end_amdhsa_kernel
	.section	.text._ZN9rocsparseL21csrmvn_general_kernelILj256ELj4EllffffEEvbT2_NS_24const_host_device_scalarIT6_EEPKT1_S7_PKS1_PKT3_PKT4_S4_PT5_21rocsparse_index_base_b,"axG",@progbits,_ZN9rocsparseL21csrmvn_general_kernelILj256ELj4EllffffEEvbT2_NS_24const_host_device_scalarIT6_EEPKT1_S7_PKS1_PKT3_PKT4_S4_PT5_21rocsparse_index_base_b,comdat
.Lfunc_end23:
	.size	_ZN9rocsparseL21csrmvn_general_kernelILj256ELj4EllffffEEvbT2_NS_24const_host_device_scalarIT6_EEPKT1_S7_PKS1_PKT3_PKT4_S4_PT5_21rocsparse_index_base_b, .Lfunc_end23-_ZN9rocsparseL21csrmvn_general_kernelILj256ELj4EllffffEEvbT2_NS_24const_host_device_scalarIT6_EEPKT1_S7_PKS1_PKT3_PKT4_S4_PT5_21rocsparse_index_base_b
                                        ; -- End function
	.section	.AMDGPU.csdata,"",@progbits
; Kernel info:
; codeLenInByte = 624
; NumSgprs: 32
; NumVgprs: 20
; NumAgprs: 0
; TotalNumVgprs: 20
; ScratchSize: 0
; MemoryBound: 0
; FloatMode: 240
; IeeeMode: 1
; LDSByteSize: 0 bytes/workgroup (compile time only)
; SGPRBlocks: 3
; VGPRBlocks: 2
; NumSGPRsForWavesPerEU: 32
; NumVGPRsForWavesPerEU: 20
; AccumOffset: 20
; Occupancy: 8
; WaveLimiterHint : 1
; COMPUTE_PGM_RSRC2:SCRATCH_EN: 0
; COMPUTE_PGM_RSRC2:USER_SGPR: 6
; COMPUTE_PGM_RSRC2:TRAP_HANDLER: 0
; COMPUTE_PGM_RSRC2:TGID_X_EN: 1
; COMPUTE_PGM_RSRC2:TGID_Y_EN: 0
; COMPUTE_PGM_RSRC2:TGID_Z_EN: 0
; COMPUTE_PGM_RSRC2:TIDIG_COMP_CNT: 0
; COMPUTE_PGM_RSRC3_GFX90A:ACCUM_OFFSET: 4
; COMPUTE_PGM_RSRC3_GFX90A:TG_SPLIT: 0
	.section	.text._ZN9rocsparseL21csrmvn_general_kernelILj256ELj8EllffffEEvbT2_NS_24const_host_device_scalarIT6_EEPKT1_S7_PKS1_PKT3_PKT4_S4_PT5_21rocsparse_index_base_b,"axG",@progbits,_ZN9rocsparseL21csrmvn_general_kernelILj256ELj8EllffffEEvbT2_NS_24const_host_device_scalarIT6_EEPKT1_S7_PKS1_PKT3_PKT4_S4_PT5_21rocsparse_index_base_b,comdat
	.globl	_ZN9rocsparseL21csrmvn_general_kernelILj256ELj8EllffffEEvbT2_NS_24const_host_device_scalarIT6_EEPKT1_S7_PKS1_PKT3_PKT4_S4_PT5_21rocsparse_index_base_b ; -- Begin function _ZN9rocsparseL21csrmvn_general_kernelILj256ELj8EllffffEEvbT2_NS_24const_host_device_scalarIT6_EEPKT1_S7_PKS1_PKT3_PKT4_S4_PT5_21rocsparse_index_base_b
	.p2align	8
	.type	_ZN9rocsparseL21csrmvn_general_kernelILj256ELj8EllffffEEvbT2_NS_24const_host_device_scalarIT6_EEPKT1_S7_PKS1_PKT3_PKT4_S4_PT5_21rocsparse_index_base_b,@function
_ZN9rocsparseL21csrmvn_general_kernelILj256ELj8EllffffEEvbT2_NS_24const_host_device_scalarIT6_EEPKT1_S7_PKS1_PKT3_PKT4_S4_PT5_21rocsparse_index_base_b: ; @_ZN9rocsparseL21csrmvn_general_kernelILj256ELj8EllffffEEvbT2_NS_24const_host_device_scalarIT6_EEPKT1_S7_PKS1_PKT3_PKT4_S4_PT5_21rocsparse_index_base_b
; %bb.0:
	s_load_dwordx2 s[20:21], s[4:5], 0x50
	s_load_dwordx2 s[22:23], s[4:5], 0x40
	s_load_dwordx8 s[8:15], s[4:5], 0x8
	s_waitcnt lgkmcnt(0)
	s_bitcmp1_b32 s21, 0
	s_cselect_b64 s[2:3], -1, 0
	s_xor_b64 s[0:1], s[2:3], -1
	s_and_b64 vcc, exec, s[2:3]
	s_cbranch_vccnz .LBB24_2
; %bb.1:
	s_load_dword s10, s[10:11], 0x0
.LBB24_2:
	s_andn2_b64 vcc, exec, s[0:1]
	s_cbranch_vccnz .LBB24_4
; %bb.3:
	s_load_dword s22, s[22:23], 0x0
.LBB24_4:
	s_waitcnt lgkmcnt(0)
	v_cmp_neq_f32_e64 s[0:1], s10, 0
	v_cmp_neq_f32_e64 s[2:3], s22, 1.0
	s_or_b64 s[0:1], s[0:1], s[2:3]
	s_andn2_b64 vcc, exec, s[0:1]
	s_cbranch_vccnz .LBB24_16
; %bb.5:
	v_lshl_or_b32 v1, s6, 8, v0
	v_lshrrev_b32_e32 v2, 3, v1
	v_mov_b32_e32 v3, 0
	v_cmp_gt_i64_e32 vcc, s[8:9], v[2:3]
	s_and_saveexec_b64 s[0:1], vcc
	s_cbranch_execz .LBB24_16
; %bb.6:
	s_load_dword s2, s[4:5], 0x58
	s_load_dwordx2 s[6:7], s[4:5], 0x48
	s_load_dwordx4 s[16:19], s[4:5], 0x28
	s_load_dwordx2 s[0:1], s[4:5], 0x38
	v_and_b32_e32 v0, 7, v0
	v_subrev_co_u32_e32 v10, vcc, s20, v0
	s_waitcnt lgkmcnt(0)
	s_lshl_b32 s21, s2, 5
	v_subb_co_u32_e64 v11, s[2:3], 0, 0, vcc
	s_ashr_i32 s3, s20, 31
	s_mov_b32 s2, s20
	s_lshl_b64 s[2:3], s[2:3], 2
	s_sub_u32 s23, s0, s2
	s_subb_u32 s2, s1, s3
	v_mov_b32_e32 v15, s2
	v_cmp_neq_f32_e64 s[2:3], s22, 0
	s_mov_b32 s11, 0
	v_cmp_eq_u32_e64 s[0:1], 7, v0
	v_cndmask_b32_e64 v0, 0, 1, s[2:3]
	s_mov_b64 s[24:25], 0
	v_mov_b32_e32 v12, s13
	v_mov_b32_e32 v13, s15
	v_mov_b32_e32 v14, s11
	v_cmp_ne_u32_e64 s[2:3], 1, v0
	s_branch .LBB24_9
.LBB24_7:                               ;   in Loop: Header=BB24_9 Depth=1
	global_store_dword v[0:1], v4, off
.LBB24_8:                               ;   in Loop: Header=BB24_9 Depth=1
	s_or_b64 exec, exec, s[26:27]
	v_mov_b32_e32 v0, s11
	v_add_co_u32_e32 v2, vcc, s21, v2
	v_addc_co_u32_e32 v3, vcc, v3, v0, vcc
	v_cmp_le_i64_e32 vcc, s[8:9], v[2:3]
	s_or_b64 s[24:25], vcc, s[24:25]
	s_andn2_b64 exec, exec, s[24:25]
	s_cbranch_execz .LBB24_16
.LBB24_9:                               ; =>This Loop Header: Depth=1
                                        ;     Child Loop BB24_11 Depth 2
	v_lshlrev_b64 v[0:1], 3, v[2:3]
	v_add_co_u32_e32 v4, vcc, s14, v0
	v_addc_co_u32_e32 v5, vcc, v13, v1, vcc
	global_load_dwordx2 v[4:5], v[4:5], off
	v_add_co_u32_e32 v0, vcc, s12, v0
	v_addc_co_u32_e32 v1, vcc, v12, v1, vcc
	global_load_dwordx2 v[6:7], v[0:1], off
	v_mov_b32_e32 v16, 0
	s_waitcnt vmcnt(1)
	v_subrev_co_u32_e32 v0, vcc, s20, v4
	v_subb_co_u32_e32 v1, vcc, v5, v14, vcc
	s_waitcnt vmcnt(0)
	v_add_co_u32_e32 v4, vcc, v6, v10
	v_addc_co_u32_e32 v5, vcc, v7, v11, vcc
	v_cmp_lt_i64_e32 vcc, v[4:5], v[0:1]
	s_and_saveexec_b64 s[4:5], vcc
	s_cbranch_execz .LBB24_13
; %bb.10:                               ;   in Loop: Header=BB24_9 Depth=1
	v_lshlrev_b64 v[6:7], 2, v[4:5]
	v_mov_b32_e32 v8, s19
	v_add_co_u32_e32 v6, vcc, s18, v6
	v_addc_co_u32_e32 v7, vcc, v8, v7, vcc
	v_lshlrev_b64 v[8:9], 3, v[4:5]
	v_mov_b32_e32 v16, s17
	v_add_co_u32_e32 v8, vcc, s16, v8
	v_addc_co_u32_e32 v9, vcc, v16, v9, vcc
	s_mov_b64 s[26:27], 0
	v_mov_b32_e32 v16, 0
.LBB24_11:                              ;   Parent Loop BB24_9 Depth=1
                                        ; =>  This Inner Loop Header: Depth=2
	global_load_dwordx2 v[18:19], v[8:9], off
	global_load_dword v17, v[6:7], off
	s_waitcnt vmcnt(1)
	v_lshlrev_b64 v[18:19], 2, v[18:19]
	v_add_co_u32_e32 v18, vcc, s23, v18
	v_addc_co_u32_e32 v19, vcc, v15, v19, vcc
	global_load_dword v18, v[18:19], off
	v_add_co_u32_e32 v4, vcc, 8, v4
	v_addc_co_u32_e32 v5, vcc, 0, v5, vcc
	v_add_co_u32_e32 v6, vcc, 32, v6
	v_addc_co_u32_e32 v7, vcc, 0, v7, vcc
	;; [unrolled: 2-line block ×3, first 2 shown]
	v_cmp_ge_i64_e32 vcc, v[4:5], v[0:1]
	s_waitcnt vmcnt(1)
	v_mul_f32_e32 v17, s10, v17
	s_or_b64 s[26:27], vcc, s[26:27]
	s_waitcnt vmcnt(0)
	v_fmac_f32_e32 v16, v17, v18
	s_andn2_b64 exec, exec, s[26:27]
	s_cbranch_execnz .LBB24_11
; %bb.12:                               ;   in Loop: Header=BB24_9 Depth=1
	s_or_b64 exec, exec, s[26:27]
.LBB24_13:                              ;   in Loop: Header=BB24_9 Depth=1
	s_or_b64 exec, exec, s[4:5]
	v_mov_b32_dpp v0, v16 row_shr:1 row_mask:0xf bank_mask:0xf
	v_add_f32_e32 v0, v16, v0
	s_nop 1
	v_mov_b32_dpp v1, v0 row_shr:2 row_mask:0xf bank_mask:0xf
	v_add_f32_e32 v0, v0, v1
	s_nop 1
	v_mov_b32_dpp v1, v0 row_shr:4 row_mask:0xf bank_mask:0xe
	s_and_saveexec_b64 s[26:27], s[0:1]
	s_cbranch_execz .LBB24_8
; %bb.14:                               ;   in Loop: Header=BB24_9 Depth=1
	v_add_f32_e32 v4, v0, v1
	v_lshlrev_b64 v[0:1], 2, v[2:3]
	v_mov_b32_e32 v5, s7
	v_add_co_u32_e64 v0, s[4:5], s6, v0
	s_and_b64 vcc, exec, s[2:3]
	v_addc_co_u32_e64 v1, s[4:5], v5, v1, s[4:5]
	s_cbranch_vccnz .LBB24_7
; %bb.15:                               ;   in Loop: Header=BB24_9 Depth=1
	global_load_dword v5, v[0:1], off
	s_waitcnt vmcnt(0)
	v_fmac_f32_e32 v4, s22, v5
	s_branch .LBB24_7
.LBB24_16:
	s_endpgm
	.section	.rodata,"a",@progbits
	.p2align	6, 0x0
	.amdhsa_kernel _ZN9rocsparseL21csrmvn_general_kernelILj256ELj8EllffffEEvbT2_NS_24const_host_device_scalarIT6_EEPKT1_S7_PKS1_PKT3_PKT4_S4_PT5_21rocsparse_index_base_b
		.amdhsa_group_segment_fixed_size 0
		.amdhsa_private_segment_fixed_size 0
		.amdhsa_kernarg_size 344
		.amdhsa_user_sgpr_count 6
		.amdhsa_user_sgpr_private_segment_buffer 1
		.amdhsa_user_sgpr_dispatch_ptr 0
		.amdhsa_user_sgpr_queue_ptr 0
		.amdhsa_user_sgpr_kernarg_segment_ptr 1
		.amdhsa_user_sgpr_dispatch_id 0
		.amdhsa_user_sgpr_flat_scratch_init 0
		.amdhsa_user_sgpr_kernarg_preload_length 0
		.amdhsa_user_sgpr_kernarg_preload_offset 0
		.amdhsa_user_sgpr_private_segment_size 0
		.amdhsa_uses_dynamic_stack 0
		.amdhsa_system_sgpr_private_segment_wavefront_offset 0
		.amdhsa_system_sgpr_workgroup_id_x 1
		.amdhsa_system_sgpr_workgroup_id_y 0
		.amdhsa_system_sgpr_workgroup_id_z 0
		.amdhsa_system_sgpr_workgroup_info 0
		.amdhsa_system_vgpr_workitem_id 0
		.amdhsa_next_free_vgpr 20
		.amdhsa_next_free_sgpr 28
		.amdhsa_accum_offset 20
		.amdhsa_reserve_vcc 1
		.amdhsa_reserve_flat_scratch 0
		.amdhsa_float_round_mode_32 0
		.amdhsa_float_round_mode_16_64 0
		.amdhsa_float_denorm_mode_32 3
		.amdhsa_float_denorm_mode_16_64 3
		.amdhsa_dx10_clamp 1
		.amdhsa_ieee_mode 1
		.amdhsa_fp16_overflow 0
		.amdhsa_tg_split 0
		.amdhsa_exception_fp_ieee_invalid_op 0
		.amdhsa_exception_fp_denorm_src 0
		.amdhsa_exception_fp_ieee_div_zero 0
		.amdhsa_exception_fp_ieee_overflow 0
		.amdhsa_exception_fp_ieee_underflow 0
		.amdhsa_exception_fp_ieee_inexact 0
		.amdhsa_exception_int_div_zero 0
	.end_amdhsa_kernel
	.section	.text._ZN9rocsparseL21csrmvn_general_kernelILj256ELj8EllffffEEvbT2_NS_24const_host_device_scalarIT6_EEPKT1_S7_PKS1_PKT3_PKT4_S4_PT5_21rocsparse_index_base_b,"axG",@progbits,_ZN9rocsparseL21csrmvn_general_kernelILj256ELj8EllffffEEvbT2_NS_24const_host_device_scalarIT6_EEPKT1_S7_PKS1_PKT3_PKT4_S4_PT5_21rocsparse_index_base_b,comdat
.Lfunc_end24:
	.size	_ZN9rocsparseL21csrmvn_general_kernelILj256ELj8EllffffEEvbT2_NS_24const_host_device_scalarIT6_EEPKT1_S7_PKS1_PKT3_PKT4_S4_PT5_21rocsparse_index_base_b, .Lfunc_end24-_ZN9rocsparseL21csrmvn_general_kernelILj256ELj8EllffffEEvbT2_NS_24const_host_device_scalarIT6_EEPKT1_S7_PKS1_PKT3_PKT4_S4_PT5_21rocsparse_index_base_b
                                        ; -- End function
	.section	.AMDGPU.csdata,"",@progbits
; Kernel info:
; codeLenInByte = 656
; NumSgprs: 32
; NumVgprs: 20
; NumAgprs: 0
; TotalNumVgprs: 20
; ScratchSize: 0
; MemoryBound: 0
; FloatMode: 240
; IeeeMode: 1
; LDSByteSize: 0 bytes/workgroup (compile time only)
; SGPRBlocks: 3
; VGPRBlocks: 2
; NumSGPRsForWavesPerEU: 32
; NumVGPRsForWavesPerEU: 20
; AccumOffset: 20
; Occupancy: 8
; WaveLimiterHint : 1
; COMPUTE_PGM_RSRC2:SCRATCH_EN: 0
; COMPUTE_PGM_RSRC2:USER_SGPR: 6
; COMPUTE_PGM_RSRC2:TRAP_HANDLER: 0
; COMPUTE_PGM_RSRC2:TGID_X_EN: 1
; COMPUTE_PGM_RSRC2:TGID_Y_EN: 0
; COMPUTE_PGM_RSRC2:TGID_Z_EN: 0
; COMPUTE_PGM_RSRC2:TIDIG_COMP_CNT: 0
; COMPUTE_PGM_RSRC3_GFX90A:ACCUM_OFFSET: 4
; COMPUTE_PGM_RSRC3_GFX90A:TG_SPLIT: 0
	.section	.text._ZN9rocsparseL21csrmvn_general_kernelILj256ELj16EllffffEEvbT2_NS_24const_host_device_scalarIT6_EEPKT1_S7_PKS1_PKT3_PKT4_S4_PT5_21rocsparse_index_base_b,"axG",@progbits,_ZN9rocsparseL21csrmvn_general_kernelILj256ELj16EllffffEEvbT2_NS_24const_host_device_scalarIT6_EEPKT1_S7_PKS1_PKT3_PKT4_S4_PT5_21rocsparse_index_base_b,comdat
	.globl	_ZN9rocsparseL21csrmvn_general_kernelILj256ELj16EllffffEEvbT2_NS_24const_host_device_scalarIT6_EEPKT1_S7_PKS1_PKT3_PKT4_S4_PT5_21rocsparse_index_base_b ; -- Begin function _ZN9rocsparseL21csrmvn_general_kernelILj256ELj16EllffffEEvbT2_NS_24const_host_device_scalarIT6_EEPKT1_S7_PKS1_PKT3_PKT4_S4_PT5_21rocsparse_index_base_b
	.p2align	8
	.type	_ZN9rocsparseL21csrmvn_general_kernelILj256ELj16EllffffEEvbT2_NS_24const_host_device_scalarIT6_EEPKT1_S7_PKS1_PKT3_PKT4_S4_PT5_21rocsparse_index_base_b,@function
_ZN9rocsparseL21csrmvn_general_kernelILj256ELj16EllffffEEvbT2_NS_24const_host_device_scalarIT6_EEPKT1_S7_PKS1_PKT3_PKT4_S4_PT5_21rocsparse_index_base_b: ; @_ZN9rocsparseL21csrmvn_general_kernelILj256ELj16EllffffEEvbT2_NS_24const_host_device_scalarIT6_EEPKT1_S7_PKS1_PKT3_PKT4_S4_PT5_21rocsparse_index_base_b
; %bb.0:
	s_load_dwordx2 s[20:21], s[4:5], 0x50
	s_load_dwordx2 s[22:23], s[4:5], 0x40
	s_load_dwordx8 s[8:15], s[4:5], 0x8
	s_waitcnt lgkmcnt(0)
	s_bitcmp1_b32 s21, 0
	s_cselect_b64 s[2:3], -1, 0
	s_xor_b64 s[0:1], s[2:3], -1
	s_and_b64 vcc, exec, s[2:3]
	s_cbranch_vccnz .LBB25_2
; %bb.1:
	s_load_dword s10, s[10:11], 0x0
.LBB25_2:
	s_andn2_b64 vcc, exec, s[0:1]
	s_cbranch_vccnz .LBB25_4
; %bb.3:
	s_load_dword s22, s[22:23], 0x0
.LBB25_4:
	s_waitcnt lgkmcnt(0)
	v_cmp_neq_f32_e64 s[0:1], s10, 0
	v_cmp_neq_f32_e64 s[2:3], s22, 1.0
	s_or_b64 s[0:1], s[0:1], s[2:3]
	s_andn2_b64 vcc, exec, s[0:1]
	s_cbranch_vccnz .LBB25_16
; %bb.5:
	v_lshl_or_b32 v1, s6, 8, v0
	v_lshrrev_b32_e32 v2, 4, v1
	v_mov_b32_e32 v3, 0
	v_cmp_gt_i64_e32 vcc, s[8:9], v[2:3]
	s_and_saveexec_b64 s[0:1], vcc
	s_cbranch_execz .LBB25_16
; %bb.6:
	s_load_dword s2, s[4:5], 0x58
	s_load_dwordx2 s[6:7], s[4:5], 0x48
	s_load_dwordx4 s[16:19], s[4:5], 0x28
	s_load_dwordx2 s[0:1], s[4:5], 0x38
	v_and_b32_e32 v0, 15, v0
	v_subrev_co_u32_e32 v10, vcc, s20, v0
	s_waitcnt lgkmcnt(0)
	s_lshl_b32 s21, s2, 4
	v_subb_co_u32_e64 v11, s[2:3], 0, 0, vcc
	s_ashr_i32 s3, s20, 31
	s_mov_b32 s2, s20
	s_lshl_b64 s[2:3], s[2:3], 2
	s_sub_u32 s23, s0, s2
	s_subb_u32 s2, s1, s3
	v_mov_b32_e32 v15, s2
	v_cmp_neq_f32_e64 s[2:3], s22, 0
	s_mov_b32 s11, 0
	v_cmp_eq_u32_e64 s[0:1], 15, v0
	v_cndmask_b32_e64 v0, 0, 1, s[2:3]
	s_mov_b64 s[24:25], 0
	v_mov_b32_e32 v12, s13
	v_mov_b32_e32 v13, s15
	;; [unrolled: 1-line block ×3, first 2 shown]
	v_cmp_ne_u32_e64 s[2:3], 1, v0
	s_branch .LBB25_9
.LBB25_7:                               ;   in Loop: Header=BB25_9 Depth=1
	global_store_dword v[0:1], v4, off
.LBB25_8:                               ;   in Loop: Header=BB25_9 Depth=1
	s_or_b64 exec, exec, s[26:27]
	v_mov_b32_e32 v0, s11
	v_add_co_u32_e32 v2, vcc, s21, v2
	v_addc_co_u32_e32 v3, vcc, v3, v0, vcc
	v_cmp_le_i64_e32 vcc, s[8:9], v[2:3]
	s_or_b64 s[24:25], vcc, s[24:25]
	s_andn2_b64 exec, exec, s[24:25]
	s_cbranch_execz .LBB25_16
.LBB25_9:                               ; =>This Loop Header: Depth=1
                                        ;     Child Loop BB25_11 Depth 2
	v_lshlrev_b64 v[0:1], 3, v[2:3]
	v_add_co_u32_e32 v4, vcc, s14, v0
	v_addc_co_u32_e32 v5, vcc, v13, v1, vcc
	global_load_dwordx2 v[4:5], v[4:5], off
	v_add_co_u32_e32 v0, vcc, s12, v0
	v_addc_co_u32_e32 v1, vcc, v12, v1, vcc
	global_load_dwordx2 v[6:7], v[0:1], off
	v_mov_b32_e32 v16, 0
	s_waitcnt vmcnt(1)
	v_subrev_co_u32_e32 v0, vcc, s20, v4
	v_subb_co_u32_e32 v1, vcc, v5, v14, vcc
	s_waitcnt vmcnt(0)
	v_add_co_u32_e32 v4, vcc, v6, v10
	v_addc_co_u32_e32 v5, vcc, v7, v11, vcc
	v_cmp_lt_i64_e32 vcc, v[4:5], v[0:1]
	s_and_saveexec_b64 s[4:5], vcc
	s_cbranch_execz .LBB25_13
; %bb.10:                               ;   in Loop: Header=BB25_9 Depth=1
	v_lshlrev_b64 v[6:7], 2, v[4:5]
	v_mov_b32_e32 v8, s19
	v_add_co_u32_e32 v6, vcc, s18, v6
	v_addc_co_u32_e32 v7, vcc, v8, v7, vcc
	v_lshlrev_b64 v[8:9], 3, v[4:5]
	v_mov_b32_e32 v16, s17
	v_add_co_u32_e32 v8, vcc, s16, v8
	v_addc_co_u32_e32 v9, vcc, v16, v9, vcc
	s_mov_b64 s[26:27], 0
	v_mov_b32_e32 v16, 0
.LBB25_11:                              ;   Parent Loop BB25_9 Depth=1
                                        ; =>  This Inner Loop Header: Depth=2
	global_load_dwordx2 v[18:19], v[8:9], off
	global_load_dword v17, v[6:7], off
	s_waitcnt vmcnt(1)
	v_lshlrev_b64 v[18:19], 2, v[18:19]
	v_add_co_u32_e32 v18, vcc, s23, v18
	v_addc_co_u32_e32 v19, vcc, v15, v19, vcc
	global_load_dword v18, v[18:19], off
	v_add_co_u32_e32 v4, vcc, 16, v4
	v_addc_co_u32_e32 v5, vcc, 0, v5, vcc
	v_add_co_u32_e32 v6, vcc, 64, v6
	v_addc_co_u32_e32 v7, vcc, 0, v7, vcc
	;; [unrolled: 2-line block ×3, first 2 shown]
	v_cmp_ge_i64_e32 vcc, v[4:5], v[0:1]
	s_waitcnt vmcnt(1)
	v_mul_f32_e32 v17, s10, v17
	s_or_b64 s[26:27], vcc, s[26:27]
	s_waitcnt vmcnt(0)
	v_fmac_f32_e32 v16, v17, v18
	s_andn2_b64 exec, exec, s[26:27]
	s_cbranch_execnz .LBB25_11
; %bb.12:                               ;   in Loop: Header=BB25_9 Depth=1
	s_or_b64 exec, exec, s[26:27]
.LBB25_13:                              ;   in Loop: Header=BB25_9 Depth=1
	s_or_b64 exec, exec, s[4:5]
	v_mov_b32_dpp v0, v16 row_shr:1 row_mask:0xf bank_mask:0xf
	v_add_f32_e32 v0, v16, v0
	s_nop 1
	v_mov_b32_dpp v1, v0 row_shr:2 row_mask:0xf bank_mask:0xf
	v_add_f32_e32 v0, v0, v1
	s_nop 1
	;; [unrolled: 3-line block ×3, first 2 shown]
	v_mov_b32_dpp v1, v0 row_shr:8 row_mask:0xf bank_mask:0xc
	s_and_saveexec_b64 s[26:27], s[0:1]
	s_cbranch_execz .LBB25_8
; %bb.14:                               ;   in Loop: Header=BB25_9 Depth=1
	v_add_f32_e32 v4, v0, v1
	v_lshlrev_b64 v[0:1], 2, v[2:3]
	v_mov_b32_e32 v5, s7
	v_add_co_u32_e64 v0, s[4:5], s6, v0
	s_and_b64 vcc, exec, s[2:3]
	v_addc_co_u32_e64 v1, s[4:5], v5, v1, s[4:5]
	s_cbranch_vccnz .LBB25_7
; %bb.15:                               ;   in Loop: Header=BB25_9 Depth=1
	global_load_dword v5, v[0:1], off
	s_waitcnt vmcnt(0)
	v_fmac_f32_e32 v4, s22, v5
	s_branch .LBB25_7
.LBB25_16:
	s_endpgm
	.section	.rodata,"a",@progbits
	.p2align	6, 0x0
	.amdhsa_kernel _ZN9rocsparseL21csrmvn_general_kernelILj256ELj16EllffffEEvbT2_NS_24const_host_device_scalarIT6_EEPKT1_S7_PKS1_PKT3_PKT4_S4_PT5_21rocsparse_index_base_b
		.amdhsa_group_segment_fixed_size 0
		.amdhsa_private_segment_fixed_size 0
		.amdhsa_kernarg_size 344
		.amdhsa_user_sgpr_count 6
		.amdhsa_user_sgpr_private_segment_buffer 1
		.amdhsa_user_sgpr_dispatch_ptr 0
		.amdhsa_user_sgpr_queue_ptr 0
		.amdhsa_user_sgpr_kernarg_segment_ptr 1
		.amdhsa_user_sgpr_dispatch_id 0
		.amdhsa_user_sgpr_flat_scratch_init 0
		.amdhsa_user_sgpr_kernarg_preload_length 0
		.amdhsa_user_sgpr_kernarg_preload_offset 0
		.amdhsa_user_sgpr_private_segment_size 0
		.amdhsa_uses_dynamic_stack 0
		.amdhsa_system_sgpr_private_segment_wavefront_offset 0
		.amdhsa_system_sgpr_workgroup_id_x 1
		.amdhsa_system_sgpr_workgroup_id_y 0
		.amdhsa_system_sgpr_workgroup_id_z 0
		.amdhsa_system_sgpr_workgroup_info 0
		.amdhsa_system_vgpr_workitem_id 0
		.amdhsa_next_free_vgpr 20
		.amdhsa_next_free_sgpr 28
		.amdhsa_accum_offset 20
		.amdhsa_reserve_vcc 1
		.amdhsa_reserve_flat_scratch 0
		.amdhsa_float_round_mode_32 0
		.amdhsa_float_round_mode_16_64 0
		.amdhsa_float_denorm_mode_32 3
		.amdhsa_float_denorm_mode_16_64 3
		.amdhsa_dx10_clamp 1
		.amdhsa_ieee_mode 1
		.amdhsa_fp16_overflow 0
		.amdhsa_tg_split 0
		.amdhsa_exception_fp_ieee_invalid_op 0
		.amdhsa_exception_fp_denorm_src 0
		.amdhsa_exception_fp_ieee_div_zero 0
		.amdhsa_exception_fp_ieee_overflow 0
		.amdhsa_exception_fp_ieee_underflow 0
		.amdhsa_exception_fp_ieee_inexact 0
		.amdhsa_exception_int_div_zero 0
	.end_amdhsa_kernel
	.section	.text._ZN9rocsparseL21csrmvn_general_kernelILj256ELj16EllffffEEvbT2_NS_24const_host_device_scalarIT6_EEPKT1_S7_PKS1_PKT3_PKT4_S4_PT5_21rocsparse_index_base_b,"axG",@progbits,_ZN9rocsparseL21csrmvn_general_kernelILj256ELj16EllffffEEvbT2_NS_24const_host_device_scalarIT6_EEPKT1_S7_PKS1_PKT3_PKT4_S4_PT5_21rocsparse_index_base_b,comdat
.Lfunc_end25:
	.size	_ZN9rocsparseL21csrmvn_general_kernelILj256ELj16EllffffEEvbT2_NS_24const_host_device_scalarIT6_EEPKT1_S7_PKS1_PKT3_PKT4_S4_PT5_21rocsparse_index_base_b, .Lfunc_end25-_ZN9rocsparseL21csrmvn_general_kernelILj256ELj16EllffffEEvbT2_NS_24const_host_device_scalarIT6_EEPKT1_S7_PKS1_PKT3_PKT4_S4_PT5_21rocsparse_index_base_b
                                        ; -- End function
	.section	.AMDGPU.csdata,"",@progbits
; Kernel info:
; codeLenInByte = 676
; NumSgprs: 32
; NumVgprs: 20
; NumAgprs: 0
; TotalNumVgprs: 20
; ScratchSize: 0
; MemoryBound: 0
; FloatMode: 240
; IeeeMode: 1
; LDSByteSize: 0 bytes/workgroup (compile time only)
; SGPRBlocks: 3
; VGPRBlocks: 2
; NumSGPRsForWavesPerEU: 32
; NumVGPRsForWavesPerEU: 20
; AccumOffset: 20
; Occupancy: 8
; WaveLimiterHint : 1
; COMPUTE_PGM_RSRC2:SCRATCH_EN: 0
; COMPUTE_PGM_RSRC2:USER_SGPR: 6
; COMPUTE_PGM_RSRC2:TRAP_HANDLER: 0
; COMPUTE_PGM_RSRC2:TGID_X_EN: 1
; COMPUTE_PGM_RSRC2:TGID_Y_EN: 0
; COMPUTE_PGM_RSRC2:TGID_Z_EN: 0
; COMPUTE_PGM_RSRC2:TIDIG_COMP_CNT: 0
; COMPUTE_PGM_RSRC3_GFX90A:ACCUM_OFFSET: 4
; COMPUTE_PGM_RSRC3_GFX90A:TG_SPLIT: 0
	.section	.text._ZN9rocsparseL21csrmvn_general_kernelILj256ELj32EllffffEEvbT2_NS_24const_host_device_scalarIT6_EEPKT1_S7_PKS1_PKT3_PKT4_S4_PT5_21rocsparse_index_base_b,"axG",@progbits,_ZN9rocsparseL21csrmvn_general_kernelILj256ELj32EllffffEEvbT2_NS_24const_host_device_scalarIT6_EEPKT1_S7_PKS1_PKT3_PKT4_S4_PT5_21rocsparse_index_base_b,comdat
	.globl	_ZN9rocsparseL21csrmvn_general_kernelILj256ELj32EllffffEEvbT2_NS_24const_host_device_scalarIT6_EEPKT1_S7_PKS1_PKT3_PKT4_S4_PT5_21rocsparse_index_base_b ; -- Begin function _ZN9rocsparseL21csrmvn_general_kernelILj256ELj32EllffffEEvbT2_NS_24const_host_device_scalarIT6_EEPKT1_S7_PKS1_PKT3_PKT4_S4_PT5_21rocsparse_index_base_b
	.p2align	8
	.type	_ZN9rocsparseL21csrmvn_general_kernelILj256ELj32EllffffEEvbT2_NS_24const_host_device_scalarIT6_EEPKT1_S7_PKS1_PKT3_PKT4_S4_PT5_21rocsparse_index_base_b,@function
_ZN9rocsparseL21csrmvn_general_kernelILj256ELj32EllffffEEvbT2_NS_24const_host_device_scalarIT6_EEPKT1_S7_PKS1_PKT3_PKT4_S4_PT5_21rocsparse_index_base_b: ; @_ZN9rocsparseL21csrmvn_general_kernelILj256ELj32EllffffEEvbT2_NS_24const_host_device_scalarIT6_EEPKT1_S7_PKS1_PKT3_PKT4_S4_PT5_21rocsparse_index_base_b
; %bb.0:
	s_load_dwordx2 s[20:21], s[4:5], 0x50
	s_load_dwordx2 s[22:23], s[4:5], 0x40
	s_load_dwordx8 s[8:15], s[4:5], 0x8
	s_waitcnt lgkmcnt(0)
	s_bitcmp1_b32 s21, 0
	s_cselect_b64 s[2:3], -1, 0
	s_xor_b64 s[0:1], s[2:3], -1
	s_and_b64 vcc, exec, s[2:3]
	s_cbranch_vccnz .LBB26_2
; %bb.1:
	s_load_dword s10, s[10:11], 0x0
.LBB26_2:
	s_andn2_b64 vcc, exec, s[0:1]
	s_cbranch_vccnz .LBB26_4
; %bb.3:
	s_load_dword s22, s[22:23], 0x0
.LBB26_4:
	s_waitcnt lgkmcnt(0)
	v_cmp_neq_f32_e64 s[0:1], s10, 0
	v_cmp_neq_f32_e64 s[2:3], s22, 1.0
	s_or_b64 s[0:1], s[0:1], s[2:3]
	s_andn2_b64 vcc, exec, s[0:1]
	s_cbranch_vccnz .LBB26_16
; %bb.5:
	v_lshl_or_b32 v1, s6, 8, v0
	v_lshrrev_b32_e32 v2, 5, v1
	v_mov_b32_e32 v3, 0
	v_cmp_gt_i64_e32 vcc, s[8:9], v[2:3]
	s_and_saveexec_b64 s[0:1], vcc
	s_cbranch_execz .LBB26_16
; %bb.6:
	s_load_dword s2, s[4:5], 0x58
	s_load_dwordx2 s[6:7], s[4:5], 0x48
	s_load_dwordx4 s[16:19], s[4:5], 0x28
	s_load_dwordx2 s[0:1], s[4:5], 0x38
	v_and_b32_e32 v0, 31, v0
	v_subrev_co_u32_e32 v10, vcc, s20, v0
	s_waitcnt lgkmcnt(0)
	s_lshl_b32 s21, s2, 3
	v_subb_co_u32_e64 v11, s[2:3], 0, 0, vcc
	s_ashr_i32 s3, s20, 31
	s_mov_b32 s2, s20
	s_lshl_b64 s[2:3], s[2:3], 2
	s_sub_u32 s23, s0, s2
	s_subb_u32 s2, s1, s3
	v_mov_b32_e32 v15, s2
	v_cmp_neq_f32_e64 s[2:3], s22, 0
	s_mov_b32 s11, 0
	v_cmp_eq_u32_e64 s[0:1], 31, v0
	v_cndmask_b32_e64 v0, 0, 1, s[2:3]
	s_mov_b64 s[24:25], 0
	v_mov_b32_e32 v12, s13
	v_mov_b32_e32 v13, s15
	v_mov_b32_e32 v14, s11
	v_cmp_ne_u32_e64 s[2:3], 1, v0
	s_branch .LBB26_9
.LBB26_7:                               ;   in Loop: Header=BB26_9 Depth=1
	global_store_dword v[0:1], v4, off
.LBB26_8:                               ;   in Loop: Header=BB26_9 Depth=1
	s_or_b64 exec, exec, s[26:27]
	v_mov_b32_e32 v0, s11
	v_add_co_u32_e32 v2, vcc, s21, v2
	v_addc_co_u32_e32 v3, vcc, v3, v0, vcc
	v_cmp_le_i64_e32 vcc, s[8:9], v[2:3]
	s_or_b64 s[24:25], vcc, s[24:25]
	s_andn2_b64 exec, exec, s[24:25]
	s_cbranch_execz .LBB26_16
.LBB26_9:                               ; =>This Loop Header: Depth=1
                                        ;     Child Loop BB26_11 Depth 2
	v_lshlrev_b64 v[0:1], 3, v[2:3]
	v_add_co_u32_e32 v4, vcc, s14, v0
	v_addc_co_u32_e32 v5, vcc, v13, v1, vcc
	global_load_dwordx2 v[4:5], v[4:5], off
	v_add_co_u32_e32 v0, vcc, s12, v0
	v_addc_co_u32_e32 v1, vcc, v12, v1, vcc
	global_load_dwordx2 v[6:7], v[0:1], off
	v_mov_b32_e32 v16, 0
	s_waitcnt vmcnt(1)
	v_subrev_co_u32_e32 v0, vcc, s20, v4
	v_subb_co_u32_e32 v1, vcc, v5, v14, vcc
	s_waitcnt vmcnt(0)
	v_add_co_u32_e32 v4, vcc, v6, v10
	v_addc_co_u32_e32 v5, vcc, v7, v11, vcc
	v_cmp_lt_i64_e32 vcc, v[4:5], v[0:1]
	s_and_saveexec_b64 s[26:27], vcc
	s_cbranch_execz .LBB26_13
; %bb.10:                               ;   in Loop: Header=BB26_9 Depth=1
	v_lshlrev_b64 v[6:7], 2, v[4:5]
	v_mov_b32_e32 v8, s19
	v_add_co_u32_e32 v6, vcc, s18, v6
	v_addc_co_u32_e32 v7, vcc, v8, v7, vcc
	v_lshlrev_b64 v[8:9], 3, v[4:5]
	v_mov_b32_e32 v16, s17
	v_add_co_u32_e32 v8, vcc, s16, v8
	v_addc_co_u32_e32 v9, vcc, v16, v9, vcc
	s_mov_b64 s[28:29], 0
	v_mov_b32_e32 v16, 0
.LBB26_11:                              ;   Parent Loop BB26_9 Depth=1
                                        ; =>  This Inner Loop Header: Depth=2
	global_load_dwordx2 v[18:19], v[8:9], off
	global_load_dword v17, v[6:7], off
	s_waitcnt vmcnt(1)
	v_lshlrev_b64 v[18:19], 2, v[18:19]
	v_add_co_u32_e32 v18, vcc, s23, v18
	v_addc_co_u32_e32 v19, vcc, v15, v19, vcc
	global_load_dword v18, v[18:19], off
	v_add_co_u32_e32 v4, vcc, 32, v4
	v_addc_co_u32_e32 v5, vcc, 0, v5, vcc
	v_add_co_u32_e32 v6, vcc, 0x80, v6
	v_addc_co_u32_e32 v7, vcc, 0, v7, vcc
	v_add_co_u32_e32 v8, vcc, 0x100, v8
	v_cmp_ge_i64_e64 s[4:5], v[4:5], v[0:1]
	s_waitcnt vmcnt(1)
	v_mul_f32_e32 v17, s10, v17
	v_addc_co_u32_e32 v9, vcc, 0, v9, vcc
	s_or_b64 s[28:29], s[4:5], s[28:29]
	s_waitcnt vmcnt(0)
	v_fmac_f32_e32 v16, v17, v18
	s_andn2_b64 exec, exec, s[28:29]
	s_cbranch_execnz .LBB26_11
; %bb.12:                               ;   in Loop: Header=BB26_9 Depth=1
	s_or_b64 exec, exec, s[28:29]
.LBB26_13:                              ;   in Loop: Header=BB26_9 Depth=1
	s_or_b64 exec, exec, s[26:27]
	v_mov_b32_dpp v0, v16 row_shr:1 row_mask:0xf bank_mask:0xf
	v_add_f32_e32 v0, v16, v0
	s_nop 1
	v_mov_b32_dpp v1, v0 row_shr:2 row_mask:0xf bank_mask:0xf
	v_add_f32_e32 v0, v0, v1
	s_nop 1
	;; [unrolled: 3-line block ×4, first 2 shown]
	v_mov_b32_dpp v1, v0 row_bcast:15 row_mask:0xa bank_mask:0xf
	s_and_saveexec_b64 s[26:27], s[0:1]
	s_cbranch_execz .LBB26_8
; %bb.14:                               ;   in Loop: Header=BB26_9 Depth=1
	v_add_f32_e32 v4, v0, v1
	v_lshlrev_b64 v[0:1], 2, v[2:3]
	v_mov_b32_e32 v5, s7
	v_add_co_u32_e64 v0, s[4:5], s6, v0
	s_and_b64 vcc, exec, s[2:3]
	v_addc_co_u32_e64 v1, s[4:5], v5, v1, s[4:5]
	s_cbranch_vccnz .LBB26_7
; %bb.15:                               ;   in Loop: Header=BB26_9 Depth=1
	global_load_dword v5, v[0:1], off
	s_waitcnt vmcnt(0)
	v_fmac_f32_e32 v4, s22, v5
	s_branch .LBB26_7
.LBB26_16:
	s_endpgm
	.section	.rodata,"a",@progbits
	.p2align	6, 0x0
	.amdhsa_kernel _ZN9rocsparseL21csrmvn_general_kernelILj256ELj32EllffffEEvbT2_NS_24const_host_device_scalarIT6_EEPKT1_S7_PKS1_PKT3_PKT4_S4_PT5_21rocsparse_index_base_b
		.amdhsa_group_segment_fixed_size 0
		.amdhsa_private_segment_fixed_size 0
		.amdhsa_kernarg_size 344
		.amdhsa_user_sgpr_count 6
		.amdhsa_user_sgpr_private_segment_buffer 1
		.amdhsa_user_sgpr_dispatch_ptr 0
		.amdhsa_user_sgpr_queue_ptr 0
		.amdhsa_user_sgpr_kernarg_segment_ptr 1
		.amdhsa_user_sgpr_dispatch_id 0
		.amdhsa_user_sgpr_flat_scratch_init 0
		.amdhsa_user_sgpr_kernarg_preload_length 0
		.amdhsa_user_sgpr_kernarg_preload_offset 0
		.amdhsa_user_sgpr_private_segment_size 0
		.amdhsa_uses_dynamic_stack 0
		.amdhsa_system_sgpr_private_segment_wavefront_offset 0
		.amdhsa_system_sgpr_workgroup_id_x 1
		.amdhsa_system_sgpr_workgroup_id_y 0
		.amdhsa_system_sgpr_workgroup_id_z 0
		.amdhsa_system_sgpr_workgroup_info 0
		.amdhsa_system_vgpr_workitem_id 0
		.amdhsa_next_free_vgpr 20
		.amdhsa_next_free_sgpr 30
		.amdhsa_accum_offset 20
		.amdhsa_reserve_vcc 1
		.amdhsa_reserve_flat_scratch 0
		.amdhsa_float_round_mode_32 0
		.amdhsa_float_round_mode_16_64 0
		.amdhsa_float_denorm_mode_32 3
		.amdhsa_float_denorm_mode_16_64 3
		.amdhsa_dx10_clamp 1
		.amdhsa_ieee_mode 1
		.amdhsa_fp16_overflow 0
		.amdhsa_tg_split 0
		.amdhsa_exception_fp_ieee_invalid_op 0
		.amdhsa_exception_fp_denorm_src 0
		.amdhsa_exception_fp_ieee_div_zero 0
		.amdhsa_exception_fp_ieee_overflow 0
		.amdhsa_exception_fp_ieee_underflow 0
		.amdhsa_exception_fp_ieee_inexact 0
		.amdhsa_exception_int_div_zero 0
	.end_amdhsa_kernel
	.section	.text._ZN9rocsparseL21csrmvn_general_kernelILj256ELj32EllffffEEvbT2_NS_24const_host_device_scalarIT6_EEPKT1_S7_PKS1_PKT3_PKT4_S4_PT5_21rocsparse_index_base_b,"axG",@progbits,_ZN9rocsparseL21csrmvn_general_kernelILj256ELj32EllffffEEvbT2_NS_24const_host_device_scalarIT6_EEPKT1_S7_PKS1_PKT3_PKT4_S4_PT5_21rocsparse_index_base_b,comdat
.Lfunc_end26:
	.size	_ZN9rocsparseL21csrmvn_general_kernelILj256ELj32EllffffEEvbT2_NS_24const_host_device_scalarIT6_EEPKT1_S7_PKS1_PKT3_PKT4_S4_PT5_21rocsparse_index_base_b, .Lfunc_end26-_ZN9rocsparseL21csrmvn_general_kernelILj256ELj32EllffffEEvbT2_NS_24const_host_device_scalarIT6_EEPKT1_S7_PKS1_PKT3_PKT4_S4_PT5_21rocsparse_index_base_b
                                        ; -- End function
	.section	.AMDGPU.csdata,"",@progbits
; Kernel info:
; codeLenInByte = 700
; NumSgprs: 34
; NumVgprs: 20
; NumAgprs: 0
; TotalNumVgprs: 20
; ScratchSize: 0
; MemoryBound: 0
; FloatMode: 240
; IeeeMode: 1
; LDSByteSize: 0 bytes/workgroup (compile time only)
; SGPRBlocks: 4
; VGPRBlocks: 2
; NumSGPRsForWavesPerEU: 34
; NumVGPRsForWavesPerEU: 20
; AccumOffset: 20
; Occupancy: 8
; WaveLimiterHint : 1
; COMPUTE_PGM_RSRC2:SCRATCH_EN: 0
; COMPUTE_PGM_RSRC2:USER_SGPR: 6
; COMPUTE_PGM_RSRC2:TRAP_HANDLER: 0
; COMPUTE_PGM_RSRC2:TGID_X_EN: 1
; COMPUTE_PGM_RSRC2:TGID_Y_EN: 0
; COMPUTE_PGM_RSRC2:TGID_Z_EN: 0
; COMPUTE_PGM_RSRC2:TIDIG_COMP_CNT: 0
; COMPUTE_PGM_RSRC3_GFX90A:ACCUM_OFFSET: 4
; COMPUTE_PGM_RSRC3_GFX90A:TG_SPLIT: 0
	.section	.text._ZN9rocsparseL21csrmvn_general_kernelILj256ELj64EllffffEEvbT2_NS_24const_host_device_scalarIT6_EEPKT1_S7_PKS1_PKT3_PKT4_S4_PT5_21rocsparse_index_base_b,"axG",@progbits,_ZN9rocsparseL21csrmvn_general_kernelILj256ELj64EllffffEEvbT2_NS_24const_host_device_scalarIT6_EEPKT1_S7_PKS1_PKT3_PKT4_S4_PT5_21rocsparse_index_base_b,comdat
	.globl	_ZN9rocsparseL21csrmvn_general_kernelILj256ELj64EllffffEEvbT2_NS_24const_host_device_scalarIT6_EEPKT1_S7_PKS1_PKT3_PKT4_S4_PT5_21rocsparse_index_base_b ; -- Begin function _ZN9rocsparseL21csrmvn_general_kernelILj256ELj64EllffffEEvbT2_NS_24const_host_device_scalarIT6_EEPKT1_S7_PKS1_PKT3_PKT4_S4_PT5_21rocsparse_index_base_b
	.p2align	8
	.type	_ZN9rocsparseL21csrmvn_general_kernelILj256ELj64EllffffEEvbT2_NS_24const_host_device_scalarIT6_EEPKT1_S7_PKS1_PKT3_PKT4_S4_PT5_21rocsparse_index_base_b,@function
_ZN9rocsparseL21csrmvn_general_kernelILj256ELj64EllffffEEvbT2_NS_24const_host_device_scalarIT6_EEPKT1_S7_PKS1_PKT3_PKT4_S4_PT5_21rocsparse_index_base_b: ; @_ZN9rocsparseL21csrmvn_general_kernelILj256ELj64EllffffEEvbT2_NS_24const_host_device_scalarIT6_EEPKT1_S7_PKS1_PKT3_PKT4_S4_PT5_21rocsparse_index_base_b
; %bb.0:
	s_load_dwordx2 s[20:21], s[4:5], 0x50
	s_load_dwordx2 s[22:23], s[4:5], 0x40
	s_load_dwordx8 s[8:15], s[4:5], 0x8
	s_waitcnt lgkmcnt(0)
	s_bitcmp1_b32 s21, 0
	s_cselect_b64 s[2:3], -1, 0
	s_xor_b64 s[0:1], s[2:3], -1
	s_and_b64 vcc, exec, s[2:3]
	s_cbranch_vccnz .LBB27_2
; %bb.1:
	s_load_dword s10, s[10:11], 0x0
.LBB27_2:
	s_andn2_b64 vcc, exec, s[0:1]
	s_cbranch_vccnz .LBB27_4
; %bb.3:
	s_load_dword s22, s[22:23], 0x0
.LBB27_4:
	s_waitcnt lgkmcnt(0)
	v_cmp_neq_f32_e64 s[0:1], s10, 0
	v_cmp_neq_f32_e64 s[2:3], s22, 1.0
	s_or_b64 s[0:1], s[0:1], s[2:3]
	s_andn2_b64 vcc, exec, s[0:1]
	s_cbranch_vccnz .LBB27_16
; %bb.5:
	v_lshl_or_b32 v1, s6, 8, v0
	v_lshrrev_b32_e32 v2, 6, v1
	v_mov_b32_e32 v3, 0
	v_cmp_gt_i64_e32 vcc, s[8:9], v[2:3]
	s_and_saveexec_b64 s[0:1], vcc
	s_cbranch_execz .LBB27_16
; %bb.6:
	s_load_dword s2, s[4:5], 0x58
	s_load_dwordx2 s[6:7], s[4:5], 0x48
	s_load_dwordx4 s[16:19], s[4:5], 0x28
	s_load_dwordx2 s[0:1], s[4:5], 0x38
	v_and_b32_e32 v0, 63, v0
	v_subrev_co_u32_e32 v10, vcc, s20, v0
	s_waitcnt lgkmcnt(0)
	s_lshl_b32 s21, s2, 2
	v_subb_co_u32_e64 v11, s[2:3], 0, 0, vcc
	s_ashr_i32 s3, s20, 31
	s_mov_b32 s2, s20
	s_lshl_b64 s[2:3], s[2:3], 2
	s_sub_u32 s23, s0, s2
	s_subb_u32 s2, s1, s3
	v_mov_b32_e32 v15, s2
	v_cmp_neq_f32_e64 s[2:3], s22, 0
	s_mov_b32 s11, 0
	v_cmp_eq_u32_e64 s[0:1], 63, v0
	v_cndmask_b32_e64 v0, 0, 1, s[2:3]
	s_mov_b64 s[24:25], 0
	v_mov_b32_e32 v12, s13
	v_mov_b32_e32 v13, s15
	v_mov_b32_e32 v14, s11
	v_cmp_ne_u32_e64 s[2:3], 1, v0
	s_branch .LBB27_9
.LBB27_7:                               ;   in Loop: Header=BB27_9 Depth=1
	global_store_dword v[0:1], v4, off
.LBB27_8:                               ;   in Loop: Header=BB27_9 Depth=1
	s_or_b64 exec, exec, s[26:27]
	v_mov_b32_e32 v0, s11
	v_add_co_u32_e32 v2, vcc, s21, v2
	v_addc_co_u32_e32 v3, vcc, v3, v0, vcc
	v_cmp_le_i64_e32 vcc, s[8:9], v[2:3]
	s_or_b64 s[24:25], vcc, s[24:25]
	s_andn2_b64 exec, exec, s[24:25]
	s_cbranch_execz .LBB27_16
.LBB27_9:                               ; =>This Loop Header: Depth=1
                                        ;     Child Loop BB27_11 Depth 2
	v_lshlrev_b64 v[0:1], 3, v[2:3]
	v_add_co_u32_e32 v4, vcc, s14, v0
	v_addc_co_u32_e32 v5, vcc, v13, v1, vcc
	global_load_dwordx2 v[4:5], v[4:5], off
	v_add_co_u32_e32 v0, vcc, s12, v0
	v_addc_co_u32_e32 v1, vcc, v12, v1, vcc
	global_load_dwordx2 v[6:7], v[0:1], off
	v_mov_b32_e32 v16, 0
	s_waitcnt vmcnt(1)
	v_subrev_co_u32_e32 v0, vcc, s20, v4
	v_subb_co_u32_e32 v1, vcc, v5, v14, vcc
	s_waitcnt vmcnt(0)
	v_add_co_u32_e32 v4, vcc, v6, v10
	v_addc_co_u32_e32 v5, vcc, v7, v11, vcc
	v_cmp_lt_i64_e32 vcc, v[4:5], v[0:1]
	s_and_saveexec_b64 s[26:27], vcc
	s_cbranch_execz .LBB27_13
; %bb.10:                               ;   in Loop: Header=BB27_9 Depth=1
	v_lshlrev_b64 v[6:7], 2, v[4:5]
	v_mov_b32_e32 v8, s19
	v_add_co_u32_e32 v6, vcc, s18, v6
	v_addc_co_u32_e32 v7, vcc, v8, v7, vcc
	v_lshlrev_b64 v[8:9], 3, v[4:5]
	v_mov_b32_e32 v16, s17
	v_add_co_u32_e32 v8, vcc, s16, v8
	v_addc_co_u32_e32 v9, vcc, v16, v9, vcc
	s_mov_b64 s[28:29], 0
	v_mov_b32_e32 v16, 0
.LBB27_11:                              ;   Parent Loop BB27_9 Depth=1
                                        ; =>  This Inner Loop Header: Depth=2
	global_load_dwordx2 v[18:19], v[8:9], off
	global_load_dword v17, v[6:7], off
	s_waitcnt vmcnt(1)
	v_lshlrev_b64 v[18:19], 2, v[18:19]
	v_add_co_u32_e32 v18, vcc, s23, v18
	v_addc_co_u32_e32 v19, vcc, v15, v19, vcc
	global_load_dword v18, v[18:19], off
	v_add_co_u32_e32 v4, vcc, 64, v4
	v_addc_co_u32_e32 v5, vcc, 0, v5, vcc
	v_add_co_u32_e32 v6, vcc, 0x100, v6
	v_addc_co_u32_e32 v7, vcc, 0, v7, vcc
	v_add_co_u32_e32 v8, vcc, 0x200, v8
	v_cmp_ge_i64_e64 s[4:5], v[4:5], v[0:1]
	s_waitcnt vmcnt(1)
	v_mul_f32_e32 v17, s10, v17
	v_addc_co_u32_e32 v9, vcc, 0, v9, vcc
	s_or_b64 s[28:29], s[4:5], s[28:29]
	s_waitcnt vmcnt(0)
	v_fmac_f32_e32 v16, v17, v18
	s_andn2_b64 exec, exec, s[28:29]
	s_cbranch_execnz .LBB27_11
; %bb.12:                               ;   in Loop: Header=BB27_9 Depth=1
	s_or_b64 exec, exec, s[28:29]
.LBB27_13:                              ;   in Loop: Header=BB27_9 Depth=1
	s_or_b64 exec, exec, s[26:27]
	v_mov_b32_dpp v0, v16 row_shr:1 row_mask:0xf bank_mask:0xf
	v_add_f32_e32 v0, v16, v0
	s_nop 1
	v_mov_b32_dpp v1, v0 row_shr:2 row_mask:0xf bank_mask:0xf
	v_add_f32_e32 v0, v0, v1
	s_nop 1
	;; [unrolled: 3-line block ×4, first 2 shown]
	v_mov_b32_dpp v1, v0 row_bcast:15 row_mask:0xa bank_mask:0xf
	v_add_f32_e32 v0, v0, v1
	s_nop 1
	v_mov_b32_dpp v1, v0 row_bcast:31 row_mask:0xc bank_mask:0xf
	s_and_saveexec_b64 s[26:27], s[0:1]
	s_cbranch_execz .LBB27_8
; %bb.14:                               ;   in Loop: Header=BB27_9 Depth=1
	v_add_f32_e32 v4, v0, v1
	v_lshlrev_b64 v[0:1], 2, v[2:3]
	v_mov_b32_e32 v5, s7
	v_add_co_u32_e64 v0, s[4:5], s6, v0
	s_and_b64 vcc, exec, s[2:3]
	v_addc_co_u32_e64 v1, s[4:5], v5, v1, s[4:5]
	s_cbranch_vccnz .LBB27_7
; %bb.15:                               ;   in Loop: Header=BB27_9 Depth=1
	global_load_dword v5, v[0:1], off
	s_waitcnt vmcnt(0)
	v_fmac_f32_e32 v4, s22, v5
	s_branch .LBB27_7
.LBB27_16:
	s_endpgm
	.section	.rodata,"a",@progbits
	.p2align	6, 0x0
	.amdhsa_kernel _ZN9rocsparseL21csrmvn_general_kernelILj256ELj64EllffffEEvbT2_NS_24const_host_device_scalarIT6_EEPKT1_S7_PKS1_PKT3_PKT4_S4_PT5_21rocsparse_index_base_b
		.amdhsa_group_segment_fixed_size 0
		.amdhsa_private_segment_fixed_size 0
		.amdhsa_kernarg_size 344
		.amdhsa_user_sgpr_count 6
		.amdhsa_user_sgpr_private_segment_buffer 1
		.amdhsa_user_sgpr_dispatch_ptr 0
		.amdhsa_user_sgpr_queue_ptr 0
		.amdhsa_user_sgpr_kernarg_segment_ptr 1
		.amdhsa_user_sgpr_dispatch_id 0
		.amdhsa_user_sgpr_flat_scratch_init 0
		.amdhsa_user_sgpr_kernarg_preload_length 0
		.amdhsa_user_sgpr_kernarg_preload_offset 0
		.amdhsa_user_sgpr_private_segment_size 0
		.amdhsa_uses_dynamic_stack 0
		.amdhsa_system_sgpr_private_segment_wavefront_offset 0
		.amdhsa_system_sgpr_workgroup_id_x 1
		.amdhsa_system_sgpr_workgroup_id_y 0
		.amdhsa_system_sgpr_workgroup_id_z 0
		.amdhsa_system_sgpr_workgroup_info 0
		.amdhsa_system_vgpr_workitem_id 0
		.amdhsa_next_free_vgpr 20
		.amdhsa_next_free_sgpr 30
		.amdhsa_accum_offset 20
		.amdhsa_reserve_vcc 1
		.amdhsa_reserve_flat_scratch 0
		.amdhsa_float_round_mode_32 0
		.amdhsa_float_round_mode_16_64 0
		.amdhsa_float_denorm_mode_32 3
		.amdhsa_float_denorm_mode_16_64 3
		.amdhsa_dx10_clamp 1
		.amdhsa_ieee_mode 1
		.amdhsa_fp16_overflow 0
		.amdhsa_tg_split 0
		.amdhsa_exception_fp_ieee_invalid_op 0
		.amdhsa_exception_fp_denorm_src 0
		.amdhsa_exception_fp_ieee_div_zero 0
		.amdhsa_exception_fp_ieee_overflow 0
		.amdhsa_exception_fp_ieee_underflow 0
		.amdhsa_exception_fp_ieee_inexact 0
		.amdhsa_exception_int_div_zero 0
	.end_amdhsa_kernel
	.section	.text._ZN9rocsparseL21csrmvn_general_kernelILj256ELj64EllffffEEvbT2_NS_24const_host_device_scalarIT6_EEPKT1_S7_PKS1_PKT3_PKT4_S4_PT5_21rocsparse_index_base_b,"axG",@progbits,_ZN9rocsparseL21csrmvn_general_kernelILj256ELj64EllffffEEvbT2_NS_24const_host_device_scalarIT6_EEPKT1_S7_PKS1_PKT3_PKT4_S4_PT5_21rocsparse_index_base_b,comdat
.Lfunc_end27:
	.size	_ZN9rocsparseL21csrmvn_general_kernelILj256ELj64EllffffEEvbT2_NS_24const_host_device_scalarIT6_EEPKT1_S7_PKS1_PKT3_PKT4_S4_PT5_21rocsparse_index_base_b, .Lfunc_end27-_ZN9rocsparseL21csrmvn_general_kernelILj256ELj64EllffffEEvbT2_NS_24const_host_device_scalarIT6_EEPKT1_S7_PKS1_PKT3_PKT4_S4_PT5_21rocsparse_index_base_b
                                        ; -- End function
	.section	.AMDGPU.csdata,"",@progbits
; Kernel info:
; codeLenInByte = 716
; NumSgprs: 34
; NumVgprs: 20
; NumAgprs: 0
; TotalNumVgprs: 20
; ScratchSize: 0
; MemoryBound: 0
; FloatMode: 240
; IeeeMode: 1
; LDSByteSize: 0 bytes/workgroup (compile time only)
; SGPRBlocks: 4
; VGPRBlocks: 2
; NumSGPRsForWavesPerEU: 34
; NumVGPRsForWavesPerEU: 20
; AccumOffset: 20
; Occupancy: 8
; WaveLimiterHint : 1
; COMPUTE_PGM_RSRC2:SCRATCH_EN: 0
; COMPUTE_PGM_RSRC2:USER_SGPR: 6
; COMPUTE_PGM_RSRC2:TRAP_HANDLER: 0
; COMPUTE_PGM_RSRC2:TGID_X_EN: 1
; COMPUTE_PGM_RSRC2:TGID_Y_EN: 0
; COMPUTE_PGM_RSRC2:TGID_Z_EN: 0
; COMPUTE_PGM_RSRC2:TIDIG_COMP_CNT: 0
; COMPUTE_PGM_RSRC3_GFX90A:ACCUM_OFFSET: 4
; COMPUTE_PGM_RSRC3_GFX90A:TG_SPLIT: 0
	.section	.text._ZN9rocsparseL21csrmvt_general_kernelILj256ELj4EllffffEEvbbT2_NS_24const_host_device_scalarIT6_EEPKT1_S7_PKS1_PKT3_PKT4_PT5_21rocsparse_index_base_b,"axG",@progbits,_ZN9rocsparseL21csrmvt_general_kernelILj256ELj4EllffffEEvbbT2_NS_24const_host_device_scalarIT6_EEPKT1_S7_PKS1_PKT3_PKT4_PT5_21rocsparse_index_base_b,comdat
	.globl	_ZN9rocsparseL21csrmvt_general_kernelILj256ELj4EllffffEEvbbT2_NS_24const_host_device_scalarIT6_EEPKT1_S7_PKS1_PKT3_PKT4_PT5_21rocsparse_index_base_b ; -- Begin function _ZN9rocsparseL21csrmvt_general_kernelILj256ELj4EllffffEEvbbT2_NS_24const_host_device_scalarIT6_EEPKT1_S7_PKS1_PKT3_PKT4_PT5_21rocsparse_index_base_b
	.p2align	8
	.type	_ZN9rocsparseL21csrmvt_general_kernelILj256ELj4EllffffEEvbbT2_NS_24const_host_device_scalarIT6_EEPKT1_S7_PKS1_PKT3_PKT4_PT5_21rocsparse_index_base_b,@function
_ZN9rocsparseL21csrmvt_general_kernelILj256ELj4EllffffEEvbbT2_NS_24const_host_device_scalarIT6_EEPKT1_S7_PKS1_PKT3_PKT4_PT5_21rocsparse_index_base_b: ; @_ZN9rocsparseL21csrmvt_general_kernelILj256ELj4EllffffEEvbbT2_NS_24const_host_device_scalarIT6_EEPKT1_S7_PKS1_PKT3_PKT4_PT5_21rocsparse_index_base_b
; %bb.0:
	s_load_dwordx2 s[2:3], s[4:5], 0x48
	s_load_dwordx8 s[8:15], s[4:5], 0x8
	s_waitcnt lgkmcnt(0)
	s_bitcmp1_b32 s3, 0
	s_cselect_b64 s[0:1], -1, 0
	s_and_b64 vcc, exec, s[0:1]
	s_cbranch_vccnz .LBB28_2
; %bb.1:
	s_load_dword s10, s[10:11], 0x0
.LBB28_2:
	s_waitcnt lgkmcnt(0)
	v_cmp_eq_f32_e64 s[0:1], s10, 0
	s_and_b64 vcc, exec, s[0:1]
	s_cbranch_vccnz .LBB28_23
; %bb.3:
	s_load_dword s0, s[4:5], 0x0
	s_load_dword s1, s[4:5], 0x50
	s_load_dwordx8 s[16:23], s[4:5], 0x28
	v_and_b32_e32 v12, 3, v0
	v_lshl_or_b32 v0, s6, 8, v0
	s_waitcnt lgkmcnt(0)
	s_and_b32 s0, s0, 1
	s_lshl_b32 s3, s1, 6
	v_lshrrev_b32_e32 v0, 2, v0
	v_mov_b32_e32 v1, 0
	s_cmp_eq_u32 s0, 0
	v_cmp_gt_i64_e64 s[0:1], s[8:9], v[0:1]
	s_mov_b64 s[4:5], -1
	s_cbranch_scc0 .LBB28_13
; %bb.4:
	s_and_saveexec_b64 s[4:5], s[0:1]
	s_cbranch_execz .LBB28_12
; %bb.5:
	v_subrev_co_u32_e32 v13, vcc, s2, v12
	s_mov_b32 s11, 0
	v_subb_co_u32_e64 v14, s[6:7], 0, 0, vcc
	s_mov_b64 s[6:7], 0
	v_mov_b32_e32 v15, s13
	v_mov_b32_e32 v16, s15
	;; [unrolled: 1-line block ×3, first 2 shown]
	v_pk_mov_b32 v[2:3], v[0:1], v[0:1] op_sel:[0,1]
	s_branch .LBB28_7
.LBB28_6:                               ;   in Loop: Header=BB28_7 Depth=1
	s_or_b64 exec, exec, s[24:25]
	v_add_co_u32_e32 v2, vcc, s3, v2
	v_addc_co_u32_e32 v3, vcc, 0, v3, vcc
	v_cmp_le_i64_e32 vcc, s[8:9], v[2:3]
	s_or_b64 s[6:7], vcc, s[6:7]
	s_andn2_b64 exec, exec, s[6:7]
	s_cbranch_execz .LBB28_12
.LBB28_7:                               ; =>This Loop Header: Depth=1
                                        ;     Child Loop BB28_9 Depth 2
                                        ;       Child Loop BB28_10 Depth 3
	v_lshlrev_b64 v[4:5], 3, v[2:3]
	v_add_co_u32_e32 v6, vcc, s14, v4
	v_addc_co_u32_e32 v7, vcc, v16, v5, vcc
	global_load_dwordx2 v[6:7], v[6:7], off
	v_add_co_u32_e32 v4, vcc, s12, v4
	v_addc_co_u32_e32 v5, vcc, v15, v5, vcc
	global_load_dwordx2 v[8:9], v[4:5], off
	s_waitcnt vmcnt(1)
	v_subrev_co_u32_e32 v4, vcc, s2, v6
	v_subb_co_u32_e32 v5, vcc, v7, v17, vcc
	s_waitcnt vmcnt(0)
	v_add_co_u32_e32 v6, vcc, v8, v13
	v_addc_co_u32_e32 v7, vcc, v9, v14, vcc
	v_cmp_lt_i64_e32 vcc, v[6:7], v[4:5]
	s_and_saveexec_b64 s[24:25], vcc
	s_cbranch_execz .LBB28_6
; %bb.8:                                ;   in Loop: Header=BB28_7 Depth=1
	v_lshlrev_b64 v[8:9], 2, v[2:3]
	v_mov_b32_e32 v10, s21
	v_add_co_u32_e32 v8, vcc, s20, v8
	v_addc_co_u32_e32 v9, vcc, v10, v9, vcc
	global_load_dword v8, v[8:9], off
	s_mov_b64 s[26:27], 0
	s_waitcnt vmcnt(0)
	v_mul_f32_e32 v18, s10, v8
.LBB28_9:                               ;   Parent Loop BB28_7 Depth=1
                                        ; =>  This Loop Header: Depth=2
                                        ;       Child Loop BB28_10 Depth 3
	v_lshlrev_b64 v[8:9], 3, v[6:7]
	v_mov_b32_e32 v10, s17
	v_add_co_u32_e32 v8, vcc, s16, v8
	v_addc_co_u32_e32 v9, vcc, v10, v9, vcc
	global_load_dwordx2 v[8:9], v[8:9], off
	v_lshlrev_b64 v[10:11], 2, v[6:7]
	v_mov_b32_e32 v19, s19
	v_add_co_u32_e32 v10, vcc, s18, v10
	v_addc_co_u32_e32 v11, vcc, v19, v11, vcc
	v_mov_b32_e32 v20, s23
	global_load_dword v10, v[10:11], off
	s_mov_b64 s[28:29], 0
	s_waitcnt vmcnt(1)
	v_subrev_co_u32_e32 v8, vcc, s2, v8
	v_subb_co_u32_e32 v9, vcc, v9, v17, vcc
	v_lshlrev_b64 v[8:9], 2, v[8:9]
	v_add_co_u32_e32 v8, vcc, s22, v8
	v_addc_co_u32_e32 v9, vcc, v20, v9, vcc
	global_load_dword v11, v[8:9], off
	s_waitcnt vmcnt(1)
	v_mul_f32_e32 v19, v18, v10
.LBB28_10:                              ;   Parent Loop BB28_7 Depth=1
                                        ;     Parent Loop BB28_9 Depth=2
                                        ; =>    This Inner Loop Header: Depth=3
	s_waitcnt vmcnt(0)
	v_add_f32_e32 v10, v11, v19
	global_atomic_cmpswap v10, v[8:9], v[10:11], off glc
	s_waitcnt vmcnt(0)
	v_cmp_eq_u32_e32 vcc, v10, v11
	s_or_b64 s[28:29], vcc, s[28:29]
	v_mov_b32_e32 v11, v10
	s_andn2_b64 exec, exec, s[28:29]
	s_cbranch_execnz .LBB28_10
; %bb.11:                               ;   in Loop: Header=BB28_9 Depth=2
	s_or_b64 exec, exec, s[28:29]
	v_add_co_u32_e32 v6, vcc, 4, v6
	v_addc_co_u32_e32 v7, vcc, 0, v7, vcc
	v_cmp_ge_i64_e32 vcc, v[6:7], v[4:5]
	s_or_b64 s[26:27], vcc, s[26:27]
	s_andn2_b64 exec, exec, s[26:27]
	s_cbranch_execnz .LBB28_9
	s_branch .LBB28_6
.LBB28_12:
	s_or_b64 exec, exec, s[4:5]
	s_mov_b64 s[4:5], 0
.LBB28_13:
	s_andn2_b64 vcc, exec, s[4:5]
	s_cbranch_vccnz .LBB28_23
; %bb.14:
	s_and_saveexec_b64 s[4:5], s[0:1]
	s_cbranch_execz .LBB28_23
; %bb.15:
	v_subrev_co_u32_e32 v10, vcc, s2, v12
	s_mov_b32 s4, 0
	v_subb_co_u32_e64 v11, s[0:1], 0, 0, vcc
	s_mov_b64 s[0:1], 0
	v_mov_b32_e32 v12, s13
	v_mov_b32_e32 v13, s15
	;; [unrolled: 1-line block ×3, first 2 shown]
	s_branch .LBB28_17
.LBB28_16:                              ;   in Loop: Header=BB28_17 Depth=1
	s_or_b64 exec, exec, s[4:5]
	v_add_co_u32_e32 v0, vcc, s3, v0
	v_addc_co_u32_e32 v1, vcc, 0, v1, vcc
	v_cmp_le_i64_e32 vcc, s[8:9], v[0:1]
	s_or_b64 s[0:1], vcc, s[0:1]
	s_andn2_b64 exec, exec, s[0:1]
	s_cbranch_execz .LBB28_23
.LBB28_17:                              ; =>This Loop Header: Depth=1
                                        ;     Child Loop BB28_20 Depth 2
                                        ;       Child Loop BB28_22 Depth 3
	v_lshlrev_b64 v[2:3], 3, v[0:1]
	v_add_co_u32_e32 v4, vcc, s14, v2
	v_addc_co_u32_e32 v5, vcc, v13, v3, vcc
	global_load_dwordx2 v[4:5], v[4:5], off
	v_add_co_u32_e32 v2, vcc, s12, v2
	v_addc_co_u32_e32 v3, vcc, v12, v3, vcc
	global_load_dwordx2 v[6:7], v[2:3], off
	s_waitcnt vmcnt(1)
	v_subrev_co_u32_e32 v2, vcc, s2, v4
	v_subb_co_u32_e32 v3, vcc, v5, v14, vcc
	s_waitcnt vmcnt(0)
	v_add_co_u32_e32 v4, vcc, v6, v10
	v_addc_co_u32_e32 v5, vcc, v7, v11, vcc
	v_cmp_lt_i64_e32 vcc, v[4:5], v[2:3]
	s_and_saveexec_b64 s[4:5], vcc
	s_cbranch_execz .LBB28_16
; %bb.18:                               ;   in Loop: Header=BB28_17 Depth=1
	v_lshlrev_b64 v[6:7], 2, v[0:1]
	v_mov_b32_e32 v8, s21
	v_add_co_u32_e32 v6, vcc, s20, v6
	v_addc_co_u32_e32 v7, vcc, v8, v7, vcc
	global_load_dword v6, v[6:7], off
	s_mov_b64 s[6:7], 0
	s_waitcnt vmcnt(0)
	v_mul_f32_e32 v15, s10, v6
	s_branch .LBB28_20
.LBB28_19:                              ;   in Loop: Header=BB28_20 Depth=2
	s_or_b64 exec, exec, s[24:25]
	v_add_co_u32_e32 v4, vcc, 4, v4
	v_addc_co_u32_e32 v5, vcc, 0, v5, vcc
	v_cmp_ge_i64_e32 vcc, v[4:5], v[2:3]
	s_or_b64 s[6:7], vcc, s[6:7]
	s_andn2_b64 exec, exec, s[6:7]
	s_cbranch_execz .LBB28_16
.LBB28_20:                              ;   Parent Loop BB28_17 Depth=1
                                        ; =>  This Loop Header: Depth=2
                                        ;       Child Loop BB28_22 Depth 3
	v_lshlrev_b64 v[6:7], 3, v[4:5]
	v_mov_b32_e32 v8, s17
	v_add_co_u32_e32 v6, vcc, s16, v6
	v_addc_co_u32_e32 v7, vcc, v8, v7, vcc
	global_load_dwordx2 v[6:7], v[6:7], off
	s_waitcnt vmcnt(0)
	v_subrev_co_u32_e32 v6, vcc, s2, v6
	v_subb_co_u32_e32 v7, vcc, v7, v14, vcc
	v_cmp_ne_u64_e32 vcc, v[6:7], v[0:1]
	s_and_saveexec_b64 s[24:25], vcc
	s_cbranch_execz .LBB28_19
; %bb.21:                               ;   in Loop: Header=BB28_20 Depth=2
	v_lshlrev_b64 v[8:9], 2, v[4:5]
	v_mov_b32_e32 v16, s19
	v_add_co_u32_e32 v8, vcc, s18, v8
	v_addc_co_u32_e32 v9, vcc, v16, v9, vcc
	v_lshlrev_b64 v[6:7], 2, v[6:7]
	v_mov_b32_e32 v16, s23
	v_add_co_u32_e32 v6, vcc, s22, v6
	global_load_dword v8, v[8:9], off
	v_addc_co_u32_e32 v7, vcc, v16, v7, vcc
	global_load_dword v9, v[6:7], off
	s_mov_b64 s[26:27], 0
	s_waitcnt vmcnt(1)
	v_mul_f32_e32 v16, v15, v8
.LBB28_22:                              ;   Parent Loop BB28_17 Depth=1
                                        ;     Parent Loop BB28_20 Depth=2
                                        ; =>    This Inner Loop Header: Depth=3
	s_waitcnt vmcnt(0)
	v_add_f32_e32 v8, v9, v16
	global_atomic_cmpswap v8, v[6:7], v[8:9], off glc
	s_waitcnt vmcnt(0)
	v_cmp_eq_u32_e32 vcc, v8, v9
	s_or_b64 s[26:27], vcc, s[26:27]
	v_mov_b32_e32 v9, v8
	s_andn2_b64 exec, exec, s[26:27]
	s_cbranch_execnz .LBB28_22
	s_branch .LBB28_19
.LBB28_23:
	s_endpgm
	.section	.rodata,"a",@progbits
	.p2align	6, 0x0
	.amdhsa_kernel _ZN9rocsparseL21csrmvt_general_kernelILj256ELj4EllffffEEvbbT2_NS_24const_host_device_scalarIT6_EEPKT1_S7_PKS1_PKT3_PKT4_PT5_21rocsparse_index_base_b
		.amdhsa_group_segment_fixed_size 0
		.amdhsa_private_segment_fixed_size 0
		.amdhsa_kernarg_size 336
		.amdhsa_user_sgpr_count 6
		.amdhsa_user_sgpr_private_segment_buffer 1
		.amdhsa_user_sgpr_dispatch_ptr 0
		.amdhsa_user_sgpr_queue_ptr 0
		.amdhsa_user_sgpr_kernarg_segment_ptr 1
		.amdhsa_user_sgpr_dispatch_id 0
		.amdhsa_user_sgpr_flat_scratch_init 0
		.amdhsa_user_sgpr_kernarg_preload_length 0
		.amdhsa_user_sgpr_kernarg_preload_offset 0
		.amdhsa_user_sgpr_private_segment_size 0
		.amdhsa_uses_dynamic_stack 0
		.amdhsa_system_sgpr_private_segment_wavefront_offset 0
		.amdhsa_system_sgpr_workgroup_id_x 1
		.amdhsa_system_sgpr_workgroup_id_y 0
		.amdhsa_system_sgpr_workgroup_id_z 0
		.amdhsa_system_sgpr_workgroup_info 0
		.amdhsa_system_vgpr_workitem_id 0
		.amdhsa_next_free_vgpr 21
		.amdhsa_next_free_sgpr 30
		.amdhsa_accum_offset 24
		.amdhsa_reserve_vcc 1
		.amdhsa_reserve_flat_scratch 0
		.amdhsa_float_round_mode_32 0
		.amdhsa_float_round_mode_16_64 0
		.amdhsa_float_denorm_mode_32 3
		.amdhsa_float_denorm_mode_16_64 3
		.amdhsa_dx10_clamp 1
		.amdhsa_ieee_mode 1
		.amdhsa_fp16_overflow 0
		.amdhsa_tg_split 0
		.amdhsa_exception_fp_ieee_invalid_op 0
		.amdhsa_exception_fp_denorm_src 0
		.amdhsa_exception_fp_ieee_div_zero 0
		.amdhsa_exception_fp_ieee_overflow 0
		.amdhsa_exception_fp_ieee_underflow 0
		.amdhsa_exception_fp_ieee_inexact 0
		.amdhsa_exception_int_div_zero 0
	.end_amdhsa_kernel
	.section	.text._ZN9rocsparseL21csrmvt_general_kernelILj256ELj4EllffffEEvbbT2_NS_24const_host_device_scalarIT6_EEPKT1_S7_PKS1_PKT3_PKT4_PT5_21rocsparse_index_base_b,"axG",@progbits,_ZN9rocsparseL21csrmvt_general_kernelILj256ELj4EllffffEEvbbT2_NS_24const_host_device_scalarIT6_EEPKT1_S7_PKS1_PKT3_PKT4_PT5_21rocsparse_index_base_b,comdat
.Lfunc_end28:
	.size	_ZN9rocsparseL21csrmvt_general_kernelILj256ELj4EllffffEEvbbT2_NS_24const_host_device_scalarIT6_EEPKT1_S7_PKS1_PKT3_PKT4_PT5_21rocsparse_index_base_b, .Lfunc_end28-_ZN9rocsparseL21csrmvt_general_kernelILj256ELj4EllffffEEvbbT2_NS_24const_host_device_scalarIT6_EEPKT1_S7_PKS1_PKT3_PKT4_PT5_21rocsparse_index_base_b
                                        ; -- End function
	.section	.AMDGPU.csdata,"",@progbits
; Kernel info:
; codeLenInByte = 920
; NumSgprs: 34
; NumVgprs: 21
; NumAgprs: 0
; TotalNumVgprs: 21
; ScratchSize: 0
; MemoryBound: 0
; FloatMode: 240
; IeeeMode: 1
; LDSByteSize: 0 bytes/workgroup (compile time only)
; SGPRBlocks: 4
; VGPRBlocks: 2
; NumSGPRsForWavesPerEU: 34
; NumVGPRsForWavesPerEU: 21
; AccumOffset: 24
; Occupancy: 8
; WaveLimiterHint : 1
; COMPUTE_PGM_RSRC2:SCRATCH_EN: 0
; COMPUTE_PGM_RSRC2:USER_SGPR: 6
; COMPUTE_PGM_RSRC2:TRAP_HANDLER: 0
; COMPUTE_PGM_RSRC2:TGID_X_EN: 1
; COMPUTE_PGM_RSRC2:TGID_Y_EN: 0
; COMPUTE_PGM_RSRC2:TGID_Z_EN: 0
; COMPUTE_PGM_RSRC2:TIDIG_COMP_CNT: 0
; COMPUTE_PGM_RSRC3_GFX90A:ACCUM_OFFSET: 5
; COMPUTE_PGM_RSRC3_GFX90A:TG_SPLIT: 0
	.section	.text._ZN9rocsparseL21csrmvt_general_kernelILj256ELj8EllffffEEvbbT2_NS_24const_host_device_scalarIT6_EEPKT1_S7_PKS1_PKT3_PKT4_PT5_21rocsparse_index_base_b,"axG",@progbits,_ZN9rocsparseL21csrmvt_general_kernelILj256ELj8EllffffEEvbbT2_NS_24const_host_device_scalarIT6_EEPKT1_S7_PKS1_PKT3_PKT4_PT5_21rocsparse_index_base_b,comdat
	.globl	_ZN9rocsparseL21csrmvt_general_kernelILj256ELj8EllffffEEvbbT2_NS_24const_host_device_scalarIT6_EEPKT1_S7_PKS1_PKT3_PKT4_PT5_21rocsparse_index_base_b ; -- Begin function _ZN9rocsparseL21csrmvt_general_kernelILj256ELj8EllffffEEvbbT2_NS_24const_host_device_scalarIT6_EEPKT1_S7_PKS1_PKT3_PKT4_PT5_21rocsparse_index_base_b
	.p2align	8
	.type	_ZN9rocsparseL21csrmvt_general_kernelILj256ELj8EllffffEEvbbT2_NS_24const_host_device_scalarIT6_EEPKT1_S7_PKS1_PKT3_PKT4_PT5_21rocsparse_index_base_b,@function
_ZN9rocsparseL21csrmvt_general_kernelILj256ELj8EllffffEEvbbT2_NS_24const_host_device_scalarIT6_EEPKT1_S7_PKS1_PKT3_PKT4_PT5_21rocsparse_index_base_b: ; @_ZN9rocsparseL21csrmvt_general_kernelILj256ELj8EllffffEEvbbT2_NS_24const_host_device_scalarIT6_EEPKT1_S7_PKS1_PKT3_PKT4_PT5_21rocsparse_index_base_b
; %bb.0:
	s_load_dwordx2 s[2:3], s[4:5], 0x48
	s_load_dwordx8 s[8:15], s[4:5], 0x8
	s_waitcnt lgkmcnt(0)
	s_bitcmp1_b32 s3, 0
	s_cselect_b64 s[0:1], -1, 0
	s_and_b64 vcc, exec, s[0:1]
	s_cbranch_vccnz .LBB29_2
; %bb.1:
	s_load_dword s10, s[10:11], 0x0
.LBB29_2:
	s_waitcnt lgkmcnt(0)
	v_cmp_eq_f32_e64 s[0:1], s10, 0
	s_and_b64 vcc, exec, s[0:1]
	s_cbranch_vccnz .LBB29_23
; %bb.3:
	s_load_dword s0, s[4:5], 0x0
	s_load_dword s1, s[4:5], 0x50
	s_load_dwordx8 s[16:23], s[4:5], 0x28
	v_and_b32_e32 v12, 7, v0
	v_lshl_or_b32 v0, s6, 8, v0
	s_waitcnt lgkmcnt(0)
	s_and_b32 s0, s0, 1
	s_lshl_b32 s3, s1, 5
	v_lshrrev_b32_e32 v0, 3, v0
	v_mov_b32_e32 v1, 0
	s_cmp_eq_u32 s0, 0
	v_cmp_gt_i64_e64 s[0:1], s[8:9], v[0:1]
	s_mov_b64 s[4:5], -1
	s_cbranch_scc0 .LBB29_13
; %bb.4:
	s_and_saveexec_b64 s[4:5], s[0:1]
	s_cbranch_execz .LBB29_12
; %bb.5:
	v_subrev_co_u32_e32 v13, vcc, s2, v12
	s_mov_b32 s11, 0
	v_subb_co_u32_e64 v14, s[6:7], 0, 0, vcc
	s_mov_b64 s[6:7], 0
	v_mov_b32_e32 v15, s13
	v_mov_b32_e32 v16, s15
	;; [unrolled: 1-line block ×3, first 2 shown]
	v_pk_mov_b32 v[2:3], v[0:1], v[0:1] op_sel:[0,1]
	s_branch .LBB29_7
.LBB29_6:                               ;   in Loop: Header=BB29_7 Depth=1
	s_or_b64 exec, exec, s[24:25]
	v_add_co_u32_e32 v2, vcc, s3, v2
	v_addc_co_u32_e32 v3, vcc, 0, v3, vcc
	v_cmp_le_i64_e32 vcc, s[8:9], v[2:3]
	s_or_b64 s[6:7], vcc, s[6:7]
	s_andn2_b64 exec, exec, s[6:7]
	s_cbranch_execz .LBB29_12
.LBB29_7:                               ; =>This Loop Header: Depth=1
                                        ;     Child Loop BB29_9 Depth 2
                                        ;       Child Loop BB29_10 Depth 3
	v_lshlrev_b64 v[4:5], 3, v[2:3]
	v_add_co_u32_e32 v6, vcc, s14, v4
	v_addc_co_u32_e32 v7, vcc, v16, v5, vcc
	global_load_dwordx2 v[6:7], v[6:7], off
	v_add_co_u32_e32 v4, vcc, s12, v4
	v_addc_co_u32_e32 v5, vcc, v15, v5, vcc
	global_load_dwordx2 v[8:9], v[4:5], off
	s_waitcnt vmcnt(1)
	v_subrev_co_u32_e32 v4, vcc, s2, v6
	v_subb_co_u32_e32 v5, vcc, v7, v17, vcc
	s_waitcnt vmcnt(0)
	v_add_co_u32_e32 v6, vcc, v8, v13
	v_addc_co_u32_e32 v7, vcc, v9, v14, vcc
	v_cmp_lt_i64_e32 vcc, v[6:7], v[4:5]
	s_and_saveexec_b64 s[24:25], vcc
	s_cbranch_execz .LBB29_6
; %bb.8:                                ;   in Loop: Header=BB29_7 Depth=1
	v_lshlrev_b64 v[8:9], 2, v[2:3]
	v_mov_b32_e32 v10, s21
	v_add_co_u32_e32 v8, vcc, s20, v8
	v_addc_co_u32_e32 v9, vcc, v10, v9, vcc
	global_load_dword v8, v[8:9], off
	s_mov_b64 s[26:27], 0
	s_waitcnt vmcnt(0)
	v_mul_f32_e32 v18, s10, v8
.LBB29_9:                               ;   Parent Loop BB29_7 Depth=1
                                        ; =>  This Loop Header: Depth=2
                                        ;       Child Loop BB29_10 Depth 3
	v_lshlrev_b64 v[8:9], 3, v[6:7]
	v_mov_b32_e32 v10, s17
	v_add_co_u32_e32 v8, vcc, s16, v8
	v_addc_co_u32_e32 v9, vcc, v10, v9, vcc
	global_load_dwordx2 v[8:9], v[8:9], off
	v_lshlrev_b64 v[10:11], 2, v[6:7]
	v_mov_b32_e32 v19, s19
	v_add_co_u32_e32 v10, vcc, s18, v10
	v_addc_co_u32_e32 v11, vcc, v19, v11, vcc
	v_mov_b32_e32 v20, s23
	global_load_dword v10, v[10:11], off
	s_mov_b64 s[28:29], 0
	s_waitcnt vmcnt(1)
	v_subrev_co_u32_e32 v8, vcc, s2, v8
	v_subb_co_u32_e32 v9, vcc, v9, v17, vcc
	v_lshlrev_b64 v[8:9], 2, v[8:9]
	v_add_co_u32_e32 v8, vcc, s22, v8
	v_addc_co_u32_e32 v9, vcc, v20, v9, vcc
	global_load_dword v11, v[8:9], off
	s_waitcnt vmcnt(1)
	v_mul_f32_e32 v19, v18, v10
.LBB29_10:                              ;   Parent Loop BB29_7 Depth=1
                                        ;     Parent Loop BB29_9 Depth=2
                                        ; =>    This Inner Loop Header: Depth=3
	s_waitcnt vmcnt(0)
	v_add_f32_e32 v10, v11, v19
	global_atomic_cmpswap v10, v[8:9], v[10:11], off glc
	s_waitcnt vmcnt(0)
	v_cmp_eq_u32_e32 vcc, v10, v11
	s_or_b64 s[28:29], vcc, s[28:29]
	v_mov_b32_e32 v11, v10
	s_andn2_b64 exec, exec, s[28:29]
	s_cbranch_execnz .LBB29_10
; %bb.11:                               ;   in Loop: Header=BB29_9 Depth=2
	s_or_b64 exec, exec, s[28:29]
	v_add_co_u32_e32 v6, vcc, 8, v6
	v_addc_co_u32_e32 v7, vcc, 0, v7, vcc
	v_cmp_ge_i64_e32 vcc, v[6:7], v[4:5]
	s_or_b64 s[26:27], vcc, s[26:27]
	s_andn2_b64 exec, exec, s[26:27]
	s_cbranch_execnz .LBB29_9
	s_branch .LBB29_6
.LBB29_12:
	s_or_b64 exec, exec, s[4:5]
	s_mov_b64 s[4:5], 0
.LBB29_13:
	s_andn2_b64 vcc, exec, s[4:5]
	s_cbranch_vccnz .LBB29_23
; %bb.14:
	s_and_saveexec_b64 s[4:5], s[0:1]
	s_cbranch_execz .LBB29_23
; %bb.15:
	v_subrev_co_u32_e32 v10, vcc, s2, v12
	s_mov_b32 s4, 0
	v_subb_co_u32_e64 v11, s[0:1], 0, 0, vcc
	s_mov_b64 s[0:1], 0
	v_mov_b32_e32 v12, s13
	v_mov_b32_e32 v13, s15
	;; [unrolled: 1-line block ×3, first 2 shown]
	s_branch .LBB29_17
.LBB29_16:                              ;   in Loop: Header=BB29_17 Depth=1
	s_or_b64 exec, exec, s[4:5]
	v_add_co_u32_e32 v0, vcc, s3, v0
	v_addc_co_u32_e32 v1, vcc, 0, v1, vcc
	v_cmp_le_i64_e32 vcc, s[8:9], v[0:1]
	s_or_b64 s[0:1], vcc, s[0:1]
	s_andn2_b64 exec, exec, s[0:1]
	s_cbranch_execz .LBB29_23
.LBB29_17:                              ; =>This Loop Header: Depth=1
                                        ;     Child Loop BB29_20 Depth 2
                                        ;       Child Loop BB29_22 Depth 3
	v_lshlrev_b64 v[2:3], 3, v[0:1]
	v_add_co_u32_e32 v4, vcc, s14, v2
	v_addc_co_u32_e32 v5, vcc, v13, v3, vcc
	global_load_dwordx2 v[4:5], v[4:5], off
	v_add_co_u32_e32 v2, vcc, s12, v2
	v_addc_co_u32_e32 v3, vcc, v12, v3, vcc
	global_load_dwordx2 v[6:7], v[2:3], off
	s_waitcnt vmcnt(1)
	v_subrev_co_u32_e32 v2, vcc, s2, v4
	v_subb_co_u32_e32 v3, vcc, v5, v14, vcc
	s_waitcnt vmcnt(0)
	v_add_co_u32_e32 v4, vcc, v6, v10
	v_addc_co_u32_e32 v5, vcc, v7, v11, vcc
	v_cmp_lt_i64_e32 vcc, v[4:5], v[2:3]
	s_and_saveexec_b64 s[4:5], vcc
	s_cbranch_execz .LBB29_16
; %bb.18:                               ;   in Loop: Header=BB29_17 Depth=1
	v_lshlrev_b64 v[6:7], 2, v[0:1]
	v_mov_b32_e32 v8, s21
	v_add_co_u32_e32 v6, vcc, s20, v6
	v_addc_co_u32_e32 v7, vcc, v8, v7, vcc
	global_load_dword v6, v[6:7], off
	s_mov_b64 s[6:7], 0
	s_waitcnt vmcnt(0)
	v_mul_f32_e32 v15, s10, v6
	s_branch .LBB29_20
.LBB29_19:                              ;   in Loop: Header=BB29_20 Depth=2
	s_or_b64 exec, exec, s[24:25]
	v_add_co_u32_e32 v4, vcc, 8, v4
	v_addc_co_u32_e32 v5, vcc, 0, v5, vcc
	v_cmp_ge_i64_e32 vcc, v[4:5], v[2:3]
	s_or_b64 s[6:7], vcc, s[6:7]
	s_andn2_b64 exec, exec, s[6:7]
	s_cbranch_execz .LBB29_16
.LBB29_20:                              ;   Parent Loop BB29_17 Depth=1
                                        ; =>  This Loop Header: Depth=2
                                        ;       Child Loop BB29_22 Depth 3
	v_lshlrev_b64 v[6:7], 3, v[4:5]
	v_mov_b32_e32 v8, s17
	v_add_co_u32_e32 v6, vcc, s16, v6
	v_addc_co_u32_e32 v7, vcc, v8, v7, vcc
	global_load_dwordx2 v[6:7], v[6:7], off
	s_waitcnt vmcnt(0)
	v_subrev_co_u32_e32 v6, vcc, s2, v6
	v_subb_co_u32_e32 v7, vcc, v7, v14, vcc
	v_cmp_ne_u64_e32 vcc, v[6:7], v[0:1]
	s_and_saveexec_b64 s[24:25], vcc
	s_cbranch_execz .LBB29_19
; %bb.21:                               ;   in Loop: Header=BB29_20 Depth=2
	v_lshlrev_b64 v[8:9], 2, v[4:5]
	v_mov_b32_e32 v16, s19
	v_add_co_u32_e32 v8, vcc, s18, v8
	v_addc_co_u32_e32 v9, vcc, v16, v9, vcc
	v_lshlrev_b64 v[6:7], 2, v[6:7]
	v_mov_b32_e32 v16, s23
	v_add_co_u32_e32 v6, vcc, s22, v6
	global_load_dword v8, v[8:9], off
	v_addc_co_u32_e32 v7, vcc, v16, v7, vcc
	global_load_dword v9, v[6:7], off
	s_mov_b64 s[26:27], 0
	s_waitcnt vmcnt(1)
	v_mul_f32_e32 v16, v15, v8
.LBB29_22:                              ;   Parent Loop BB29_17 Depth=1
                                        ;     Parent Loop BB29_20 Depth=2
                                        ; =>    This Inner Loop Header: Depth=3
	s_waitcnt vmcnt(0)
	v_add_f32_e32 v8, v9, v16
	global_atomic_cmpswap v8, v[6:7], v[8:9], off glc
	s_waitcnt vmcnt(0)
	v_cmp_eq_u32_e32 vcc, v8, v9
	s_or_b64 s[26:27], vcc, s[26:27]
	v_mov_b32_e32 v9, v8
	s_andn2_b64 exec, exec, s[26:27]
	s_cbranch_execnz .LBB29_22
	s_branch .LBB29_19
.LBB29_23:
	s_endpgm
	.section	.rodata,"a",@progbits
	.p2align	6, 0x0
	.amdhsa_kernel _ZN9rocsparseL21csrmvt_general_kernelILj256ELj8EllffffEEvbbT2_NS_24const_host_device_scalarIT6_EEPKT1_S7_PKS1_PKT3_PKT4_PT5_21rocsparse_index_base_b
		.amdhsa_group_segment_fixed_size 0
		.amdhsa_private_segment_fixed_size 0
		.amdhsa_kernarg_size 336
		.amdhsa_user_sgpr_count 6
		.amdhsa_user_sgpr_private_segment_buffer 1
		.amdhsa_user_sgpr_dispatch_ptr 0
		.amdhsa_user_sgpr_queue_ptr 0
		.amdhsa_user_sgpr_kernarg_segment_ptr 1
		.amdhsa_user_sgpr_dispatch_id 0
		.amdhsa_user_sgpr_flat_scratch_init 0
		.amdhsa_user_sgpr_kernarg_preload_length 0
		.amdhsa_user_sgpr_kernarg_preload_offset 0
		.amdhsa_user_sgpr_private_segment_size 0
		.amdhsa_uses_dynamic_stack 0
		.amdhsa_system_sgpr_private_segment_wavefront_offset 0
		.amdhsa_system_sgpr_workgroup_id_x 1
		.amdhsa_system_sgpr_workgroup_id_y 0
		.amdhsa_system_sgpr_workgroup_id_z 0
		.amdhsa_system_sgpr_workgroup_info 0
		.amdhsa_system_vgpr_workitem_id 0
		.amdhsa_next_free_vgpr 21
		.amdhsa_next_free_sgpr 30
		.amdhsa_accum_offset 24
		.amdhsa_reserve_vcc 1
		.amdhsa_reserve_flat_scratch 0
		.amdhsa_float_round_mode_32 0
		.amdhsa_float_round_mode_16_64 0
		.amdhsa_float_denorm_mode_32 3
		.amdhsa_float_denorm_mode_16_64 3
		.amdhsa_dx10_clamp 1
		.amdhsa_ieee_mode 1
		.amdhsa_fp16_overflow 0
		.amdhsa_tg_split 0
		.amdhsa_exception_fp_ieee_invalid_op 0
		.amdhsa_exception_fp_denorm_src 0
		.amdhsa_exception_fp_ieee_div_zero 0
		.amdhsa_exception_fp_ieee_overflow 0
		.amdhsa_exception_fp_ieee_underflow 0
		.amdhsa_exception_fp_ieee_inexact 0
		.amdhsa_exception_int_div_zero 0
	.end_amdhsa_kernel
	.section	.text._ZN9rocsparseL21csrmvt_general_kernelILj256ELj8EllffffEEvbbT2_NS_24const_host_device_scalarIT6_EEPKT1_S7_PKS1_PKT3_PKT4_PT5_21rocsparse_index_base_b,"axG",@progbits,_ZN9rocsparseL21csrmvt_general_kernelILj256ELj8EllffffEEvbbT2_NS_24const_host_device_scalarIT6_EEPKT1_S7_PKS1_PKT3_PKT4_PT5_21rocsparse_index_base_b,comdat
.Lfunc_end29:
	.size	_ZN9rocsparseL21csrmvt_general_kernelILj256ELj8EllffffEEvbbT2_NS_24const_host_device_scalarIT6_EEPKT1_S7_PKS1_PKT3_PKT4_PT5_21rocsparse_index_base_b, .Lfunc_end29-_ZN9rocsparseL21csrmvt_general_kernelILj256ELj8EllffffEEvbbT2_NS_24const_host_device_scalarIT6_EEPKT1_S7_PKS1_PKT3_PKT4_PT5_21rocsparse_index_base_b
                                        ; -- End function
	.section	.AMDGPU.csdata,"",@progbits
; Kernel info:
; codeLenInByte = 920
; NumSgprs: 34
; NumVgprs: 21
; NumAgprs: 0
; TotalNumVgprs: 21
; ScratchSize: 0
; MemoryBound: 0
; FloatMode: 240
; IeeeMode: 1
; LDSByteSize: 0 bytes/workgroup (compile time only)
; SGPRBlocks: 4
; VGPRBlocks: 2
; NumSGPRsForWavesPerEU: 34
; NumVGPRsForWavesPerEU: 21
; AccumOffset: 24
; Occupancy: 8
; WaveLimiterHint : 1
; COMPUTE_PGM_RSRC2:SCRATCH_EN: 0
; COMPUTE_PGM_RSRC2:USER_SGPR: 6
; COMPUTE_PGM_RSRC2:TRAP_HANDLER: 0
; COMPUTE_PGM_RSRC2:TGID_X_EN: 1
; COMPUTE_PGM_RSRC2:TGID_Y_EN: 0
; COMPUTE_PGM_RSRC2:TGID_Z_EN: 0
; COMPUTE_PGM_RSRC2:TIDIG_COMP_CNT: 0
; COMPUTE_PGM_RSRC3_GFX90A:ACCUM_OFFSET: 5
; COMPUTE_PGM_RSRC3_GFX90A:TG_SPLIT: 0
	.section	.text._ZN9rocsparseL21csrmvt_general_kernelILj256ELj16EllffffEEvbbT2_NS_24const_host_device_scalarIT6_EEPKT1_S7_PKS1_PKT3_PKT4_PT5_21rocsparse_index_base_b,"axG",@progbits,_ZN9rocsparseL21csrmvt_general_kernelILj256ELj16EllffffEEvbbT2_NS_24const_host_device_scalarIT6_EEPKT1_S7_PKS1_PKT3_PKT4_PT5_21rocsparse_index_base_b,comdat
	.globl	_ZN9rocsparseL21csrmvt_general_kernelILj256ELj16EllffffEEvbbT2_NS_24const_host_device_scalarIT6_EEPKT1_S7_PKS1_PKT3_PKT4_PT5_21rocsparse_index_base_b ; -- Begin function _ZN9rocsparseL21csrmvt_general_kernelILj256ELj16EllffffEEvbbT2_NS_24const_host_device_scalarIT6_EEPKT1_S7_PKS1_PKT3_PKT4_PT5_21rocsparse_index_base_b
	.p2align	8
	.type	_ZN9rocsparseL21csrmvt_general_kernelILj256ELj16EllffffEEvbbT2_NS_24const_host_device_scalarIT6_EEPKT1_S7_PKS1_PKT3_PKT4_PT5_21rocsparse_index_base_b,@function
_ZN9rocsparseL21csrmvt_general_kernelILj256ELj16EllffffEEvbbT2_NS_24const_host_device_scalarIT6_EEPKT1_S7_PKS1_PKT3_PKT4_PT5_21rocsparse_index_base_b: ; @_ZN9rocsparseL21csrmvt_general_kernelILj256ELj16EllffffEEvbbT2_NS_24const_host_device_scalarIT6_EEPKT1_S7_PKS1_PKT3_PKT4_PT5_21rocsparse_index_base_b
; %bb.0:
	s_load_dwordx2 s[2:3], s[4:5], 0x48
	s_load_dwordx8 s[8:15], s[4:5], 0x8
	s_waitcnt lgkmcnt(0)
	s_bitcmp1_b32 s3, 0
	s_cselect_b64 s[0:1], -1, 0
	s_and_b64 vcc, exec, s[0:1]
	s_cbranch_vccnz .LBB30_2
; %bb.1:
	s_load_dword s10, s[10:11], 0x0
.LBB30_2:
	s_waitcnt lgkmcnt(0)
	v_cmp_eq_f32_e64 s[0:1], s10, 0
	s_and_b64 vcc, exec, s[0:1]
	s_cbranch_vccnz .LBB30_23
; %bb.3:
	s_load_dword s0, s[4:5], 0x0
	s_load_dword s1, s[4:5], 0x50
	s_load_dwordx8 s[16:23], s[4:5], 0x28
	v_and_b32_e32 v12, 15, v0
	v_lshl_or_b32 v0, s6, 8, v0
	s_waitcnt lgkmcnt(0)
	s_and_b32 s0, s0, 1
	s_lshl_b32 s3, s1, 4
	v_lshrrev_b32_e32 v0, 4, v0
	v_mov_b32_e32 v1, 0
	s_cmp_eq_u32 s0, 0
	v_cmp_gt_i64_e64 s[0:1], s[8:9], v[0:1]
	s_mov_b64 s[4:5], -1
	s_cbranch_scc0 .LBB30_13
; %bb.4:
	s_and_saveexec_b64 s[4:5], s[0:1]
	s_cbranch_execz .LBB30_12
; %bb.5:
	v_subrev_co_u32_e32 v13, vcc, s2, v12
	s_mov_b32 s11, 0
	v_subb_co_u32_e64 v14, s[6:7], 0, 0, vcc
	s_mov_b64 s[6:7], 0
	v_mov_b32_e32 v15, s13
	v_mov_b32_e32 v16, s15
	;; [unrolled: 1-line block ×3, first 2 shown]
	v_pk_mov_b32 v[2:3], v[0:1], v[0:1] op_sel:[0,1]
	s_branch .LBB30_7
.LBB30_6:                               ;   in Loop: Header=BB30_7 Depth=1
	s_or_b64 exec, exec, s[24:25]
	v_add_co_u32_e32 v2, vcc, s3, v2
	v_addc_co_u32_e32 v3, vcc, 0, v3, vcc
	v_cmp_le_i64_e32 vcc, s[8:9], v[2:3]
	s_or_b64 s[6:7], vcc, s[6:7]
	s_andn2_b64 exec, exec, s[6:7]
	s_cbranch_execz .LBB30_12
.LBB30_7:                               ; =>This Loop Header: Depth=1
                                        ;     Child Loop BB30_9 Depth 2
                                        ;       Child Loop BB30_10 Depth 3
	v_lshlrev_b64 v[4:5], 3, v[2:3]
	v_add_co_u32_e32 v6, vcc, s14, v4
	v_addc_co_u32_e32 v7, vcc, v16, v5, vcc
	global_load_dwordx2 v[6:7], v[6:7], off
	v_add_co_u32_e32 v4, vcc, s12, v4
	v_addc_co_u32_e32 v5, vcc, v15, v5, vcc
	global_load_dwordx2 v[8:9], v[4:5], off
	s_waitcnt vmcnt(1)
	v_subrev_co_u32_e32 v4, vcc, s2, v6
	v_subb_co_u32_e32 v5, vcc, v7, v17, vcc
	s_waitcnt vmcnt(0)
	v_add_co_u32_e32 v6, vcc, v8, v13
	v_addc_co_u32_e32 v7, vcc, v9, v14, vcc
	v_cmp_lt_i64_e32 vcc, v[6:7], v[4:5]
	s_and_saveexec_b64 s[24:25], vcc
	s_cbranch_execz .LBB30_6
; %bb.8:                                ;   in Loop: Header=BB30_7 Depth=1
	v_lshlrev_b64 v[8:9], 2, v[2:3]
	v_mov_b32_e32 v10, s21
	v_add_co_u32_e32 v8, vcc, s20, v8
	v_addc_co_u32_e32 v9, vcc, v10, v9, vcc
	global_load_dword v8, v[8:9], off
	s_mov_b64 s[26:27], 0
	s_waitcnt vmcnt(0)
	v_mul_f32_e32 v18, s10, v8
.LBB30_9:                               ;   Parent Loop BB30_7 Depth=1
                                        ; =>  This Loop Header: Depth=2
                                        ;       Child Loop BB30_10 Depth 3
	v_lshlrev_b64 v[8:9], 3, v[6:7]
	v_mov_b32_e32 v10, s17
	v_add_co_u32_e32 v8, vcc, s16, v8
	v_addc_co_u32_e32 v9, vcc, v10, v9, vcc
	global_load_dwordx2 v[8:9], v[8:9], off
	v_lshlrev_b64 v[10:11], 2, v[6:7]
	v_mov_b32_e32 v19, s19
	v_add_co_u32_e32 v10, vcc, s18, v10
	v_addc_co_u32_e32 v11, vcc, v19, v11, vcc
	v_mov_b32_e32 v20, s23
	global_load_dword v10, v[10:11], off
	s_mov_b64 s[28:29], 0
	s_waitcnt vmcnt(1)
	v_subrev_co_u32_e32 v8, vcc, s2, v8
	v_subb_co_u32_e32 v9, vcc, v9, v17, vcc
	v_lshlrev_b64 v[8:9], 2, v[8:9]
	v_add_co_u32_e32 v8, vcc, s22, v8
	v_addc_co_u32_e32 v9, vcc, v20, v9, vcc
	global_load_dword v11, v[8:9], off
	s_waitcnt vmcnt(1)
	v_mul_f32_e32 v19, v18, v10
.LBB30_10:                              ;   Parent Loop BB30_7 Depth=1
                                        ;     Parent Loop BB30_9 Depth=2
                                        ; =>    This Inner Loop Header: Depth=3
	s_waitcnt vmcnt(0)
	v_add_f32_e32 v10, v11, v19
	global_atomic_cmpswap v10, v[8:9], v[10:11], off glc
	s_waitcnt vmcnt(0)
	v_cmp_eq_u32_e32 vcc, v10, v11
	s_or_b64 s[28:29], vcc, s[28:29]
	v_mov_b32_e32 v11, v10
	s_andn2_b64 exec, exec, s[28:29]
	s_cbranch_execnz .LBB30_10
; %bb.11:                               ;   in Loop: Header=BB30_9 Depth=2
	s_or_b64 exec, exec, s[28:29]
	v_add_co_u32_e32 v6, vcc, 16, v6
	v_addc_co_u32_e32 v7, vcc, 0, v7, vcc
	v_cmp_ge_i64_e32 vcc, v[6:7], v[4:5]
	s_or_b64 s[26:27], vcc, s[26:27]
	s_andn2_b64 exec, exec, s[26:27]
	s_cbranch_execnz .LBB30_9
	s_branch .LBB30_6
.LBB30_12:
	s_or_b64 exec, exec, s[4:5]
	s_mov_b64 s[4:5], 0
.LBB30_13:
	s_andn2_b64 vcc, exec, s[4:5]
	s_cbranch_vccnz .LBB30_23
; %bb.14:
	s_and_saveexec_b64 s[4:5], s[0:1]
	s_cbranch_execz .LBB30_23
; %bb.15:
	v_subrev_co_u32_e32 v10, vcc, s2, v12
	s_mov_b32 s4, 0
	v_subb_co_u32_e64 v11, s[0:1], 0, 0, vcc
	s_mov_b64 s[0:1], 0
	v_mov_b32_e32 v12, s13
	v_mov_b32_e32 v13, s15
	;; [unrolled: 1-line block ×3, first 2 shown]
	s_branch .LBB30_17
.LBB30_16:                              ;   in Loop: Header=BB30_17 Depth=1
	s_or_b64 exec, exec, s[4:5]
	v_add_co_u32_e32 v0, vcc, s3, v0
	v_addc_co_u32_e32 v1, vcc, 0, v1, vcc
	v_cmp_le_i64_e32 vcc, s[8:9], v[0:1]
	s_or_b64 s[0:1], vcc, s[0:1]
	s_andn2_b64 exec, exec, s[0:1]
	s_cbranch_execz .LBB30_23
.LBB30_17:                              ; =>This Loop Header: Depth=1
                                        ;     Child Loop BB30_20 Depth 2
                                        ;       Child Loop BB30_22 Depth 3
	v_lshlrev_b64 v[2:3], 3, v[0:1]
	v_add_co_u32_e32 v4, vcc, s14, v2
	v_addc_co_u32_e32 v5, vcc, v13, v3, vcc
	global_load_dwordx2 v[4:5], v[4:5], off
	v_add_co_u32_e32 v2, vcc, s12, v2
	v_addc_co_u32_e32 v3, vcc, v12, v3, vcc
	global_load_dwordx2 v[6:7], v[2:3], off
	s_waitcnt vmcnt(1)
	v_subrev_co_u32_e32 v2, vcc, s2, v4
	v_subb_co_u32_e32 v3, vcc, v5, v14, vcc
	s_waitcnt vmcnt(0)
	v_add_co_u32_e32 v4, vcc, v6, v10
	v_addc_co_u32_e32 v5, vcc, v7, v11, vcc
	v_cmp_lt_i64_e32 vcc, v[4:5], v[2:3]
	s_and_saveexec_b64 s[4:5], vcc
	s_cbranch_execz .LBB30_16
; %bb.18:                               ;   in Loop: Header=BB30_17 Depth=1
	v_lshlrev_b64 v[6:7], 2, v[0:1]
	v_mov_b32_e32 v8, s21
	v_add_co_u32_e32 v6, vcc, s20, v6
	v_addc_co_u32_e32 v7, vcc, v8, v7, vcc
	global_load_dword v6, v[6:7], off
	s_mov_b64 s[6:7], 0
	s_waitcnt vmcnt(0)
	v_mul_f32_e32 v15, s10, v6
	s_branch .LBB30_20
.LBB30_19:                              ;   in Loop: Header=BB30_20 Depth=2
	s_or_b64 exec, exec, s[24:25]
	v_add_co_u32_e32 v4, vcc, 16, v4
	v_addc_co_u32_e32 v5, vcc, 0, v5, vcc
	v_cmp_ge_i64_e32 vcc, v[4:5], v[2:3]
	s_or_b64 s[6:7], vcc, s[6:7]
	s_andn2_b64 exec, exec, s[6:7]
	s_cbranch_execz .LBB30_16
.LBB30_20:                              ;   Parent Loop BB30_17 Depth=1
                                        ; =>  This Loop Header: Depth=2
                                        ;       Child Loop BB30_22 Depth 3
	v_lshlrev_b64 v[6:7], 3, v[4:5]
	v_mov_b32_e32 v8, s17
	v_add_co_u32_e32 v6, vcc, s16, v6
	v_addc_co_u32_e32 v7, vcc, v8, v7, vcc
	global_load_dwordx2 v[6:7], v[6:7], off
	s_waitcnt vmcnt(0)
	v_subrev_co_u32_e32 v6, vcc, s2, v6
	v_subb_co_u32_e32 v7, vcc, v7, v14, vcc
	v_cmp_ne_u64_e32 vcc, v[6:7], v[0:1]
	s_and_saveexec_b64 s[24:25], vcc
	s_cbranch_execz .LBB30_19
; %bb.21:                               ;   in Loop: Header=BB30_20 Depth=2
	v_lshlrev_b64 v[8:9], 2, v[4:5]
	v_mov_b32_e32 v16, s19
	v_add_co_u32_e32 v8, vcc, s18, v8
	v_addc_co_u32_e32 v9, vcc, v16, v9, vcc
	v_lshlrev_b64 v[6:7], 2, v[6:7]
	v_mov_b32_e32 v16, s23
	v_add_co_u32_e32 v6, vcc, s22, v6
	global_load_dword v8, v[8:9], off
	v_addc_co_u32_e32 v7, vcc, v16, v7, vcc
	global_load_dword v9, v[6:7], off
	s_mov_b64 s[26:27], 0
	s_waitcnt vmcnt(1)
	v_mul_f32_e32 v16, v15, v8
.LBB30_22:                              ;   Parent Loop BB30_17 Depth=1
                                        ;     Parent Loop BB30_20 Depth=2
                                        ; =>    This Inner Loop Header: Depth=3
	s_waitcnt vmcnt(0)
	v_add_f32_e32 v8, v9, v16
	global_atomic_cmpswap v8, v[6:7], v[8:9], off glc
	s_waitcnt vmcnt(0)
	v_cmp_eq_u32_e32 vcc, v8, v9
	s_or_b64 s[26:27], vcc, s[26:27]
	v_mov_b32_e32 v9, v8
	s_andn2_b64 exec, exec, s[26:27]
	s_cbranch_execnz .LBB30_22
	s_branch .LBB30_19
.LBB30_23:
	s_endpgm
	.section	.rodata,"a",@progbits
	.p2align	6, 0x0
	.amdhsa_kernel _ZN9rocsparseL21csrmvt_general_kernelILj256ELj16EllffffEEvbbT2_NS_24const_host_device_scalarIT6_EEPKT1_S7_PKS1_PKT3_PKT4_PT5_21rocsparse_index_base_b
		.amdhsa_group_segment_fixed_size 0
		.amdhsa_private_segment_fixed_size 0
		.amdhsa_kernarg_size 336
		.amdhsa_user_sgpr_count 6
		.amdhsa_user_sgpr_private_segment_buffer 1
		.amdhsa_user_sgpr_dispatch_ptr 0
		.amdhsa_user_sgpr_queue_ptr 0
		.amdhsa_user_sgpr_kernarg_segment_ptr 1
		.amdhsa_user_sgpr_dispatch_id 0
		.amdhsa_user_sgpr_flat_scratch_init 0
		.amdhsa_user_sgpr_kernarg_preload_length 0
		.amdhsa_user_sgpr_kernarg_preload_offset 0
		.amdhsa_user_sgpr_private_segment_size 0
		.amdhsa_uses_dynamic_stack 0
		.amdhsa_system_sgpr_private_segment_wavefront_offset 0
		.amdhsa_system_sgpr_workgroup_id_x 1
		.amdhsa_system_sgpr_workgroup_id_y 0
		.amdhsa_system_sgpr_workgroup_id_z 0
		.amdhsa_system_sgpr_workgroup_info 0
		.amdhsa_system_vgpr_workitem_id 0
		.amdhsa_next_free_vgpr 21
		.amdhsa_next_free_sgpr 30
		.amdhsa_accum_offset 24
		.amdhsa_reserve_vcc 1
		.amdhsa_reserve_flat_scratch 0
		.amdhsa_float_round_mode_32 0
		.amdhsa_float_round_mode_16_64 0
		.amdhsa_float_denorm_mode_32 3
		.amdhsa_float_denorm_mode_16_64 3
		.amdhsa_dx10_clamp 1
		.amdhsa_ieee_mode 1
		.amdhsa_fp16_overflow 0
		.amdhsa_tg_split 0
		.amdhsa_exception_fp_ieee_invalid_op 0
		.amdhsa_exception_fp_denorm_src 0
		.amdhsa_exception_fp_ieee_div_zero 0
		.amdhsa_exception_fp_ieee_overflow 0
		.amdhsa_exception_fp_ieee_underflow 0
		.amdhsa_exception_fp_ieee_inexact 0
		.amdhsa_exception_int_div_zero 0
	.end_amdhsa_kernel
	.section	.text._ZN9rocsparseL21csrmvt_general_kernelILj256ELj16EllffffEEvbbT2_NS_24const_host_device_scalarIT6_EEPKT1_S7_PKS1_PKT3_PKT4_PT5_21rocsparse_index_base_b,"axG",@progbits,_ZN9rocsparseL21csrmvt_general_kernelILj256ELj16EllffffEEvbbT2_NS_24const_host_device_scalarIT6_EEPKT1_S7_PKS1_PKT3_PKT4_PT5_21rocsparse_index_base_b,comdat
.Lfunc_end30:
	.size	_ZN9rocsparseL21csrmvt_general_kernelILj256ELj16EllffffEEvbbT2_NS_24const_host_device_scalarIT6_EEPKT1_S7_PKS1_PKT3_PKT4_PT5_21rocsparse_index_base_b, .Lfunc_end30-_ZN9rocsparseL21csrmvt_general_kernelILj256ELj16EllffffEEvbbT2_NS_24const_host_device_scalarIT6_EEPKT1_S7_PKS1_PKT3_PKT4_PT5_21rocsparse_index_base_b
                                        ; -- End function
	.section	.AMDGPU.csdata,"",@progbits
; Kernel info:
; codeLenInByte = 920
; NumSgprs: 34
; NumVgprs: 21
; NumAgprs: 0
; TotalNumVgprs: 21
; ScratchSize: 0
; MemoryBound: 0
; FloatMode: 240
; IeeeMode: 1
; LDSByteSize: 0 bytes/workgroup (compile time only)
; SGPRBlocks: 4
; VGPRBlocks: 2
; NumSGPRsForWavesPerEU: 34
; NumVGPRsForWavesPerEU: 21
; AccumOffset: 24
; Occupancy: 8
; WaveLimiterHint : 1
; COMPUTE_PGM_RSRC2:SCRATCH_EN: 0
; COMPUTE_PGM_RSRC2:USER_SGPR: 6
; COMPUTE_PGM_RSRC2:TRAP_HANDLER: 0
; COMPUTE_PGM_RSRC2:TGID_X_EN: 1
; COMPUTE_PGM_RSRC2:TGID_Y_EN: 0
; COMPUTE_PGM_RSRC2:TGID_Z_EN: 0
; COMPUTE_PGM_RSRC2:TIDIG_COMP_CNT: 0
; COMPUTE_PGM_RSRC3_GFX90A:ACCUM_OFFSET: 5
; COMPUTE_PGM_RSRC3_GFX90A:TG_SPLIT: 0
	.section	.text._ZN9rocsparseL21csrmvt_general_kernelILj256ELj32EllffffEEvbbT2_NS_24const_host_device_scalarIT6_EEPKT1_S7_PKS1_PKT3_PKT4_PT5_21rocsparse_index_base_b,"axG",@progbits,_ZN9rocsparseL21csrmvt_general_kernelILj256ELj32EllffffEEvbbT2_NS_24const_host_device_scalarIT6_EEPKT1_S7_PKS1_PKT3_PKT4_PT5_21rocsparse_index_base_b,comdat
	.globl	_ZN9rocsparseL21csrmvt_general_kernelILj256ELj32EllffffEEvbbT2_NS_24const_host_device_scalarIT6_EEPKT1_S7_PKS1_PKT3_PKT4_PT5_21rocsparse_index_base_b ; -- Begin function _ZN9rocsparseL21csrmvt_general_kernelILj256ELj32EllffffEEvbbT2_NS_24const_host_device_scalarIT6_EEPKT1_S7_PKS1_PKT3_PKT4_PT5_21rocsparse_index_base_b
	.p2align	8
	.type	_ZN9rocsparseL21csrmvt_general_kernelILj256ELj32EllffffEEvbbT2_NS_24const_host_device_scalarIT6_EEPKT1_S7_PKS1_PKT3_PKT4_PT5_21rocsparse_index_base_b,@function
_ZN9rocsparseL21csrmvt_general_kernelILj256ELj32EllffffEEvbbT2_NS_24const_host_device_scalarIT6_EEPKT1_S7_PKS1_PKT3_PKT4_PT5_21rocsparse_index_base_b: ; @_ZN9rocsparseL21csrmvt_general_kernelILj256ELj32EllffffEEvbbT2_NS_24const_host_device_scalarIT6_EEPKT1_S7_PKS1_PKT3_PKT4_PT5_21rocsparse_index_base_b
; %bb.0:
	s_load_dwordx2 s[2:3], s[4:5], 0x48
	s_load_dwordx8 s[8:15], s[4:5], 0x8
	s_waitcnt lgkmcnt(0)
	s_bitcmp1_b32 s3, 0
	s_cselect_b64 s[0:1], -1, 0
	s_and_b64 vcc, exec, s[0:1]
	s_cbranch_vccnz .LBB31_2
; %bb.1:
	s_load_dword s10, s[10:11], 0x0
.LBB31_2:
	s_waitcnt lgkmcnt(0)
	v_cmp_eq_f32_e64 s[0:1], s10, 0
	s_and_b64 vcc, exec, s[0:1]
	s_cbranch_vccnz .LBB31_23
; %bb.3:
	s_load_dword s0, s[4:5], 0x0
	s_load_dword s1, s[4:5], 0x50
	s_load_dwordx8 s[16:23], s[4:5], 0x28
	v_and_b32_e32 v12, 31, v0
	v_lshl_or_b32 v0, s6, 8, v0
	s_waitcnt lgkmcnt(0)
	s_and_b32 s0, s0, 1
	s_lshl_b32 s3, s1, 3
	v_lshrrev_b32_e32 v0, 5, v0
	v_mov_b32_e32 v1, 0
	s_cmp_eq_u32 s0, 0
	v_cmp_gt_i64_e64 s[0:1], s[8:9], v[0:1]
	s_mov_b64 s[4:5], -1
	s_cbranch_scc0 .LBB31_13
; %bb.4:
	s_and_saveexec_b64 s[4:5], s[0:1]
	s_cbranch_execz .LBB31_12
; %bb.5:
	v_subrev_co_u32_e32 v13, vcc, s2, v12
	s_mov_b32 s11, 0
	v_subb_co_u32_e64 v14, s[6:7], 0, 0, vcc
	s_mov_b64 s[6:7], 0
	v_mov_b32_e32 v15, s13
	v_mov_b32_e32 v16, s15
	;; [unrolled: 1-line block ×3, first 2 shown]
	v_pk_mov_b32 v[2:3], v[0:1], v[0:1] op_sel:[0,1]
	s_branch .LBB31_7
.LBB31_6:                               ;   in Loop: Header=BB31_7 Depth=1
	s_or_b64 exec, exec, s[24:25]
	v_add_co_u32_e32 v2, vcc, s3, v2
	v_addc_co_u32_e32 v3, vcc, 0, v3, vcc
	v_cmp_le_i64_e32 vcc, s[8:9], v[2:3]
	s_or_b64 s[6:7], vcc, s[6:7]
	s_andn2_b64 exec, exec, s[6:7]
	s_cbranch_execz .LBB31_12
.LBB31_7:                               ; =>This Loop Header: Depth=1
                                        ;     Child Loop BB31_9 Depth 2
                                        ;       Child Loop BB31_10 Depth 3
	v_lshlrev_b64 v[4:5], 3, v[2:3]
	v_add_co_u32_e32 v6, vcc, s14, v4
	v_addc_co_u32_e32 v7, vcc, v16, v5, vcc
	global_load_dwordx2 v[6:7], v[6:7], off
	v_add_co_u32_e32 v4, vcc, s12, v4
	v_addc_co_u32_e32 v5, vcc, v15, v5, vcc
	global_load_dwordx2 v[8:9], v[4:5], off
	s_waitcnt vmcnt(1)
	v_subrev_co_u32_e32 v4, vcc, s2, v6
	v_subb_co_u32_e32 v5, vcc, v7, v17, vcc
	s_waitcnt vmcnt(0)
	v_add_co_u32_e32 v6, vcc, v8, v13
	v_addc_co_u32_e32 v7, vcc, v9, v14, vcc
	v_cmp_lt_i64_e32 vcc, v[6:7], v[4:5]
	s_and_saveexec_b64 s[24:25], vcc
	s_cbranch_execz .LBB31_6
; %bb.8:                                ;   in Loop: Header=BB31_7 Depth=1
	v_lshlrev_b64 v[8:9], 2, v[2:3]
	v_mov_b32_e32 v10, s21
	v_add_co_u32_e32 v8, vcc, s20, v8
	v_addc_co_u32_e32 v9, vcc, v10, v9, vcc
	global_load_dword v8, v[8:9], off
	s_mov_b64 s[26:27], 0
	s_waitcnt vmcnt(0)
	v_mul_f32_e32 v18, s10, v8
.LBB31_9:                               ;   Parent Loop BB31_7 Depth=1
                                        ; =>  This Loop Header: Depth=2
                                        ;       Child Loop BB31_10 Depth 3
	v_lshlrev_b64 v[8:9], 3, v[6:7]
	v_mov_b32_e32 v10, s17
	v_add_co_u32_e32 v8, vcc, s16, v8
	v_addc_co_u32_e32 v9, vcc, v10, v9, vcc
	global_load_dwordx2 v[8:9], v[8:9], off
	v_lshlrev_b64 v[10:11], 2, v[6:7]
	v_mov_b32_e32 v19, s19
	v_add_co_u32_e32 v10, vcc, s18, v10
	v_addc_co_u32_e32 v11, vcc, v19, v11, vcc
	v_mov_b32_e32 v20, s23
	global_load_dword v10, v[10:11], off
	s_mov_b64 s[28:29], 0
	s_waitcnt vmcnt(1)
	v_subrev_co_u32_e32 v8, vcc, s2, v8
	v_subb_co_u32_e32 v9, vcc, v9, v17, vcc
	v_lshlrev_b64 v[8:9], 2, v[8:9]
	v_add_co_u32_e32 v8, vcc, s22, v8
	v_addc_co_u32_e32 v9, vcc, v20, v9, vcc
	global_load_dword v11, v[8:9], off
	s_waitcnt vmcnt(1)
	v_mul_f32_e32 v19, v18, v10
.LBB31_10:                              ;   Parent Loop BB31_7 Depth=1
                                        ;     Parent Loop BB31_9 Depth=2
                                        ; =>    This Inner Loop Header: Depth=3
	s_waitcnt vmcnt(0)
	v_add_f32_e32 v10, v11, v19
	global_atomic_cmpswap v10, v[8:9], v[10:11], off glc
	s_waitcnt vmcnt(0)
	v_cmp_eq_u32_e32 vcc, v10, v11
	s_or_b64 s[28:29], vcc, s[28:29]
	v_mov_b32_e32 v11, v10
	s_andn2_b64 exec, exec, s[28:29]
	s_cbranch_execnz .LBB31_10
; %bb.11:                               ;   in Loop: Header=BB31_9 Depth=2
	s_or_b64 exec, exec, s[28:29]
	v_add_co_u32_e32 v6, vcc, 32, v6
	v_addc_co_u32_e32 v7, vcc, 0, v7, vcc
	v_cmp_ge_i64_e32 vcc, v[6:7], v[4:5]
	s_or_b64 s[26:27], vcc, s[26:27]
	s_andn2_b64 exec, exec, s[26:27]
	s_cbranch_execnz .LBB31_9
	s_branch .LBB31_6
.LBB31_12:
	s_or_b64 exec, exec, s[4:5]
	s_mov_b64 s[4:5], 0
.LBB31_13:
	s_andn2_b64 vcc, exec, s[4:5]
	s_cbranch_vccnz .LBB31_23
; %bb.14:
	s_and_saveexec_b64 s[4:5], s[0:1]
	s_cbranch_execz .LBB31_23
; %bb.15:
	v_subrev_co_u32_e32 v10, vcc, s2, v12
	s_mov_b32 s4, 0
	v_subb_co_u32_e64 v11, s[0:1], 0, 0, vcc
	s_mov_b64 s[0:1], 0
	v_mov_b32_e32 v12, s13
	v_mov_b32_e32 v13, s15
	;; [unrolled: 1-line block ×3, first 2 shown]
	s_branch .LBB31_17
.LBB31_16:                              ;   in Loop: Header=BB31_17 Depth=1
	s_or_b64 exec, exec, s[4:5]
	v_add_co_u32_e32 v0, vcc, s3, v0
	v_addc_co_u32_e32 v1, vcc, 0, v1, vcc
	v_cmp_le_i64_e32 vcc, s[8:9], v[0:1]
	s_or_b64 s[0:1], vcc, s[0:1]
	s_andn2_b64 exec, exec, s[0:1]
	s_cbranch_execz .LBB31_23
.LBB31_17:                              ; =>This Loop Header: Depth=1
                                        ;     Child Loop BB31_20 Depth 2
                                        ;       Child Loop BB31_22 Depth 3
	v_lshlrev_b64 v[2:3], 3, v[0:1]
	v_add_co_u32_e32 v4, vcc, s14, v2
	v_addc_co_u32_e32 v5, vcc, v13, v3, vcc
	global_load_dwordx2 v[4:5], v[4:5], off
	v_add_co_u32_e32 v2, vcc, s12, v2
	v_addc_co_u32_e32 v3, vcc, v12, v3, vcc
	global_load_dwordx2 v[6:7], v[2:3], off
	s_waitcnt vmcnt(1)
	v_subrev_co_u32_e32 v2, vcc, s2, v4
	v_subb_co_u32_e32 v3, vcc, v5, v14, vcc
	s_waitcnt vmcnt(0)
	v_add_co_u32_e32 v4, vcc, v6, v10
	v_addc_co_u32_e32 v5, vcc, v7, v11, vcc
	v_cmp_lt_i64_e32 vcc, v[4:5], v[2:3]
	s_and_saveexec_b64 s[4:5], vcc
	s_cbranch_execz .LBB31_16
; %bb.18:                               ;   in Loop: Header=BB31_17 Depth=1
	v_lshlrev_b64 v[6:7], 2, v[0:1]
	v_mov_b32_e32 v8, s21
	v_add_co_u32_e32 v6, vcc, s20, v6
	v_addc_co_u32_e32 v7, vcc, v8, v7, vcc
	global_load_dword v6, v[6:7], off
	s_mov_b64 s[6:7], 0
	s_waitcnt vmcnt(0)
	v_mul_f32_e32 v15, s10, v6
	s_branch .LBB31_20
.LBB31_19:                              ;   in Loop: Header=BB31_20 Depth=2
	s_or_b64 exec, exec, s[24:25]
	v_add_co_u32_e32 v4, vcc, 32, v4
	v_addc_co_u32_e32 v5, vcc, 0, v5, vcc
	v_cmp_ge_i64_e32 vcc, v[4:5], v[2:3]
	s_or_b64 s[6:7], vcc, s[6:7]
	s_andn2_b64 exec, exec, s[6:7]
	s_cbranch_execz .LBB31_16
.LBB31_20:                              ;   Parent Loop BB31_17 Depth=1
                                        ; =>  This Loop Header: Depth=2
                                        ;       Child Loop BB31_22 Depth 3
	v_lshlrev_b64 v[6:7], 3, v[4:5]
	v_mov_b32_e32 v8, s17
	v_add_co_u32_e32 v6, vcc, s16, v6
	v_addc_co_u32_e32 v7, vcc, v8, v7, vcc
	global_load_dwordx2 v[6:7], v[6:7], off
	s_waitcnt vmcnt(0)
	v_subrev_co_u32_e32 v6, vcc, s2, v6
	v_subb_co_u32_e32 v7, vcc, v7, v14, vcc
	v_cmp_ne_u64_e32 vcc, v[6:7], v[0:1]
	s_and_saveexec_b64 s[24:25], vcc
	s_cbranch_execz .LBB31_19
; %bb.21:                               ;   in Loop: Header=BB31_20 Depth=2
	v_lshlrev_b64 v[8:9], 2, v[4:5]
	v_mov_b32_e32 v16, s19
	v_add_co_u32_e32 v8, vcc, s18, v8
	v_addc_co_u32_e32 v9, vcc, v16, v9, vcc
	v_lshlrev_b64 v[6:7], 2, v[6:7]
	v_mov_b32_e32 v16, s23
	v_add_co_u32_e32 v6, vcc, s22, v6
	global_load_dword v8, v[8:9], off
	v_addc_co_u32_e32 v7, vcc, v16, v7, vcc
	global_load_dword v9, v[6:7], off
	s_mov_b64 s[26:27], 0
	s_waitcnt vmcnt(1)
	v_mul_f32_e32 v16, v15, v8
.LBB31_22:                              ;   Parent Loop BB31_17 Depth=1
                                        ;     Parent Loop BB31_20 Depth=2
                                        ; =>    This Inner Loop Header: Depth=3
	s_waitcnt vmcnt(0)
	v_add_f32_e32 v8, v9, v16
	global_atomic_cmpswap v8, v[6:7], v[8:9], off glc
	s_waitcnt vmcnt(0)
	v_cmp_eq_u32_e32 vcc, v8, v9
	s_or_b64 s[26:27], vcc, s[26:27]
	v_mov_b32_e32 v9, v8
	s_andn2_b64 exec, exec, s[26:27]
	s_cbranch_execnz .LBB31_22
	s_branch .LBB31_19
.LBB31_23:
	s_endpgm
	.section	.rodata,"a",@progbits
	.p2align	6, 0x0
	.amdhsa_kernel _ZN9rocsparseL21csrmvt_general_kernelILj256ELj32EllffffEEvbbT2_NS_24const_host_device_scalarIT6_EEPKT1_S7_PKS1_PKT3_PKT4_PT5_21rocsparse_index_base_b
		.amdhsa_group_segment_fixed_size 0
		.amdhsa_private_segment_fixed_size 0
		.amdhsa_kernarg_size 336
		.amdhsa_user_sgpr_count 6
		.amdhsa_user_sgpr_private_segment_buffer 1
		.amdhsa_user_sgpr_dispatch_ptr 0
		.amdhsa_user_sgpr_queue_ptr 0
		.amdhsa_user_sgpr_kernarg_segment_ptr 1
		.amdhsa_user_sgpr_dispatch_id 0
		.amdhsa_user_sgpr_flat_scratch_init 0
		.amdhsa_user_sgpr_kernarg_preload_length 0
		.amdhsa_user_sgpr_kernarg_preload_offset 0
		.amdhsa_user_sgpr_private_segment_size 0
		.amdhsa_uses_dynamic_stack 0
		.amdhsa_system_sgpr_private_segment_wavefront_offset 0
		.amdhsa_system_sgpr_workgroup_id_x 1
		.amdhsa_system_sgpr_workgroup_id_y 0
		.amdhsa_system_sgpr_workgroup_id_z 0
		.amdhsa_system_sgpr_workgroup_info 0
		.amdhsa_system_vgpr_workitem_id 0
		.amdhsa_next_free_vgpr 21
		.amdhsa_next_free_sgpr 30
		.amdhsa_accum_offset 24
		.amdhsa_reserve_vcc 1
		.amdhsa_reserve_flat_scratch 0
		.amdhsa_float_round_mode_32 0
		.amdhsa_float_round_mode_16_64 0
		.amdhsa_float_denorm_mode_32 3
		.amdhsa_float_denorm_mode_16_64 3
		.amdhsa_dx10_clamp 1
		.amdhsa_ieee_mode 1
		.amdhsa_fp16_overflow 0
		.amdhsa_tg_split 0
		.amdhsa_exception_fp_ieee_invalid_op 0
		.amdhsa_exception_fp_denorm_src 0
		.amdhsa_exception_fp_ieee_div_zero 0
		.amdhsa_exception_fp_ieee_overflow 0
		.amdhsa_exception_fp_ieee_underflow 0
		.amdhsa_exception_fp_ieee_inexact 0
		.amdhsa_exception_int_div_zero 0
	.end_amdhsa_kernel
	.section	.text._ZN9rocsparseL21csrmvt_general_kernelILj256ELj32EllffffEEvbbT2_NS_24const_host_device_scalarIT6_EEPKT1_S7_PKS1_PKT3_PKT4_PT5_21rocsparse_index_base_b,"axG",@progbits,_ZN9rocsparseL21csrmvt_general_kernelILj256ELj32EllffffEEvbbT2_NS_24const_host_device_scalarIT6_EEPKT1_S7_PKS1_PKT3_PKT4_PT5_21rocsparse_index_base_b,comdat
.Lfunc_end31:
	.size	_ZN9rocsparseL21csrmvt_general_kernelILj256ELj32EllffffEEvbbT2_NS_24const_host_device_scalarIT6_EEPKT1_S7_PKS1_PKT3_PKT4_PT5_21rocsparse_index_base_b, .Lfunc_end31-_ZN9rocsparseL21csrmvt_general_kernelILj256ELj32EllffffEEvbbT2_NS_24const_host_device_scalarIT6_EEPKT1_S7_PKS1_PKT3_PKT4_PT5_21rocsparse_index_base_b
                                        ; -- End function
	.section	.AMDGPU.csdata,"",@progbits
; Kernel info:
; codeLenInByte = 920
; NumSgprs: 34
; NumVgprs: 21
; NumAgprs: 0
; TotalNumVgprs: 21
; ScratchSize: 0
; MemoryBound: 0
; FloatMode: 240
; IeeeMode: 1
; LDSByteSize: 0 bytes/workgroup (compile time only)
; SGPRBlocks: 4
; VGPRBlocks: 2
; NumSGPRsForWavesPerEU: 34
; NumVGPRsForWavesPerEU: 21
; AccumOffset: 24
; Occupancy: 8
; WaveLimiterHint : 1
; COMPUTE_PGM_RSRC2:SCRATCH_EN: 0
; COMPUTE_PGM_RSRC2:USER_SGPR: 6
; COMPUTE_PGM_RSRC2:TRAP_HANDLER: 0
; COMPUTE_PGM_RSRC2:TGID_X_EN: 1
; COMPUTE_PGM_RSRC2:TGID_Y_EN: 0
; COMPUTE_PGM_RSRC2:TGID_Z_EN: 0
; COMPUTE_PGM_RSRC2:TIDIG_COMP_CNT: 0
; COMPUTE_PGM_RSRC3_GFX90A:ACCUM_OFFSET: 5
; COMPUTE_PGM_RSRC3_GFX90A:TG_SPLIT: 0
	.section	.text._ZN9rocsparseL21csrmvt_general_kernelILj256ELj64EllffffEEvbbT2_NS_24const_host_device_scalarIT6_EEPKT1_S7_PKS1_PKT3_PKT4_PT5_21rocsparse_index_base_b,"axG",@progbits,_ZN9rocsparseL21csrmvt_general_kernelILj256ELj64EllffffEEvbbT2_NS_24const_host_device_scalarIT6_EEPKT1_S7_PKS1_PKT3_PKT4_PT5_21rocsparse_index_base_b,comdat
	.globl	_ZN9rocsparseL21csrmvt_general_kernelILj256ELj64EllffffEEvbbT2_NS_24const_host_device_scalarIT6_EEPKT1_S7_PKS1_PKT3_PKT4_PT5_21rocsparse_index_base_b ; -- Begin function _ZN9rocsparseL21csrmvt_general_kernelILj256ELj64EllffffEEvbbT2_NS_24const_host_device_scalarIT6_EEPKT1_S7_PKS1_PKT3_PKT4_PT5_21rocsparse_index_base_b
	.p2align	8
	.type	_ZN9rocsparseL21csrmvt_general_kernelILj256ELj64EllffffEEvbbT2_NS_24const_host_device_scalarIT6_EEPKT1_S7_PKS1_PKT3_PKT4_PT5_21rocsparse_index_base_b,@function
_ZN9rocsparseL21csrmvt_general_kernelILj256ELj64EllffffEEvbbT2_NS_24const_host_device_scalarIT6_EEPKT1_S7_PKS1_PKT3_PKT4_PT5_21rocsparse_index_base_b: ; @_ZN9rocsparseL21csrmvt_general_kernelILj256ELj64EllffffEEvbbT2_NS_24const_host_device_scalarIT6_EEPKT1_S7_PKS1_PKT3_PKT4_PT5_21rocsparse_index_base_b
; %bb.0:
	s_load_dwordx2 s[2:3], s[4:5], 0x48
	s_load_dwordx8 s[8:15], s[4:5], 0x8
	s_waitcnt lgkmcnt(0)
	s_bitcmp1_b32 s3, 0
	s_cselect_b64 s[0:1], -1, 0
	s_and_b64 vcc, exec, s[0:1]
	s_cbranch_vccnz .LBB32_2
; %bb.1:
	s_load_dword s10, s[10:11], 0x0
.LBB32_2:
	s_waitcnt lgkmcnt(0)
	v_cmp_eq_f32_e64 s[0:1], s10, 0
	s_and_b64 vcc, exec, s[0:1]
	s_cbranch_vccnz .LBB32_23
; %bb.3:
	s_load_dword s0, s[4:5], 0x0
	s_load_dword s1, s[4:5], 0x50
	s_load_dwordx8 s[16:23], s[4:5], 0x28
	v_and_b32_e32 v12, 63, v0
	v_lshl_or_b32 v0, s6, 8, v0
	s_waitcnt lgkmcnt(0)
	s_and_b32 s0, s0, 1
	s_lshl_b32 s3, s1, 2
	v_lshrrev_b32_e32 v0, 6, v0
	v_mov_b32_e32 v1, 0
	s_cmp_eq_u32 s0, 0
	v_cmp_gt_i64_e64 s[0:1], s[8:9], v[0:1]
	s_mov_b64 s[4:5], -1
	s_cbranch_scc0 .LBB32_13
; %bb.4:
	s_and_saveexec_b64 s[4:5], s[0:1]
	s_cbranch_execz .LBB32_12
; %bb.5:
	v_subrev_co_u32_e32 v13, vcc, s2, v12
	s_mov_b32 s11, 0
	v_subb_co_u32_e64 v14, s[6:7], 0, 0, vcc
	s_mov_b64 s[6:7], 0
	v_mov_b32_e32 v15, s13
	v_mov_b32_e32 v16, s15
	;; [unrolled: 1-line block ×3, first 2 shown]
	v_pk_mov_b32 v[2:3], v[0:1], v[0:1] op_sel:[0,1]
	s_branch .LBB32_7
.LBB32_6:                               ;   in Loop: Header=BB32_7 Depth=1
	s_or_b64 exec, exec, s[24:25]
	v_add_co_u32_e32 v2, vcc, s3, v2
	v_addc_co_u32_e32 v3, vcc, 0, v3, vcc
	v_cmp_le_i64_e32 vcc, s[8:9], v[2:3]
	s_or_b64 s[6:7], vcc, s[6:7]
	s_andn2_b64 exec, exec, s[6:7]
	s_cbranch_execz .LBB32_12
.LBB32_7:                               ; =>This Loop Header: Depth=1
                                        ;     Child Loop BB32_9 Depth 2
                                        ;       Child Loop BB32_10 Depth 3
	v_lshlrev_b64 v[4:5], 3, v[2:3]
	v_add_co_u32_e32 v6, vcc, s14, v4
	v_addc_co_u32_e32 v7, vcc, v16, v5, vcc
	global_load_dwordx2 v[6:7], v[6:7], off
	v_add_co_u32_e32 v4, vcc, s12, v4
	v_addc_co_u32_e32 v5, vcc, v15, v5, vcc
	global_load_dwordx2 v[8:9], v[4:5], off
	s_waitcnt vmcnt(1)
	v_subrev_co_u32_e32 v4, vcc, s2, v6
	v_subb_co_u32_e32 v5, vcc, v7, v17, vcc
	s_waitcnt vmcnt(0)
	v_add_co_u32_e32 v6, vcc, v8, v13
	v_addc_co_u32_e32 v7, vcc, v9, v14, vcc
	v_cmp_lt_i64_e32 vcc, v[6:7], v[4:5]
	s_and_saveexec_b64 s[24:25], vcc
	s_cbranch_execz .LBB32_6
; %bb.8:                                ;   in Loop: Header=BB32_7 Depth=1
	v_lshlrev_b64 v[8:9], 2, v[2:3]
	v_mov_b32_e32 v10, s21
	v_add_co_u32_e32 v8, vcc, s20, v8
	v_addc_co_u32_e32 v9, vcc, v10, v9, vcc
	global_load_dword v8, v[8:9], off
	s_mov_b64 s[26:27], 0
	s_waitcnt vmcnt(0)
	v_mul_f32_e32 v18, s10, v8
.LBB32_9:                               ;   Parent Loop BB32_7 Depth=1
                                        ; =>  This Loop Header: Depth=2
                                        ;       Child Loop BB32_10 Depth 3
	v_lshlrev_b64 v[8:9], 3, v[6:7]
	v_mov_b32_e32 v10, s17
	v_add_co_u32_e32 v8, vcc, s16, v8
	v_addc_co_u32_e32 v9, vcc, v10, v9, vcc
	global_load_dwordx2 v[8:9], v[8:9], off
	v_lshlrev_b64 v[10:11], 2, v[6:7]
	v_mov_b32_e32 v19, s19
	v_add_co_u32_e32 v10, vcc, s18, v10
	v_addc_co_u32_e32 v11, vcc, v19, v11, vcc
	v_mov_b32_e32 v20, s23
	global_load_dword v10, v[10:11], off
	s_mov_b64 s[28:29], 0
	s_waitcnt vmcnt(1)
	v_subrev_co_u32_e32 v8, vcc, s2, v8
	v_subb_co_u32_e32 v9, vcc, v9, v17, vcc
	v_lshlrev_b64 v[8:9], 2, v[8:9]
	v_add_co_u32_e32 v8, vcc, s22, v8
	v_addc_co_u32_e32 v9, vcc, v20, v9, vcc
	global_load_dword v11, v[8:9], off
	s_waitcnt vmcnt(1)
	v_mul_f32_e32 v19, v18, v10
.LBB32_10:                              ;   Parent Loop BB32_7 Depth=1
                                        ;     Parent Loop BB32_9 Depth=2
                                        ; =>    This Inner Loop Header: Depth=3
	s_waitcnt vmcnt(0)
	v_add_f32_e32 v10, v11, v19
	global_atomic_cmpswap v10, v[8:9], v[10:11], off glc
	s_waitcnt vmcnt(0)
	v_cmp_eq_u32_e32 vcc, v10, v11
	s_or_b64 s[28:29], vcc, s[28:29]
	v_mov_b32_e32 v11, v10
	s_andn2_b64 exec, exec, s[28:29]
	s_cbranch_execnz .LBB32_10
; %bb.11:                               ;   in Loop: Header=BB32_9 Depth=2
	s_or_b64 exec, exec, s[28:29]
	v_add_co_u32_e32 v6, vcc, 64, v6
	v_addc_co_u32_e32 v7, vcc, 0, v7, vcc
	v_cmp_ge_i64_e32 vcc, v[6:7], v[4:5]
	s_or_b64 s[26:27], vcc, s[26:27]
	s_andn2_b64 exec, exec, s[26:27]
	s_cbranch_execnz .LBB32_9
	s_branch .LBB32_6
.LBB32_12:
	s_or_b64 exec, exec, s[4:5]
	s_mov_b64 s[4:5], 0
.LBB32_13:
	s_andn2_b64 vcc, exec, s[4:5]
	s_cbranch_vccnz .LBB32_23
; %bb.14:
	s_and_saveexec_b64 s[4:5], s[0:1]
	s_cbranch_execz .LBB32_23
; %bb.15:
	v_subrev_co_u32_e32 v10, vcc, s2, v12
	s_mov_b32 s4, 0
	v_subb_co_u32_e64 v11, s[0:1], 0, 0, vcc
	s_mov_b64 s[0:1], 0
	v_mov_b32_e32 v12, s13
	v_mov_b32_e32 v13, s15
	;; [unrolled: 1-line block ×3, first 2 shown]
	s_branch .LBB32_17
.LBB32_16:                              ;   in Loop: Header=BB32_17 Depth=1
	s_or_b64 exec, exec, s[4:5]
	v_add_co_u32_e32 v0, vcc, s3, v0
	v_addc_co_u32_e32 v1, vcc, 0, v1, vcc
	v_cmp_le_i64_e32 vcc, s[8:9], v[0:1]
	s_or_b64 s[0:1], vcc, s[0:1]
	s_andn2_b64 exec, exec, s[0:1]
	s_cbranch_execz .LBB32_23
.LBB32_17:                              ; =>This Loop Header: Depth=1
                                        ;     Child Loop BB32_20 Depth 2
                                        ;       Child Loop BB32_22 Depth 3
	v_lshlrev_b64 v[2:3], 3, v[0:1]
	v_add_co_u32_e32 v4, vcc, s14, v2
	v_addc_co_u32_e32 v5, vcc, v13, v3, vcc
	global_load_dwordx2 v[4:5], v[4:5], off
	v_add_co_u32_e32 v2, vcc, s12, v2
	v_addc_co_u32_e32 v3, vcc, v12, v3, vcc
	global_load_dwordx2 v[6:7], v[2:3], off
	s_waitcnt vmcnt(1)
	v_subrev_co_u32_e32 v2, vcc, s2, v4
	v_subb_co_u32_e32 v3, vcc, v5, v14, vcc
	s_waitcnt vmcnt(0)
	v_add_co_u32_e32 v4, vcc, v6, v10
	v_addc_co_u32_e32 v5, vcc, v7, v11, vcc
	v_cmp_lt_i64_e32 vcc, v[4:5], v[2:3]
	s_and_saveexec_b64 s[4:5], vcc
	s_cbranch_execz .LBB32_16
; %bb.18:                               ;   in Loop: Header=BB32_17 Depth=1
	v_lshlrev_b64 v[6:7], 2, v[0:1]
	v_mov_b32_e32 v8, s21
	v_add_co_u32_e32 v6, vcc, s20, v6
	v_addc_co_u32_e32 v7, vcc, v8, v7, vcc
	global_load_dword v6, v[6:7], off
	s_mov_b64 s[6:7], 0
	s_waitcnt vmcnt(0)
	v_mul_f32_e32 v15, s10, v6
	s_branch .LBB32_20
.LBB32_19:                              ;   in Loop: Header=BB32_20 Depth=2
	s_or_b64 exec, exec, s[24:25]
	v_add_co_u32_e32 v4, vcc, 64, v4
	v_addc_co_u32_e32 v5, vcc, 0, v5, vcc
	v_cmp_ge_i64_e32 vcc, v[4:5], v[2:3]
	s_or_b64 s[6:7], vcc, s[6:7]
	s_andn2_b64 exec, exec, s[6:7]
	s_cbranch_execz .LBB32_16
.LBB32_20:                              ;   Parent Loop BB32_17 Depth=1
                                        ; =>  This Loop Header: Depth=2
                                        ;       Child Loop BB32_22 Depth 3
	v_lshlrev_b64 v[6:7], 3, v[4:5]
	v_mov_b32_e32 v8, s17
	v_add_co_u32_e32 v6, vcc, s16, v6
	v_addc_co_u32_e32 v7, vcc, v8, v7, vcc
	global_load_dwordx2 v[6:7], v[6:7], off
	s_waitcnt vmcnt(0)
	v_subrev_co_u32_e32 v6, vcc, s2, v6
	v_subb_co_u32_e32 v7, vcc, v7, v14, vcc
	v_cmp_ne_u64_e32 vcc, v[6:7], v[0:1]
	s_and_saveexec_b64 s[24:25], vcc
	s_cbranch_execz .LBB32_19
; %bb.21:                               ;   in Loop: Header=BB32_20 Depth=2
	v_lshlrev_b64 v[8:9], 2, v[4:5]
	v_mov_b32_e32 v16, s19
	v_add_co_u32_e32 v8, vcc, s18, v8
	v_addc_co_u32_e32 v9, vcc, v16, v9, vcc
	v_lshlrev_b64 v[6:7], 2, v[6:7]
	v_mov_b32_e32 v16, s23
	v_add_co_u32_e32 v6, vcc, s22, v6
	global_load_dword v8, v[8:9], off
	v_addc_co_u32_e32 v7, vcc, v16, v7, vcc
	global_load_dword v9, v[6:7], off
	s_mov_b64 s[26:27], 0
	s_waitcnt vmcnt(1)
	v_mul_f32_e32 v16, v15, v8
.LBB32_22:                              ;   Parent Loop BB32_17 Depth=1
                                        ;     Parent Loop BB32_20 Depth=2
                                        ; =>    This Inner Loop Header: Depth=3
	s_waitcnt vmcnt(0)
	v_add_f32_e32 v8, v9, v16
	global_atomic_cmpswap v8, v[6:7], v[8:9], off glc
	s_waitcnt vmcnt(0)
	v_cmp_eq_u32_e32 vcc, v8, v9
	s_or_b64 s[26:27], vcc, s[26:27]
	v_mov_b32_e32 v9, v8
	s_andn2_b64 exec, exec, s[26:27]
	s_cbranch_execnz .LBB32_22
	s_branch .LBB32_19
.LBB32_23:
	s_endpgm
	.section	.rodata,"a",@progbits
	.p2align	6, 0x0
	.amdhsa_kernel _ZN9rocsparseL21csrmvt_general_kernelILj256ELj64EllffffEEvbbT2_NS_24const_host_device_scalarIT6_EEPKT1_S7_PKS1_PKT3_PKT4_PT5_21rocsparse_index_base_b
		.amdhsa_group_segment_fixed_size 0
		.amdhsa_private_segment_fixed_size 0
		.amdhsa_kernarg_size 336
		.amdhsa_user_sgpr_count 6
		.amdhsa_user_sgpr_private_segment_buffer 1
		.amdhsa_user_sgpr_dispatch_ptr 0
		.amdhsa_user_sgpr_queue_ptr 0
		.amdhsa_user_sgpr_kernarg_segment_ptr 1
		.amdhsa_user_sgpr_dispatch_id 0
		.amdhsa_user_sgpr_flat_scratch_init 0
		.amdhsa_user_sgpr_kernarg_preload_length 0
		.amdhsa_user_sgpr_kernarg_preload_offset 0
		.amdhsa_user_sgpr_private_segment_size 0
		.amdhsa_uses_dynamic_stack 0
		.amdhsa_system_sgpr_private_segment_wavefront_offset 0
		.amdhsa_system_sgpr_workgroup_id_x 1
		.amdhsa_system_sgpr_workgroup_id_y 0
		.amdhsa_system_sgpr_workgroup_id_z 0
		.amdhsa_system_sgpr_workgroup_info 0
		.amdhsa_system_vgpr_workitem_id 0
		.amdhsa_next_free_vgpr 21
		.amdhsa_next_free_sgpr 30
		.amdhsa_accum_offset 24
		.amdhsa_reserve_vcc 1
		.amdhsa_reserve_flat_scratch 0
		.amdhsa_float_round_mode_32 0
		.amdhsa_float_round_mode_16_64 0
		.amdhsa_float_denorm_mode_32 3
		.amdhsa_float_denorm_mode_16_64 3
		.amdhsa_dx10_clamp 1
		.amdhsa_ieee_mode 1
		.amdhsa_fp16_overflow 0
		.amdhsa_tg_split 0
		.amdhsa_exception_fp_ieee_invalid_op 0
		.amdhsa_exception_fp_denorm_src 0
		.amdhsa_exception_fp_ieee_div_zero 0
		.amdhsa_exception_fp_ieee_overflow 0
		.amdhsa_exception_fp_ieee_underflow 0
		.amdhsa_exception_fp_ieee_inexact 0
		.amdhsa_exception_int_div_zero 0
	.end_amdhsa_kernel
	.section	.text._ZN9rocsparseL21csrmvt_general_kernelILj256ELj64EllffffEEvbbT2_NS_24const_host_device_scalarIT6_EEPKT1_S7_PKS1_PKT3_PKT4_PT5_21rocsparse_index_base_b,"axG",@progbits,_ZN9rocsparseL21csrmvt_general_kernelILj256ELj64EllffffEEvbbT2_NS_24const_host_device_scalarIT6_EEPKT1_S7_PKS1_PKT3_PKT4_PT5_21rocsparse_index_base_b,comdat
.Lfunc_end32:
	.size	_ZN9rocsparseL21csrmvt_general_kernelILj256ELj64EllffffEEvbbT2_NS_24const_host_device_scalarIT6_EEPKT1_S7_PKS1_PKT3_PKT4_PT5_21rocsparse_index_base_b, .Lfunc_end32-_ZN9rocsparseL21csrmvt_general_kernelILj256ELj64EllffffEEvbbT2_NS_24const_host_device_scalarIT6_EEPKT1_S7_PKS1_PKT3_PKT4_PT5_21rocsparse_index_base_b
                                        ; -- End function
	.section	.AMDGPU.csdata,"",@progbits
; Kernel info:
; codeLenInByte = 920
; NumSgprs: 34
; NumVgprs: 21
; NumAgprs: 0
; TotalNumVgprs: 21
; ScratchSize: 0
; MemoryBound: 0
; FloatMode: 240
; IeeeMode: 1
; LDSByteSize: 0 bytes/workgroup (compile time only)
; SGPRBlocks: 4
; VGPRBlocks: 2
; NumSGPRsForWavesPerEU: 34
; NumVGPRsForWavesPerEU: 21
; AccumOffset: 24
; Occupancy: 8
; WaveLimiterHint : 1
; COMPUTE_PGM_RSRC2:SCRATCH_EN: 0
; COMPUTE_PGM_RSRC2:USER_SGPR: 6
; COMPUTE_PGM_RSRC2:TRAP_HANDLER: 0
; COMPUTE_PGM_RSRC2:TGID_X_EN: 1
; COMPUTE_PGM_RSRC2:TGID_Y_EN: 0
; COMPUTE_PGM_RSRC2:TGID_Z_EN: 0
; COMPUTE_PGM_RSRC2:TIDIG_COMP_CNT: 0
; COMPUTE_PGM_RSRC3_GFX90A:ACCUM_OFFSET: 5
; COMPUTE_PGM_RSRC3_GFX90A:TG_SPLIT: 0
	.section	.text._ZN9rocsparseL21csrmvn_general_kernelILj256ELj2EiiddddEEvbT2_NS_24const_host_device_scalarIT6_EEPKT1_S7_PKS1_PKT3_PKT4_S4_PT5_21rocsparse_index_base_b,"axG",@progbits,_ZN9rocsparseL21csrmvn_general_kernelILj256ELj2EiiddddEEvbT2_NS_24const_host_device_scalarIT6_EEPKT1_S7_PKS1_PKT3_PKT4_S4_PT5_21rocsparse_index_base_b,comdat
	.globl	_ZN9rocsparseL21csrmvn_general_kernelILj256ELj2EiiddddEEvbT2_NS_24const_host_device_scalarIT6_EEPKT1_S7_PKS1_PKT3_PKT4_S4_PT5_21rocsparse_index_base_b ; -- Begin function _ZN9rocsparseL21csrmvn_general_kernelILj256ELj2EiiddddEEvbT2_NS_24const_host_device_scalarIT6_EEPKT1_S7_PKS1_PKT3_PKT4_S4_PT5_21rocsparse_index_base_b
	.p2align	8
	.type	_ZN9rocsparseL21csrmvn_general_kernelILj256ELj2EiiddddEEvbT2_NS_24const_host_device_scalarIT6_EEPKT1_S7_PKS1_PKT3_PKT4_S4_PT5_21rocsparse_index_base_b,@function
_ZN9rocsparseL21csrmvn_general_kernelILj256ELj2EiiddddEEvbT2_NS_24const_host_device_scalarIT6_EEPKT1_S7_PKS1_PKT3_PKT4_S4_PT5_21rocsparse_index_base_b: ; @_ZN9rocsparseL21csrmvn_general_kernelILj256ELj2EiiddddEEvbT2_NS_24const_host_device_scalarIT6_EEPKT1_S7_PKS1_PKT3_PKT4_S4_PT5_21rocsparse_index_base_b
; %bb.0:
	s_load_dwordx2 s[20:21], s[4:5], 0x48
	s_load_dwordx4 s[16:19], s[4:5], 0x8
	s_load_dwordx2 s[0:1], s[4:5], 0x38
	s_waitcnt lgkmcnt(0)
	s_bitcmp1_b32 s21, 0
	s_cselect_b64 s[8:9], -1, 0
	s_xor_b64 s[2:3], s[8:9], -1
	s_and_b64 vcc, exec, s[8:9]
	v_pk_mov_b32 v[2:3], s[16:17], s[16:17] op_sel:[0,1]
	s_cbranch_vccnz .LBB33_2
; %bb.1:
	v_pk_mov_b32 v[2:3], s[16:17], s[16:17] op_sel:[0,1]
	flat_load_dwordx2 v[2:3], v[2:3]
.LBB33_2:
	s_andn2_b64 vcc, exec, s[2:3]
	v_pk_mov_b32 v[4:5], s[0:1], s[0:1] op_sel:[0,1]
	s_cbranch_vccnz .LBB33_4
; %bb.3:
	v_pk_mov_b32 v[4:5], s[0:1], s[0:1] op_sel:[0,1]
	flat_load_dwordx2 v[4:5], v[4:5]
.LBB33_4:
	s_waitcnt vmcnt(0) lgkmcnt(0)
	v_cmp_neq_f64_e32 vcc, 0, v[2:3]
	v_cmp_neq_f64_e64 s[0:1], 1.0, v[4:5]
	s_or_b64 s[0:1], vcc, s[0:1]
	s_and_saveexec_b64 s[2:3], s[0:1]
	s_cbranch_execz .LBB33_16
; %bb.5:
	s_load_dword s22, s[4:5], 0x4
	v_lshl_or_b32 v1, s6, 8, v0
	v_lshrrev_b32_e32 v6, 1, v1
	s_waitcnt lgkmcnt(0)
	v_cmp_gt_i32_e32 vcc, s22, v6
	s_and_b64 exec, exec, vcc
	s_cbranch_execz .LBB33_16
; %bb.6:
	s_load_dword s0, s[4:5], 0x50
	s_load_dwordx2 s[6:7], s[4:5], 0x40
	s_load_dwordx8 s[8:15], s[4:5], 0x18
	s_ashr_i32 s21, s20, 31
	v_and_b32_e32 v0, 1, v0
	s_waitcnt lgkmcnt(0)
	s_lshl_b32 s23, s0, 7
	s_lshl_b64 s[0:1], s[20:21], 3
	s_sub_u32 s21, s14, s0
	v_subrev_u32_e32 v10, s20, v0
	s_subb_u32 s24, s15, s1
	v_cmp_eq_u32_e32 vcc, 1, v0
	s_mov_b64 s[4:5], 0
	v_cmp_neq_f64_e64 s[0:1], 0, v[4:5]
	v_mov_b32_e32 v11, s19
	v_mov_b32_e32 v12, s9
	s_branch .LBB33_9
.LBB33_7:                               ;   in Loop: Header=BB33_9 Depth=1
	s_or_b64 exec, exec, s[2:3]
	global_store_dwordx2 v[8:9], v[0:1], off
.LBB33_8:                               ;   in Loop: Header=BB33_9 Depth=1
	s_or_b64 exec, exec, s[14:15]
	v_add_u32_e32 v6, s23, v6
	v_cmp_le_i32_e64 s[2:3], s22, v6
	s_or_b64 s[4:5], s[2:3], s[4:5]
	s_andn2_b64 exec, exec, s[4:5]
	s_cbranch_execz .LBB33_16
.LBB33_9:                               ; =>This Loop Header: Depth=1
                                        ;     Child Loop BB33_11 Depth 2
	v_ashrrev_i32_e32 v7, 31, v6
	v_lshlrev_b64 v[0:1], 2, v[6:7]
	v_add_co_u32_e64 v8, s[2:3], s18, v0
	v_addc_co_u32_e64 v9, s[2:3], v11, v1, s[2:3]
	v_add_co_u32_e64 v0, s[2:3], s8, v0
	v_addc_co_u32_e64 v1, s[2:3], v12, v1, s[2:3]
	global_load_dword v13, v[0:1], off
	global_load_dword v14, v[8:9], off
	v_pk_mov_b32 v[0:1], 0, 0
	s_waitcnt vmcnt(1)
	v_subrev_u32_e32 v13, s20, v13
	s_waitcnt vmcnt(0)
	v_add_u32_e32 v8, v14, v10
	v_cmp_lt_i32_e64 s[2:3], v8, v13
	s_and_saveexec_b64 s[14:15], s[2:3]
	s_cbranch_execz .LBB33_13
; %bb.10:                               ;   in Loop: Header=BB33_9 Depth=1
	s_mov_b64 s[16:17], 0
	v_pk_mov_b32 v[0:1], 0, 0
.LBB33_11:                              ;   Parent Loop BB33_9 Depth=1
                                        ; =>  This Inner Loop Header: Depth=2
	v_ashrrev_i32_e32 v9, 31, v8
	v_lshlrev_b64 v[14:15], 2, v[8:9]
	v_mov_b32_e32 v16, s11
	v_add_co_u32_e64 v14, s[2:3], s10, v14
	v_addc_co_u32_e64 v15, s[2:3], v16, v15, s[2:3]
	global_load_dword v14, v[14:15], off
	v_lshlrev_b64 v[16:17], 3, v[8:9]
	v_mov_b32_e32 v15, s13
	v_add_co_u32_e64 v16, s[2:3], s12, v16
	v_addc_co_u32_e64 v17, s[2:3], v15, v17, s[2:3]
	v_mov_b32_e32 v18, s24
	global_load_dwordx2 v[16:17], v[16:17], off
	v_add_u32_e32 v8, 2, v8
	s_waitcnt vmcnt(1)
	v_ashrrev_i32_e32 v15, 31, v14
	v_lshlrev_b64 v[14:15], 3, v[14:15]
	v_add_co_u32_e64 v14, s[2:3], s21, v14
	v_addc_co_u32_e64 v15, s[2:3], v18, v15, s[2:3]
	global_load_dwordx2 v[14:15], v[14:15], off
	v_cmp_ge_i32_e64 s[2:3], v8, v13
	s_waitcnt vmcnt(1)
	v_mul_f64 v[16:17], v[2:3], v[16:17]
	s_or_b64 s[16:17], s[2:3], s[16:17]
	s_waitcnt vmcnt(0)
	v_fmac_f64_e32 v[0:1], v[16:17], v[14:15]
	s_andn2_b64 exec, exec, s[16:17]
	s_cbranch_execnz .LBB33_11
; %bb.12:                               ;   in Loop: Header=BB33_9 Depth=1
	s_or_b64 exec, exec, s[16:17]
.LBB33_13:                              ;   in Loop: Header=BB33_9 Depth=1
	s_or_b64 exec, exec, s[14:15]
	v_mov_b32_dpp v8, v0 row_shr:1 row_mask:0xf bank_mask:0xf
	v_mov_b32_dpp v9, v1 row_shr:1 row_mask:0xf bank_mask:0xf
	s_and_saveexec_b64 s[14:15], vcc
	s_cbranch_execz .LBB33_8
; %bb.14:                               ;   in Loop: Header=BB33_9 Depth=1
	v_add_f64 v[0:1], v[0:1], v[8:9]
	v_lshlrev_b64 v[8:9], 3, v[6:7]
	v_mov_b32_e32 v7, s7
	v_add_co_u32_e64 v8, s[2:3], s6, v8
	v_addc_co_u32_e64 v9, s[2:3], v7, v9, s[2:3]
	s_and_saveexec_b64 s[2:3], s[0:1]
	s_cbranch_execz .LBB33_7
; %bb.15:                               ;   in Loop: Header=BB33_9 Depth=1
	global_load_dwordx2 v[14:15], v[8:9], off
	s_waitcnt vmcnt(0)
	v_fmac_f64_e32 v[0:1], v[4:5], v[14:15]
	s_branch .LBB33_7
.LBB33_16:
	s_endpgm
	.section	.rodata,"a",@progbits
	.p2align	6, 0x0
	.amdhsa_kernel _ZN9rocsparseL21csrmvn_general_kernelILj256ELj2EiiddddEEvbT2_NS_24const_host_device_scalarIT6_EEPKT1_S7_PKS1_PKT3_PKT4_S4_PT5_21rocsparse_index_base_b
		.amdhsa_group_segment_fixed_size 0
		.amdhsa_private_segment_fixed_size 0
		.amdhsa_kernarg_size 336
		.amdhsa_user_sgpr_count 6
		.amdhsa_user_sgpr_private_segment_buffer 1
		.amdhsa_user_sgpr_dispatch_ptr 0
		.amdhsa_user_sgpr_queue_ptr 0
		.amdhsa_user_sgpr_kernarg_segment_ptr 1
		.amdhsa_user_sgpr_dispatch_id 0
		.amdhsa_user_sgpr_flat_scratch_init 0
		.amdhsa_user_sgpr_kernarg_preload_length 0
		.amdhsa_user_sgpr_kernarg_preload_offset 0
		.amdhsa_user_sgpr_private_segment_size 0
		.amdhsa_uses_dynamic_stack 0
		.amdhsa_system_sgpr_private_segment_wavefront_offset 0
		.amdhsa_system_sgpr_workgroup_id_x 1
		.amdhsa_system_sgpr_workgroup_id_y 0
		.amdhsa_system_sgpr_workgroup_id_z 0
		.amdhsa_system_sgpr_workgroup_info 0
		.amdhsa_system_vgpr_workitem_id 0
		.amdhsa_next_free_vgpr 19
		.amdhsa_next_free_sgpr 25
		.amdhsa_accum_offset 20
		.amdhsa_reserve_vcc 1
		.amdhsa_reserve_flat_scratch 0
		.amdhsa_float_round_mode_32 0
		.amdhsa_float_round_mode_16_64 0
		.amdhsa_float_denorm_mode_32 3
		.amdhsa_float_denorm_mode_16_64 3
		.amdhsa_dx10_clamp 1
		.amdhsa_ieee_mode 1
		.amdhsa_fp16_overflow 0
		.amdhsa_tg_split 0
		.amdhsa_exception_fp_ieee_invalid_op 0
		.amdhsa_exception_fp_denorm_src 0
		.amdhsa_exception_fp_ieee_div_zero 0
		.amdhsa_exception_fp_ieee_overflow 0
		.amdhsa_exception_fp_ieee_underflow 0
		.amdhsa_exception_fp_ieee_inexact 0
		.amdhsa_exception_int_div_zero 0
	.end_amdhsa_kernel
	.section	.text._ZN9rocsparseL21csrmvn_general_kernelILj256ELj2EiiddddEEvbT2_NS_24const_host_device_scalarIT6_EEPKT1_S7_PKS1_PKT3_PKT4_S4_PT5_21rocsparse_index_base_b,"axG",@progbits,_ZN9rocsparseL21csrmvn_general_kernelILj256ELj2EiiddddEEvbT2_NS_24const_host_device_scalarIT6_EEPKT1_S7_PKS1_PKT3_PKT4_S4_PT5_21rocsparse_index_base_b,comdat
.Lfunc_end33:
	.size	_ZN9rocsparseL21csrmvn_general_kernelILj256ELj2EiiddddEEvbT2_NS_24const_host_device_scalarIT6_EEPKT1_S7_PKS1_PKT3_PKT4_S4_PT5_21rocsparse_index_base_b, .Lfunc_end33-_ZN9rocsparseL21csrmvn_general_kernelILj256ELj2EiiddddEEvbT2_NS_24const_host_device_scalarIT6_EEPKT1_S7_PKS1_PKT3_PKT4_S4_PT5_21rocsparse_index_base_b
                                        ; -- End function
	.section	.AMDGPU.csdata,"",@progbits
; Kernel info:
; codeLenInByte = 668
; NumSgprs: 29
; NumVgprs: 19
; NumAgprs: 0
; TotalNumVgprs: 19
; ScratchSize: 0
; MemoryBound: 1
; FloatMode: 240
; IeeeMode: 1
; LDSByteSize: 0 bytes/workgroup (compile time only)
; SGPRBlocks: 3
; VGPRBlocks: 2
; NumSGPRsForWavesPerEU: 29
; NumVGPRsForWavesPerEU: 19
; AccumOffset: 20
; Occupancy: 8
; WaveLimiterHint : 1
; COMPUTE_PGM_RSRC2:SCRATCH_EN: 0
; COMPUTE_PGM_RSRC2:USER_SGPR: 6
; COMPUTE_PGM_RSRC2:TRAP_HANDLER: 0
; COMPUTE_PGM_RSRC2:TGID_X_EN: 1
; COMPUTE_PGM_RSRC2:TGID_Y_EN: 0
; COMPUTE_PGM_RSRC2:TGID_Z_EN: 0
; COMPUTE_PGM_RSRC2:TIDIG_COMP_CNT: 0
; COMPUTE_PGM_RSRC3_GFX90A:ACCUM_OFFSET: 4
; COMPUTE_PGM_RSRC3_GFX90A:TG_SPLIT: 0
	.section	.text._ZN9rocsparseL21csrmvn_general_kernelILj256ELj4EiiddddEEvbT2_NS_24const_host_device_scalarIT6_EEPKT1_S7_PKS1_PKT3_PKT4_S4_PT5_21rocsparse_index_base_b,"axG",@progbits,_ZN9rocsparseL21csrmvn_general_kernelILj256ELj4EiiddddEEvbT2_NS_24const_host_device_scalarIT6_EEPKT1_S7_PKS1_PKT3_PKT4_S4_PT5_21rocsparse_index_base_b,comdat
	.globl	_ZN9rocsparseL21csrmvn_general_kernelILj256ELj4EiiddddEEvbT2_NS_24const_host_device_scalarIT6_EEPKT1_S7_PKS1_PKT3_PKT4_S4_PT5_21rocsparse_index_base_b ; -- Begin function _ZN9rocsparseL21csrmvn_general_kernelILj256ELj4EiiddddEEvbT2_NS_24const_host_device_scalarIT6_EEPKT1_S7_PKS1_PKT3_PKT4_S4_PT5_21rocsparse_index_base_b
	.p2align	8
	.type	_ZN9rocsparseL21csrmvn_general_kernelILj256ELj4EiiddddEEvbT2_NS_24const_host_device_scalarIT6_EEPKT1_S7_PKS1_PKT3_PKT4_S4_PT5_21rocsparse_index_base_b,@function
_ZN9rocsparseL21csrmvn_general_kernelILj256ELj4EiiddddEEvbT2_NS_24const_host_device_scalarIT6_EEPKT1_S7_PKS1_PKT3_PKT4_S4_PT5_21rocsparse_index_base_b: ; @_ZN9rocsparseL21csrmvn_general_kernelILj256ELj4EiiddddEEvbT2_NS_24const_host_device_scalarIT6_EEPKT1_S7_PKS1_PKT3_PKT4_S4_PT5_21rocsparse_index_base_b
; %bb.0:
	s_load_dwordx2 s[20:21], s[4:5], 0x48
	s_load_dwordx4 s[16:19], s[4:5], 0x8
	s_load_dwordx2 s[0:1], s[4:5], 0x38
	s_waitcnt lgkmcnt(0)
	s_bitcmp1_b32 s21, 0
	s_cselect_b64 s[8:9], -1, 0
	s_xor_b64 s[2:3], s[8:9], -1
	s_and_b64 vcc, exec, s[8:9]
	v_pk_mov_b32 v[2:3], s[16:17], s[16:17] op_sel:[0,1]
	s_cbranch_vccnz .LBB34_2
; %bb.1:
	v_pk_mov_b32 v[2:3], s[16:17], s[16:17] op_sel:[0,1]
	flat_load_dwordx2 v[2:3], v[2:3]
.LBB34_2:
	s_andn2_b64 vcc, exec, s[2:3]
	v_pk_mov_b32 v[4:5], s[0:1], s[0:1] op_sel:[0,1]
	s_cbranch_vccnz .LBB34_4
; %bb.3:
	v_pk_mov_b32 v[4:5], s[0:1], s[0:1] op_sel:[0,1]
	flat_load_dwordx2 v[4:5], v[4:5]
.LBB34_4:
	s_waitcnt vmcnt(0) lgkmcnt(0)
	v_cmp_neq_f64_e32 vcc, 0, v[2:3]
	v_cmp_neq_f64_e64 s[0:1], 1.0, v[4:5]
	s_or_b64 s[0:1], vcc, s[0:1]
	s_and_saveexec_b64 s[2:3], s[0:1]
	s_cbranch_execz .LBB34_16
; %bb.5:
	s_load_dword s22, s[4:5], 0x4
	v_lshl_or_b32 v1, s6, 8, v0
	v_lshrrev_b32_e32 v6, 2, v1
	s_waitcnt lgkmcnt(0)
	v_cmp_gt_i32_e32 vcc, s22, v6
	s_and_b64 exec, exec, vcc
	s_cbranch_execz .LBB34_16
; %bb.6:
	s_load_dword s0, s[4:5], 0x50
	s_load_dwordx2 s[6:7], s[4:5], 0x40
	s_load_dwordx8 s[8:15], s[4:5], 0x18
	s_ashr_i32 s21, s20, 31
	v_and_b32_e32 v0, 3, v0
	s_waitcnt lgkmcnt(0)
	s_lshl_b32 s23, s0, 6
	s_lshl_b64 s[0:1], s[20:21], 3
	s_sub_u32 s21, s14, s0
	v_subrev_u32_e32 v10, s20, v0
	s_subb_u32 s24, s15, s1
	v_cmp_eq_u32_e32 vcc, 3, v0
	s_mov_b64 s[4:5], 0
	v_cmp_neq_f64_e64 s[0:1], 0, v[4:5]
	v_mov_b32_e32 v11, s19
	v_mov_b32_e32 v12, s9
	s_branch .LBB34_9
.LBB34_7:                               ;   in Loop: Header=BB34_9 Depth=1
	s_or_b64 exec, exec, s[2:3]
	global_store_dwordx2 v[8:9], v[0:1], off
.LBB34_8:                               ;   in Loop: Header=BB34_9 Depth=1
	s_or_b64 exec, exec, s[14:15]
	v_add_u32_e32 v6, s23, v6
	v_cmp_le_i32_e64 s[2:3], s22, v6
	s_or_b64 s[4:5], s[2:3], s[4:5]
	s_andn2_b64 exec, exec, s[4:5]
	s_cbranch_execz .LBB34_16
.LBB34_9:                               ; =>This Loop Header: Depth=1
                                        ;     Child Loop BB34_11 Depth 2
	v_ashrrev_i32_e32 v7, 31, v6
	v_lshlrev_b64 v[0:1], 2, v[6:7]
	v_add_co_u32_e64 v8, s[2:3], s18, v0
	v_addc_co_u32_e64 v9, s[2:3], v11, v1, s[2:3]
	v_add_co_u32_e64 v0, s[2:3], s8, v0
	v_addc_co_u32_e64 v1, s[2:3], v12, v1, s[2:3]
	global_load_dword v13, v[0:1], off
	global_load_dword v14, v[8:9], off
	v_pk_mov_b32 v[0:1], 0, 0
	s_waitcnt vmcnt(1)
	v_subrev_u32_e32 v13, s20, v13
	s_waitcnt vmcnt(0)
	v_add_u32_e32 v8, v14, v10
	v_cmp_lt_i32_e64 s[2:3], v8, v13
	s_and_saveexec_b64 s[14:15], s[2:3]
	s_cbranch_execz .LBB34_13
; %bb.10:                               ;   in Loop: Header=BB34_9 Depth=1
	s_mov_b64 s[16:17], 0
	v_pk_mov_b32 v[0:1], 0, 0
.LBB34_11:                              ;   Parent Loop BB34_9 Depth=1
                                        ; =>  This Inner Loop Header: Depth=2
	v_ashrrev_i32_e32 v9, 31, v8
	v_lshlrev_b64 v[14:15], 2, v[8:9]
	v_mov_b32_e32 v16, s11
	v_add_co_u32_e64 v14, s[2:3], s10, v14
	v_addc_co_u32_e64 v15, s[2:3], v16, v15, s[2:3]
	global_load_dword v14, v[14:15], off
	v_lshlrev_b64 v[16:17], 3, v[8:9]
	v_mov_b32_e32 v15, s13
	v_add_co_u32_e64 v16, s[2:3], s12, v16
	v_addc_co_u32_e64 v17, s[2:3], v15, v17, s[2:3]
	v_mov_b32_e32 v18, s24
	global_load_dwordx2 v[16:17], v[16:17], off
	v_add_u32_e32 v8, 4, v8
	s_waitcnt vmcnt(1)
	v_ashrrev_i32_e32 v15, 31, v14
	v_lshlrev_b64 v[14:15], 3, v[14:15]
	v_add_co_u32_e64 v14, s[2:3], s21, v14
	v_addc_co_u32_e64 v15, s[2:3], v18, v15, s[2:3]
	global_load_dwordx2 v[14:15], v[14:15], off
	v_cmp_ge_i32_e64 s[2:3], v8, v13
	s_waitcnt vmcnt(1)
	v_mul_f64 v[16:17], v[2:3], v[16:17]
	s_or_b64 s[16:17], s[2:3], s[16:17]
	s_waitcnt vmcnt(0)
	v_fmac_f64_e32 v[0:1], v[16:17], v[14:15]
	s_andn2_b64 exec, exec, s[16:17]
	s_cbranch_execnz .LBB34_11
; %bb.12:                               ;   in Loop: Header=BB34_9 Depth=1
	s_or_b64 exec, exec, s[16:17]
.LBB34_13:                              ;   in Loop: Header=BB34_9 Depth=1
	s_or_b64 exec, exec, s[14:15]
	v_mov_b32_dpp v8, v0 row_shr:1 row_mask:0xf bank_mask:0xf
	v_mov_b32_dpp v9, v1 row_shr:1 row_mask:0xf bank_mask:0xf
	v_add_f64 v[0:1], v[0:1], v[8:9]
	s_nop 1
	v_mov_b32_dpp v8, v0 row_shr:2 row_mask:0xf bank_mask:0xf
	v_mov_b32_dpp v9, v1 row_shr:2 row_mask:0xf bank_mask:0xf
	s_and_saveexec_b64 s[14:15], vcc
	s_cbranch_execz .LBB34_8
; %bb.14:                               ;   in Loop: Header=BB34_9 Depth=1
	v_add_f64 v[0:1], v[0:1], v[8:9]
	v_lshlrev_b64 v[8:9], 3, v[6:7]
	v_mov_b32_e32 v7, s7
	v_add_co_u32_e64 v8, s[2:3], s6, v8
	v_addc_co_u32_e64 v9, s[2:3], v7, v9, s[2:3]
	s_and_saveexec_b64 s[2:3], s[0:1]
	s_cbranch_execz .LBB34_7
; %bb.15:                               ;   in Loop: Header=BB34_9 Depth=1
	global_load_dwordx2 v[14:15], v[8:9], off
	s_waitcnt vmcnt(0)
	v_fmac_f64_e32 v[0:1], v[4:5], v[14:15]
	s_branch .LBB34_7
.LBB34_16:
	s_endpgm
	.section	.rodata,"a",@progbits
	.p2align	6, 0x0
	.amdhsa_kernel _ZN9rocsparseL21csrmvn_general_kernelILj256ELj4EiiddddEEvbT2_NS_24const_host_device_scalarIT6_EEPKT1_S7_PKS1_PKT3_PKT4_S4_PT5_21rocsparse_index_base_b
		.amdhsa_group_segment_fixed_size 0
		.amdhsa_private_segment_fixed_size 0
		.amdhsa_kernarg_size 336
		.amdhsa_user_sgpr_count 6
		.amdhsa_user_sgpr_private_segment_buffer 1
		.amdhsa_user_sgpr_dispatch_ptr 0
		.amdhsa_user_sgpr_queue_ptr 0
		.amdhsa_user_sgpr_kernarg_segment_ptr 1
		.amdhsa_user_sgpr_dispatch_id 0
		.amdhsa_user_sgpr_flat_scratch_init 0
		.amdhsa_user_sgpr_kernarg_preload_length 0
		.amdhsa_user_sgpr_kernarg_preload_offset 0
		.amdhsa_user_sgpr_private_segment_size 0
		.amdhsa_uses_dynamic_stack 0
		.amdhsa_system_sgpr_private_segment_wavefront_offset 0
		.amdhsa_system_sgpr_workgroup_id_x 1
		.amdhsa_system_sgpr_workgroup_id_y 0
		.amdhsa_system_sgpr_workgroup_id_z 0
		.amdhsa_system_sgpr_workgroup_info 0
		.amdhsa_system_vgpr_workitem_id 0
		.amdhsa_next_free_vgpr 19
		.amdhsa_next_free_sgpr 25
		.amdhsa_accum_offset 20
		.amdhsa_reserve_vcc 1
		.amdhsa_reserve_flat_scratch 0
		.amdhsa_float_round_mode_32 0
		.amdhsa_float_round_mode_16_64 0
		.amdhsa_float_denorm_mode_32 3
		.amdhsa_float_denorm_mode_16_64 3
		.amdhsa_dx10_clamp 1
		.amdhsa_ieee_mode 1
		.amdhsa_fp16_overflow 0
		.amdhsa_tg_split 0
		.amdhsa_exception_fp_ieee_invalid_op 0
		.amdhsa_exception_fp_denorm_src 0
		.amdhsa_exception_fp_ieee_div_zero 0
		.amdhsa_exception_fp_ieee_overflow 0
		.amdhsa_exception_fp_ieee_underflow 0
		.amdhsa_exception_fp_ieee_inexact 0
		.amdhsa_exception_int_div_zero 0
	.end_amdhsa_kernel
	.section	.text._ZN9rocsparseL21csrmvn_general_kernelILj256ELj4EiiddddEEvbT2_NS_24const_host_device_scalarIT6_EEPKT1_S7_PKS1_PKT3_PKT4_S4_PT5_21rocsparse_index_base_b,"axG",@progbits,_ZN9rocsparseL21csrmvn_general_kernelILj256ELj4EiiddddEEvbT2_NS_24const_host_device_scalarIT6_EEPKT1_S7_PKS1_PKT3_PKT4_S4_PT5_21rocsparse_index_base_b,comdat
.Lfunc_end34:
	.size	_ZN9rocsparseL21csrmvn_general_kernelILj256ELj4EiiddddEEvbT2_NS_24const_host_device_scalarIT6_EEPKT1_S7_PKS1_PKT3_PKT4_S4_PT5_21rocsparse_index_base_b, .Lfunc_end34-_ZN9rocsparseL21csrmvn_general_kernelILj256ELj4EiiddddEEvbT2_NS_24const_host_device_scalarIT6_EEPKT1_S7_PKS1_PKT3_PKT4_S4_PT5_21rocsparse_index_base_b
                                        ; -- End function
	.section	.AMDGPU.csdata,"",@progbits
; Kernel info:
; codeLenInByte = 696
; NumSgprs: 29
; NumVgprs: 19
; NumAgprs: 0
; TotalNumVgprs: 19
; ScratchSize: 0
; MemoryBound: 1
; FloatMode: 240
; IeeeMode: 1
; LDSByteSize: 0 bytes/workgroup (compile time only)
; SGPRBlocks: 3
; VGPRBlocks: 2
; NumSGPRsForWavesPerEU: 29
; NumVGPRsForWavesPerEU: 19
; AccumOffset: 20
; Occupancy: 8
; WaveLimiterHint : 1
; COMPUTE_PGM_RSRC2:SCRATCH_EN: 0
; COMPUTE_PGM_RSRC2:USER_SGPR: 6
; COMPUTE_PGM_RSRC2:TRAP_HANDLER: 0
; COMPUTE_PGM_RSRC2:TGID_X_EN: 1
; COMPUTE_PGM_RSRC2:TGID_Y_EN: 0
; COMPUTE_PGM_RSRC2:TGID_Z_EN: 0
; COMPUTE_PGM_RSRC2:TIDIG_COMP_CNT: 0
; COMPUTE_PGM_RSRC3_GFX90A:ACCUM_OFFSET: 4
; COMPUTE_PGM_RSRC3_GFX90A:TG_SPLIT: 0
	.section	.text._ZN9rocsparseL21csrmvn_general_kernelILj256ELj8EiiddddEEvbT2_NS_24const_host_device_scalarIT6_EEPKT1_S7_PKS1_PKT3_PKT4_S4_PT5_21rocsparse_index_base_b,"axG",@progbits,_ZN9rocsparseL21csrmvn_general_kernelILj256ELj8EiiddddEEvbT2_NS_24const_host_device_scalarIT6_EEPKT1_S7_PKS1_PKT3_PKT4_S4_PT5_21rocsparse_index_base_b,comdat
	.globl	_ZN9rocsparseL21csrmvn_general_kernelILj256ELj8EiiddddEEvbT2_NS_24const_host_device_scalarIT6_EEPKT1_S7_PKS1_PKT3_PKT4_S4_PT5_21rocsparse_index_base_b ; -- Begin function _ZN9rocsparseL21csrmvn_general_kernelILj256ELj8EiiddddEEvbT2_NS_24const_host_device_scalarIT6_EEPKT1_S7_PKS1_PKT3_PKT4_S4_PT5_21rocsparse_index_base_b
	.p2align	8
	.type	_ZN9rocsparseL21csrmvn_general_kernelILj256ELj8EiiddddEEvbT2_NS_24const_host_device_scalarIT6_EEPKT1_S7_PKS1_PKT3_PKT4_S4_PT5_21rocsparse_index_base_b,@function
_ZN9rocsparseL21csrmvn_general_kernelILj256ELj8EiiddddEEvbT2_NS_24const_host_device_scalarIT6_EEPKT1_S7_PKS1_PKT3_PKT4_S4_PT5_21rocsparse_index_base_b: ; @_ZN9rocsparseL21csrmvn_general_kernelILj256ELj8EiiddddEEvbT2_NS_24const_host_device_scalarIT6_EEPKT1_S7_PKS1_PKT3_PKT4_S4_PT5_21rocsparse_index_base_b
; %bb.0:
	s_load_dwordx2 s[20:21], s[4:5], 0x48
	s_load_dwordx4 s[16:19], s[4:5], 0x8
	s_load_dwordx2 s[0:1], s[4:5], 0x38
	s_waitcnt lgkmcnt(0)
	s_bitcmp1_b32 s21, 0
	s_cselect_b64 s[8:9], -1, 0
	s_xor_b64 s[2:3], s[8:9], -1
	s_and_b64 vcc, exec, s[8:9]
	v_pk_mov_b32 v[2:3], s[16:17], s[16:17] op_sel:[0,1]
	s_cbranch_vccnz .LBB35_2
; %bb.1:
	v_pk_mov_b32 v[2:3], s[16:17], s[16:17] op_sel:[0,1]
	flat_load_dwordx2 v[2:3], v[2:3]
.LBB35_2:
	s_andn2_b64 vcc, exec, s[2:3]
	v_pk_mov_b32 v[4:5], s[0:1], s[0:1] op_sel:[0,1]
	s_cbranch_vccnz .LBB35_4
; %bb.3:
	v_pk_mov_b32 v[4:5], s[0:1], s[0:1] op_sel:[0,1]
	flat_load_dwordx2 v[4:5], v[4:5]
.LBB35_4:
	s_waitcnt vmcnt(0) lgkmcnt(0)
	v_cmp_neq_f64_e32 vcc, 0, v[2:3]
	v_cmp_neq_f64_e64 s[0:1], 1.0, v[4:5]
	s_or_b64 s[0:1], vcc, s[0:1]
	s_and_saveexec_b64 s[2:3], s[0:1]
	s_cbranch_execz .LBB35_16
; %bb.5:
	s_load_dword s22, s[4:5], 0x4
	v_lshl_or_b32 v1, s6, 8, v0
	v_lshrrev_b32_e32 v6, 3, v1
	s_waitcnt lgkmcnt(0)
	v_cmp_gt_i32_e32 vcc, s22, v6
	s_and_b64 exec, exec, vcc
	s_cbranch_execz .LBB35_16
; %bb.6:
	s_load_dword s0, s[4:5], 0x50
	s_load_dwordx2 s[6:7], s[4:5], 0x40
	s_load_dwordx8 s[8:15], s[4:5], 0x18
	s_ashr_i32 s21, s20, 31
	v_and_b32_e32 v0, 7, v0
	s_waitcnt lgkmcnt(0)
	s_lshl_b32 s23, s0, 5
	s_lshl_b64 s[0:1], s[20:21], 3
	s_sub_u32 s21, s14, s0
	v_subrev_u32_e32 v10, s20, v0
	s_subb_u32 s24, s15, s1
	v_cmp_eq_u32_e32 vcc, 7, v0
	s_mov_b64 s[4:5], 0
	v_cmp_neq_f64_e64 s[0:1], 0, v[4:5]
	v_mov_b32_e32 v11, s19
	v_mov_b32_e32 v12, s9
	s_branch .LBB35_9
.LBB35_7:                               ;   in Loop: Header=BB35_9 Depth=1
	s_or_b64 exec, exec, s[2:3]
	global_store_dwordx2 v[8:9], v[0:1], off
.LBB35_8:                               ;   in Loop: Header=BB35_9 Depth=1
	s_or_b64 exec, exec, s[14:15]
	v_add_u32_e32 v6, s23, v6
	v_cmp_le_i32_e64 s[2:3], s22, v6
	s_or_b64 s[4:5], s[2:3], s[4:5]
	s_andn2_b64 exec, exec, s[4:5]
	s_cbranch_execz .LBB35_16
.LBB35_9:                               ; =>This Loop Header: Depth=1
                                        ;     Child Loop BB35_11 Depth 2
	v_ashrrev_i32_e32 v7, 31, v6
	v_lshlrev_b64 v[0:1], 2, v[6:7]
	v_add_co_u32_e64 v8, s[2:3], s18, v0
	v_addc_co_u32_e64 v9, s[2:3], v11, v1, s[2:3]
	v_add_co_u32_e64 v0, s[2:3], s8, v0
	v_addc_co_u32_e64 v1, s[2:3], v12, v1, s[2:3]
	global_load_dword v13, v[0:1], off
	global_load_dword v14, v[8:9], off
	v_pk_mov_b32 v[0:1], 0, 0
	s_waitcnt vmcnt(1)
	v_subrev_u32_e32 v13, s20, v13
	s_waitcnt vmcnt(0)
	v_add_u32_e32 v8, v14, v10
	v_cmp_lt_i32_e64 s[2:3], v8, v13
	s_and_saveexec_b64 s[14:15], s[2:3]
	s_cbranch_execz .LBB35_13
; %bb.10:                               ;   in Loop: Header=BB35_9 Depth=1
	s_mov_b64 s[16:17], 0
	v_pk_mov_b32 v[0:1], 0, 0
.LBB35_11:                              ;   Parent Loop BB35_9 Depth=1
                                        ; =>  This Inner Loop Header: Depth=2
	v_ashrrev_i32_e32 v9, 31, v8
	v_lshlrev_b64 v[14:15], 2, v[8:9]
	v_mov_b32_e32 v16, s11
	v_add_co_u32_e64 v14, s[2:3], s10, v14
	v_addc_co_u32_e64 v15, s[2:3], v16, v15, s[2:3]
	global_load_dword v14, v[14:15], off
	v_lshlrev_b64 v[16:17], 3, v[8:9]
	v_mov_b32_e32 v15, s13
	v_add_co_u32_e64 v16, s[2:3], s12, v16
	v_addc_co_u32_e64 v17, s[2:3], v15, v17, s[2:3]
	v_mov_b32_e32 v18, s24
	global_load_dwordx2 v[16:17], v[16:17], off
	v_add_u32_e32 v8, 8, v8
	s_waitcnt vmcnt(1)
	v_ashrrev_i32_e32 v15, 31, v14
	v_lshlrev_b64 v[14:15], 3, v[14:15]
	v_add_co_u32_e64 v14, s[2:3], s21, v14
	v_addc_co_u32_e64 v15, s[2:3], v18, v15, s[2:3]
	global_load_dwordx2 v[14:15], v[14:15], off
	v_cmp_ge_i32_e64 s[2:3], v8, v13
	s_waitcnt vmcnt(1)
	v_mul_f64 v[16:17], v[2:3], v[16:17]
	s_or_b64 s[16:17], s[2:3], s[16:17]
	s_waitcnt vmcnt(0)
	v_fmac_f64_e32 v[0:1], v[16:17], v[14:15]
	s_andn2_b64 exec, exec, s[16:17]
	s_cbranch_execnz .LBB35_11
; %bb.12:                               ;   in Loop: Header=BB35_9 Depth=1
	s_or_b64 exec, exec, s[16:17]
.LBB35_13:                              ;   in Loop: Header=BB35_9 Depth=1
	s_or_b64 exec, exec, s[14:15]
	v_mov_b32_dpp v8, v0 row_shr:1 row_mask:0xf bank_mask:0xf
	v_mov_b32_dpp v9, v1 row_shr:1 row_mask:0xf bank_mask:0xf
	v_add_f64 v[0:1], v[0:1], v[8:9]
	s_nop 1
	v_mov_b32_dpp v8, v0 row_shr:2 row_mask:0xf bank_mask:0xf
	v_mov_b32_dpp v9, v1 row_shr:2 row_mask:0xf bank_mask:0xf
	v_add_f64 v[0:1], v[0:1], v[8:9]
	s_nop 1
	v_mov_b32_dpp v8, v0 row_shr:4 row_mask:0xf bank_mask:0xe
	v_mov_b32_dpp v9, v1 row_shr:4 row_mask:0xf bank_mask:0xe
	s_and_saveexec_b64 s[14:15], vcc
	s_cbranch_execz .LBB35_8
; %bb.14:                               ;   in Loop: Header=BB35_9 Depth=1
	v_add_f64 v[0:1], v[0:1], v[8:9]
	v_lshlrev_b64 v[8:9], 3, v[6:7]
	v_mov_b32_e32 v7, s7
	v_add_co_u32_e64 v8, s[2:3], s6, v8
	v_addc_co_u32_e64 v9, s[2:3], v7, v9, s[2:3]
	s_and_saveexec_b64 s[2:3], s[0:1]
	s_cbranch_execz .LBB35_7
; %bb.15:                               ;   in Loop: Header=BB35_9 Depth=1
	global_load_dwordx2 v[14:15], v[8:9], off
	s_waitcnt vmcnt(0)
	v_fmac_f64_e32 v[0:1], v[4:5], v[14:15]
	s_branch .LBB35_7
.LBB35_16:
	s_endpgm
	.section	.rodata,"a",@progbits
	.p2align	6, 0x0
	.amdhsa_kernel _ZN9rocsparseL21csrmvn_general_kernelILj256ELj8EiiddddEEvbT2_NS_24const_host_device_scalarIT6_EEPKT1_S7_PKS1_PKT3_PKT4_S4_PT5_21rocsparse_index_base_b
		.amdhsa_group_segment_fixed_size 0
		.amdhsa_private_segment_fixed_size 0
		.amdhsa_kernarg_size 336
		.amdhsa_user_sgpr_count 6
		.amdhsa_user_sgpr_private_segment_buffer 1
		.amdhsa_user_sgpr_dispatch_ptr 0
		.amdhsa_user_sgpr_queue_ptr 0
		.amdhsa_user_sgpr_kernarg_segment_ptr 1
		.amdhsa_user_sgpr_dispatch_id 0
		.amdhsa_user_sgpr_flat_scratch_init 0
		.amdhsa_user_sgpr_kernarg_preload_length 0
		.amdhsa_user_sgpr_kernarg_preload_offset 0
		.amdhsa_user_sgpr_private_segment_size 0
		.amdhsa_uses_dynamic_stack 0
		.amdhsa_system_sgpr_private_segment_wavefront_offset 0
		.amdhsa_system_sgpr_workgroup_id_x 1
		.amdhsa_system_sgpr_workgroup_id_y 0
		.amdhsa_system_sgpr_workgroup_id_z 0
		.amdhsa_system_sgpr_workgroup_info 0
		.amdhsa_system_vgpr_workitem_id 0
		.amdhsa_next_free_vgpr 19
		.amdhsa_next_free_sgpr 25
		.amdhsa_accum_offset 20
		.amdhsa_reserve_vcc 1
		.amdhsa_reserve_flat_scratch 0
		.amdhsa_float_round_mode_32 0
		.amdhsa_float_round_mode_16_64 0
		.amdhsa_float_denorm_mode_32 3
		.amdhsa_float_denorm_mode_16_64 3
		.amdhsa_dx10_clamp 1
		.amdhsa_ieee_mode 1
		.amdhsa_fp16_overflow 0
		.amdhsa_tg_split 0
		.amdhsa_exception_fp_ieee_invalid_op 0
		.amdhsa_exception_fp_denorm_src 0
		.amdhsa_exception_fp_ieee_div_zero 0
		.amdhsa_exception_fp_ieee_overflow 0
		.amdhsa_exception_fp_ieee_underflow 0
		.amdhsa_exception_fp_ieee_inexact 0
		.amdhsa_exception_int_div_zero 0
	.end_amdhsa_kernel
	.section	.text._ZN9rocsparseL21csrmvn_general_kernelILj256ELj8EiiddddEEvbT2_NS_24const_host_device_scalarIT6_EEPKT1_S7_PKS1_PKT3_PKT4_S4_PT5_21rocsparse_index_base_b,"axG",@progbits,_ZN9rocsparseL21csrmvn_general_kernelILj256ELj8EiiddddEEvbT2_NS_24const_host_device_scalarIT6_EEPKT1_S7_PKS1_PKT3_PKT4_S4_PT5_21rocsparse_index_base_b,comdat
.Lfunc_end35:
	.size	_ZN9rocsparseL21csrmvn_general_kernelILj256ELj8EiiddddEEvbT2_NS_24const_host_device_scalarIT6_EEPKT1_S7_PKS1_PKT3_PKT4_S4_PT5_21rocsparse_index_base_b, .Lfunc_end35-_ZN9rocsparseL21csrmvn_general_kernelILj256ELj8EiiddddEEvbT2_NS_24const_host_device_scalarIT6_EEPKT1_S7_PKS1_PKT3_PKT4_S4_PT5_21rocsparse_index_base_b
                                        ; -- End function
	.section	.AMDGPU.csdata,"",@progbits
; Kernel info:
; codeLenInByte = 724
; NumSgprs: 29
; NumVgprs: 19
; NumAgprs: 0
; TotalNumVgprs: 19
; ScratchSize: 0
; MemoryBound: 1
; FloatMode: 240
; IeeeMode: 1
; LDSByteSize: 0 bytes/workgroup (compile time only)
; SGPRBlocks: 3
; VGPRBlocks: 2
; NumSGPRsForWavesPerEU: 29
; NumVGPRsForWavesPerEU: 19
; AccumOffset: 20
; Occupancy: 8
; WaveLimiterHint : 1
; COMPUTE_PGM_RSRC2:SCRATCH_EN: 0
; COMPUTE_PGM_RSRC2:USER_SGPR: 6
; COMPUTE_PGM_RSRC2:TRAP_HANDLER: 0
; COMPUTE_PGM_RSRC2:TGID_X_EN: 1
; COMPUTE_PGM_RSRC2:TGID_Y_EN: 0
; COMPUTE_PGM_RSRC2:TGID_Z_EN: 0
; COMPUTE_PGM_RSRC2:TIDIG_COMP_CNT: 0
; COMPUTE_PGM_RSRC3_GFX90A:ACCUM_OFFSET: 4
; COMPUTE_PGM_RSRC3_GFX90A:TG_SPLIT: 0
	.section	.text._ZN9rocsparseL21csrmvn_general_kernelILj256ELj16EiiddddEEvbT2_NS_24const_host_device_scalarIT6_EEPKT1_S7_PKS1_PKT3_PKT4_S4_PT5_21rocsparse_index_base_b,"axG",@progbits,_ZN9rocsparseL21csrmvn_general_kernelILj256ELj16EiiddddEEvbT2_NS_24const_host_device_scalarIT6_EEPKT1_S7_PKS1_PKT3_PKT4_S4_PT5_21rocsparse_index_base_b,comdat
	.globl	_ZN9rocsparseL21csrmvn_general_kernelILj256ELj16EiiddddEEvbT2_NS_24const_host_device_scalarIT6_EEPKT1_S7_PKS1_PKT3_PKT4_S4_PT5_21rocsparse_index_base_b ; -- Begin function _ZN9rocsparseL21csrmvn_general_kernelILj256ELj16EiiddddEEvbT2_NS_24const_host_device_scalarIT6_EEPKT1_S7_PKS1_PKT3_PKT4_S4_PT5_21rocsparse_index_base_b
	.p2align	8
	.type	_ZN9rocsparseL21csrmvn_general_kernelILj256ELj16EiiddddEEvbT2_NS_24const_host_device_scalarIT6_EEPKT1_S7_PKS1_PKT3_PKT4_S4_PT5_21rocsparse_index_base_b,@function
_ZN9rocsparseL21csrmvn_general_kernelILj256ELj16EiiddddEEvbT2_NS_24const_host_device_scalarIT6_EEPKT1_S7_PKS1_PKT3_PKT4_S4_PT5_21rocsparse_index_base_b: ; @_ZN9rocsparseL21csrmvn_general_kernelILj256ELj16EiiddddEEvbT2_NS_24const_host_device_scalarIT6_EEPKT1_S7_PKS1_PKT3_PKT4_S4_PT5_21rocsparse_index_base_b
; %bb.0:
	s_load_dwordx2 s[20:21], s[4:5], 0x48
	s_load_dwordx4 s[16:19], s[4:5], 0x8
	s_load_dwordx2 s[0:1], s[4:5], 0x38
	s_waitcnt lgkmcnt(0)
	s_bitcmp1_b32 s21, 0
	s_cselect_b64 s[8:9], -1, 0
	s_xor_b64 s[2:3], s[8:9], -1
	s_and_b64 vcc, exec, s[8:9]
	v_pk_mov_b32 v[2:3], s[16:17], s[16:17] op_sel:[0,1]
	s_cbranch_vccnz .LBB36_2
; %bb.1:
	v_pk_mov_b32 v[2:3], s[16:17], s[16:17] op_sel:[0,1]
	flat_load_dwordx2 v[2:3], v[2:3]
.LBB36_2:
	s_andn2_b64 vcc, exec, s[2:3]
	v_pk_mov_b32 v[4:5], s[0:1], s[0:1] op_sel:[0,1]
	s_cbranch_vccnz .LBB36_4
; %bb.3:
	v_pk_mov_b32 v[4:5], s[0:1], s[0:1] op_sel:[0,1]
	flat_load_dwordx2 v[4:5], v[4:5]
.LBB36_4:
	s_waitcnt vmcnt(0) lgkmcnt(0)
	v_cmp_neq_f64_e32 vcc, 0, v[2:3]
	v_cmp_neq_f64_e64 s[0:1], 1.0, v[4:5]
	s_or_b64 s[0:1], vcc, s[0:1]
	s_and_saveexec_b64 s[2:3], s[0:1]
	s_cbranch_execz .LBB36_16
; %bb.5:
	s_load_dword s22, s[4:5], 0x4
	v_lshl_or_b32 v1, s6, 8, v0
	v_lshrrev_b32_e32 v6, 4, v1
	s_waitcnt lgkmcnt(0)
	v_cmp_gt_i32_e32 vcc, s22, v6
	s_and_b64 exec, exec, vcc
	s_cbranch_execz .LBB36_16
; %bb.6:
	s_load_dword s0, s[4:5], 0x50
	s_load_dwordx2 s[6:7], s[4:5], 0x40
	s_load_dwordx8 s[8:15], s[4:5], 0x18
	s_ashr_i32 s21, s20, 31
	v_and_b32_e32 v0, 15, v0
	s_waitcnt lgkmcnt(0)
	s_lshl_b32 s23, s0, 4
	s_lshl_b64 s[0:1], s[20:21], 3
	s_sub_u32 s21, s14, s0
	v_subrev_u32_e32 v10, s20, v0
	s_subb_u32 s24, s15, s1
	v_cmp_eq_u32_e32 vcc, 15, v0
	s_mov_b64 s[4:5], 0
	v_cmp_neq_f64_e64 s[0:1], 0, v[4:5]
	v_mov_b32_e32 v11, s19
	v_mov_b32_e32 v12, s9
	s_branch .LBB36_9
.LBB36_7:                               ;   in Loop: Header=BB36_9 Depth=1
	s_or_b64 exec, exec, s[2:3]
	global_store_dwordx2 v[8:9], v[0:1], off
.LBB36_8:                               ;   in Loop: Header=BB36_9 Depth=1
	s_or_b64 exec, exec, s[14:15]
	v_add_u32_e32 v6, s23, v6
	v_cmp_le_i32_e64 s[2:3], s22, v6
	s_or_b64 s[4:5], s[2:3], s[4:5]
	s_andn2_b64 exec, exec, s[4:5]
	s_cbranch_execz .LBB36_16
.LBB36_9:                               ; =>This Loop Header: Depth=1
                                        ;     Child Loop BB36_11 Depth 2
	v_ashrrev_i32_e32 v7, 31, v6
	v_lshlrev_b64 v[0:1], 2, v[6:7]
	v_add_co_u32_e64 v8, s[2:3], s18, v0
	v_addc_co_u32_e64 v9, s[2:3], v11, v1, s[2:3]
	v_add_co_u32_e64 v0, s[2:3], s8, v0
	v_addc_co_u32_e64 v1, s[2:3], v12, v1, s[2:3]
	global_load_dword v13, v[0:1], off
	global_load_dword v14, v[8:9], off
	v_pk_mov_b32 v[0:1], 0, 0
	s_waitcnt vmcnt(1)
	v_subrev_u32_e32 v13, s20, v13
	s_waitcnt vmcnt(0)
	v_add_u32_e32 v8, v14, v10
	v_cmp_lt_i32_e64 s[2:3], v8, v13
	s_and_saveexec_b64 s[14:15], s[2:3]
	s_cbranch_execz .LBB36_13
; %bb.10:                               ;   in Loop: Header=BB36_9 Depth=1
	s_mov_b64 s[16:17], 0
	v_pk_mov_b32 v[0:1], 0, 0
.LBB36_11:                              ;   Parent Loop BB36_9 Depth=1
                                        ; =>  This Inner Loop Header: Depth=2
	v_ashrrev_i32_e32 v9, 31, v8
	v_lshlrev_b64 v[14:15], 2, v[8:9]
	v_mov_b32_e32 v16, s11
	v_add_co_u32_e64 v14, s[2:3], s10, v14
	v_addc_co_u32_e64 v15, s[2:3], v16, v15, s[2:3]
	global_load_dword v14, v[14:15], off
	v_lshlrev_b64 v[16:17], 3, v[8:9]
	v_mov_b32_e32 v15, s13
	v_add_co_u32_e64 v16, s[2:3], s12, v16
	v_addc_co_u32_e64 v17, s[2:3], v15, v17, s[2:3]
	v_mov_b32_e32 v18, s24
	global_load_dwordx2 v[16:17], v[16:17], off
	v_add_u32_e32 v8, 16, v8
	s_waitcnt vmcnt(1)
	v_ashrrev_i32_e32 v15, 31, v14
	v_lshlrev_b64 v[14:15], 3, v[14:15]
	v_add_co_u32_e64 v14, s[2:3], s21, v14
	v_addc_co_u32_e64 v15, s[2:3], v18, v15, s[2:3]
	global_load_dwordx2 v[14:15], v[14:15], off
	v_cmp_ge_i32_e64 s[2:3], v8, v13
	s_waitcnt vmcnt(1)
	v_mul_f64 v[16:17], v[2:3], v[16:17]
	s_or_b64 s[16:17], s[2:3], s[16:17]
	s_waitcnt vmcnt(0)
	v_fmac_f64_e32 v[0:1], v[16:17], v[14:15]
	s_andn2_b64 exec, exec, s[16:17]
	s_cbranch_execnz .LBB36_11
; %bb.12:                               ;   in Loop: Header=BB36_9 Depth=1
	s_or_b64 exec, exec, s[16:17]
.LBB36_13:                              ;   in Loop: Header=BB36_9 Depth=1
	s_or_b64 exec, exec, s[14:15]
	v_mov_b32_dpp v8, v0 row_shr:1 row_mask:0xf bank_mask:0xf
	v_mov_b32_dpp v9, v1 row_shr:1 row_mask:0xf bank_mask:0xf
	v_add_f64 v[0:1], v[0:1], v[8:9]
	s_nop 1
	v_mov_b32_dpp v8, v0 row_shr:2 row_mask:0xf bank_mask:0xf
	v_mov_b32_dpp v9, v1 row_shr:2 row_mask:0xf bank_mask:0xf
	v_add_f64 v[0:1], v[0:1], v[8:9]
	s_nop 1
	;; [unrolled: 4-line block ×3, first 2 shown]
	v_mov_b32_dpp v8, v0 row_shr:8 row_mask:0xf bank_mask:0xc
	v_mov_b32_dpp v9, v1 row_shr:8 row_mask:0xf bank_mask:0xc
	s_and_saveexec_b64 s[14:15], vcc
	s_cbranch_execz .LBB36_8
; %bb.14:                               ;   in Loop: Header=BB36_9 Depth=1
	v_add_f64 v[0:1], v[0:1], v[8:9]
	v_lshlrev_b64 v[8:9], 3, v[6:7]
	v_mov_b32_e32 v7, s7
	v_add_co_u32_e64 v8, s[2:3], s6, v8
	v_addc_co_u32_e64 v9, s[2:3], v7, v9, s[2:3]
	s_and_saveexec_b64 s[2:3], s[0:1]
	s_cbranch_execz .LBB36_7
; %bb.15:                               ;   in Loop: Header=BB36_9 Depth=1
	global_load_dwordx2 v[14:15], v[8:9], off
	s_waitcnt vmcnt(0)
	v_fmac_f64_e32 v[0:1], v[4:5], v[14:15]
	s_branch .LBB36_7
.LBB36_16:
	s_endpgm
	.section	.rodata,"a",@progbits
	.p2align	6, 0x0
	.amdhsa_kernel _ZN9rocsparseL21csrmvn_general_kernelILj256ELj16EiiddddEEvbT2_NS_24const_host_device_scalarIT6_EEPKT1_S7_PKS1_PKT3_PKT4_S4_PT5_21rocsparse_index_base_b
		.amdhsa_group_segment_fixed_size 0
		.amdhsa_private_segment_fixed_size 0
		.amdhsa_kernarg_size 336
		.amdhsa_user_sgpr_count 6
		.amdhsa_user_sgpr_private_segment_buffer 1
		.amdhsa_user_sgpr_dispatch_ptr 0
		.amdhsa_user_sgpr_queue_ptr 0
		.amdhsa_user_sgpr_kernarg_segment_ptr 1
		.amdhsa_user_sgpr_dispatch_id 0
		.amdhsa_user_sgpr_flat_scratch_init 0
		.amdhsa_user_sgpr_kernarg_preload_length 0
		.amdhsa_user_sgpr_kernarg_preload_offset 0
		.amdhsa_user_sgpr_private_segment_size 0
		.amdhsa_uses_dynamic_stack 0
		.amdhsa_system_sgpr_private_segment_wavefront_offset 0
		.amdhsa_system_sgpr_workgroup_id_x 1
		.amdhsa_system_sgpr_workgroup_id_y 0
		.amdhsa_system_sgpr_workgroup_id_z 0
		.amdhsa_system_sgpr_workgroup_info 0
		.amdhsa_system_vgpr_workitem_id 0
		.amdhsa_next_free_vgpr 19
		.amdhsa_next_free_sgpr 25
		.amdhsa_accum_offset 20
		.amdhsa_reserve_vcc 1
		.amdhsa_reserve_flat_scratch 0
		.amdhsa_float_round_mode_32 0
		.amdhsa_float_round_mode_16_64 0
		.amdhsa_float_denorm_mode_32 3
		.amdhsa_float_denorm_mode_16_64 3
		.amdhsa_dx10_clamp 1
		.amdhsa_ieee_mode 1
		.amdhsa_fp16_overflow 0
		.amdhsa_tg_split 0
		.amdhsa_exception_fp_ieee_invalid_op 0
		.amdhsa_exception_fp_denorm_src 0
		.amdhsa_exception_fp_ieee_div_zero 0
		.amdhsa_exception_fp_ieee_overflow 0
		.amdhsa_exception_fp_ieee_underflow 0
		.amdhsa_exception_fp_ieee_inexact 0
		.amdhsa_exception_int_div_zero 0
	.end_amdhsa_kernel
	.section	.text._ZN9rocsparseL21csrmvn_general_kernelILj256ELj16EiiddddEEvbT2_NS_24const_host_device_scalarIT6_EEPKT1_S7_PKS1_PKT3_PKT4_S4_PT5_21rocsparse_index_base_b,"axG",@progbits,_ZN9rocsparseL21csrmvn_general_kernelILj256ELj16EiiddddEEvbT2_NS_24const_host_device_scalarIT6_EEPKT1_S7_PKS1_PKT3_PKT4_S4_PT5_21rocsparse_index_base_b,comdat
.Lfunc_end36:
	.size	_ZN9rocsparseL21csrmvn_general_kernelILj256ELj16EiiddddEEvbT2_NS_24const_host_device_scalarIT6_EEPKT1_S7_PKS1_PKT3_PKT4_S4_PT5_21rocsparse_index_base_b, .Lfunc_end36-_ZN9rocsparseL21csrmvn_general_kernelILj256ELj16EiiddddEEvbT2_NS_24const_host_device_scalarIT6_EEPKT1_S7_PKS1_PKT3_PKT4_S4_PT5_21rocsparse_index_base_b
                                        ; -- End function
	.section	.AMDGPU.csdata,"",@progbits
; Kernel info:
; codeLenInByte = 752
; NumSgprs: 29
; NumVgprs: 19
; NumAgprs: 0
; TotalNumVgprs: 19
; ScratchSize: 0
; MemoryBound: 1
; FloatMode: 240
; IeeeMode: 1
; LDSByteSize: 0 bytes/workgroup (compile time only)
; SGPRBlocks: 3
; VGPRBlocks: 2
; NumSGPRsForWavesPerEU: 29
; NumVGPRsForWavesPerEU: 19
; AccumOffset: 20
; Occupancy: 8
; WaveLimiterHint : 1
; COMPUTE_PGM_RSRC2:SCRATCH_EN: 0
; COMPUTE_PGM_RSRC2:USER_SGPR: 6
; COMPUTE_PGM_RSRC2:TRAP_HANDLER: 0
; COMPUTE_PGM_RSRC2:TGID_X_EN: 1
; COMPUTE_PGM_RSRC2:TGID_Y_EN: 0
; COMPUTE_PGM_RSRC2:TGID_Z_EN: 0
; COMPUTE_PGM_RSRC2:TIDIG_COMP_CNT: 0
; COMPUTE_PGM_RSRC3_GFX90A:ACCUM_OFFSET: 4
; COMPUTE_PGM_RSRC3_GFX90A:TG_SPLIT: 0
	.section	.text._ZN9rocsparseL21csrmvn_general_kernelILj256ELj32EiiddddEEvbT2_NS_24const_host_device_scalarIT6_EEPKT1_S7_PKS1_PKT3_PKT4_S4_PT5_21rocsparse_index_base_b,"axG",@progbits,_ZN9rocsparseL21csrmvn_general_kernelILj256ELj32EiiddddEEvbT2_NS_24const_host_device_scalarIT6_EEPKT1_S7_PKS1_PKT3_PKT4_S4_PT5_21rocsparse_index_base_b,comdat
	.globl	_ZN9rocsparseL21csrmvn_general_kernelILj256ELj32EiiddddEEvbT2_NS_24const_host_device_scalarIT6_EEPKT1_S7_PKS1_PKT3_PKT4_S4_PT5_21rocsparse_index_base_b ; -- Begin function _ZN9rocsparseL21csrmvn_general_kernelILj256ELj32EiiddddEEvbT2_NS_24const_host_device_scalarIT6_EEPKT1_S7_PKS1_PKT3_PKT4_S4_PT5_21rocsparse_index_base_b
	.p2align	8
	.type	_ZN9rocsparseL21csrmvn_general_kernelILj256ELj32EiiddddEEvbT2_NS_24const_host_device_scalarIT6_EEPKT1_S7_PKS1_PKT3_PKT4_S4_PT5_21rocsparse_index_base_b,@function
_ZN9rocsparseL21csrmvn_general_kernelILj256ELj32EiiddddEEvbT2_NS_24const_host_device_scalarIT6_EEPKT1_S7_PKS1_PKT3_PKT4_S4_PT5_21rocsparse_index_base_b: ; @_ZN9rocsparseL21csrmvn_general_kernelILj256ELj32EiiddddEEvbT2_NS_24const_host_device_scalarIT6_EEPKT1_S7_PKS1_PKT3_PKT4_S4_PT5_21rocsparse_index_base_b
; %bb.0:
	s_load_dwordx2 s[20:21], s[4:5], 0x48
	s_load_dwordx4 s[16:19], s[4:5], 0x8
	s_load_dwordx2 s[0:1], s[4:5], 0x38
	s_waitcnt lgkmcnt(0)
	s_bitcmp1_b32 s21, 0
	s_cselect_b64 s[8:9], -1, 0
	s_xor_b64 s[2:3], s[8:9], -1
	s_and_b64 vcc, exec, s[8:9]
	v_pk_mov_b32 v[2:3], s[16:17], s[16:17] op_sel:[0,1]
	s_cbranch_vccnz .LBB37_2
; %bb.1:
	v_pk_mov_b32 v[2:3], s[16:17], s[16:17] op_sel:[0,1]
	flat_load_dwordx2 v[2:3], v[2:3]
.LBB37_2:
	s_andn2_b64 vcc, exec, s[2:3]
	v_pk_mov_b32 v[4:5], s[0:1], s[0:1] op_sel:[0,1]
	s_cbranch_vccnz .LBB37_4
; %bb.3:
	v_pk_mov_b32 v[4:5], s[0:1], s[0:1] op_sel:[0,1]
	flat_load_dwordx2 v[4:5], v[4:5]
.LBB37_4:
	s_waitcnt vmcnt(0) lgkmcnt(0)
	v_cmp_neq_f64_e32 vcc, 0, v[2:3]
	v_cmp_neq_f64_e64 s[0:1], 1.0, v[4:5]
	s_or_b64 s[0:1], vcc, s[0:1]
	s_and_saveexec_b64 s[2:3], s[0:1]
	s_cbranch_execz .LBB37_16
; %bb.5:
	s_load_dword s22, s[4:5], 0x4
	v_lshl_or_b32 v1, s6, 8, v0
	v_lshrrev_b32_e32 v6, 5, v1
	s_waitcnt lgkmcnt(0)
	v_cmp_gt_i32_e32 vcc, s22, v6
	s_and_b64 exec, exec, vcc
	s_cbranch_execz .LBB37_16
; %bb.6:
	s_load_dword s0, s[4:5], 0x50
	s_load_dwordx2 s[6:7], s[4:5], 0x40
	s_load_dwordx8 s[8:15], s[4:5], 0x18
	s_ashr_i32 s21, s20, 31
	v_and_b32_e32 v0, 31, v0
	s_waitcnt lgkmcnt(0)
	s_lshl_b32 s23, s0, 3
	s_lshl_b64 s[0:1], s[20:21], 3
	s_sub_u32 s21, s14, s0
	v_subrev_u32_e32 v10, s20, v0
	s_subb_u32 s24, s15, s1
	v_cmp_eq_u32_e32 vcc, 31, v0
	s_mov_b64 s[4:5], 0
	v_cmp_neq_f64_e64 s[0:1], 0, v[4:5]
	v_mov_b32_e32 v11, s19
	v_mov_b32_e32 v12, s9
	s_branch .LBB37_9
.LBB37_7:                               ;   in Loop: Header=BB37_9 Depth=1
	s_or_b64 exec, exec, s[2:3]
	global_store_dwordx2 v[8:9], v[0:1], off
.LBB37_8:                               ;   in Loop: Header=BB37_9 Depth=1
	s_or_b64 exec, exec, s[14:15]
	v_add_u32_e32 v6, s23, v6
	v_cmp_le_i32_e64 s[2:3], s22, v6
	s_or_b64 s[4:5], s[2:3], s[4:5]
	s_andn2_b64 exec, exec, s[4:5]
	s_cbranch_execz .LBB37_16
.LBB37_9:                               ; =>This Loop Header: Depth=1
                                        ;     Child Loop BB37_11 Depth 2
	v_ashrrev_i32_e32 v7, 31, v6
	v_lshlrev_b64 v[0:1], 2, v[6:7]
	v_add_co_u32_e64 v8, s[2:3], s18, v0
	v_addc_co_u32_e64 v9, s[2:3], v11, v1, s[2:3]
	v_add_co_u32_e64 v0, s[2:3], s8, v0
	v_addc_co_u32_e64 v1, s[2:3], v12, v1, s[2:3]
	global_load_dword v13, v[0:1], off
	global_load_dword v14, v[8:9], off
	v_pk_mov_b32 v[0:1], 0, 0
	s_waitcnt vmcnt(1)
	v_subrev_u32_e32 v13, s20, v13
	s_waitcnt vmcnt(0)
	v_add_u32_e32 v8, v14, v10
	v_cmp_lt_i32_e64 s[2:3], v8, v13
	s_and_saveexec_b64 s[14:15], s[2:3]
	s_cbranch_execz .LBB37_13
; %bb.10:                               ;   in Loop: Header=BB37_9 Depth=1
	s_mov_b64 s[16:17], 0
	v_pk_mov_b32 v[0:1], 0, 0
.LBB37_11:                              ;   Parent Loop BB37_9 Depth=1
                                        ; =>  This Inner Loop Header: Depth=2
	v_ashrrev_i32_e32 v9, 31, v8
	v_lshlrev_b64 v[14:15], 2, v[8:9]
	v_mov_b32_e32 v16, s11
	v_add_co_u32_e64 v14, s[2:3], s10, v14
	v_addc_co_u32_e64 v15, s[2:3], v16, v15, s[2:3]
	global_load_dword v14, v[14:15], off
	v_lshlrev_b64 v[16:17], 3, v[8:9]
	v_mov_b32_e32 v15, s13
	v_add_co_u32_e64 v16, s[2:3], s12, v16
	v_addc_co_u32_e64 v17, s[2:3], v15, v17, s[2:3]
	v_mov_b32_e32 v18, s24
	global_load_dwordx2 v[16:17], v[16:17], off
	v_add_u32_e32 v8, 32, v8
	s_waitcnt vmcnt(1)
	v_ashrrev_i32_e32 v15, 31, v14
	v_lshlrev_b64 v[14:15], 3, v[14:15]
	v_add_co_u32_e64 v14, s[2:3], s21, v14
	v_addc_co_u32_e64 v15, s[2:3], v18, v15, s[2:3]
	global_load_dwordx2 v[14:15], v[14:15], off
	v_cmp_ge_i32_e64 s[2:3], v8, v13
	s_waitcnt vmcnt(1)
	v_mul_f64 v[16:17], v[2:3], v[16:17]
	s_or_b64 s[16:17], s[2:3], s[16:17]
	s_waitcnt vmcnt(0)
	v_fmac_f64_e32 v[0:1], v[16:17], v[14:15]
	s_andn2_b64 exec, exec, s[16:17]
	s_cbranch_execnz .LBB37_11
; %bb.12:                               ;   in Loop: Header=BB37_9 Depth=1
	s_or_b64 exec, exec, s[16:17]
.LBB37_13:                              ;   in Loop: Header=BB37_9 Depth=1
	s_or_b64 exec, exec, s[14:15]
	v_mov_b32_dpp v8, v0 row_shr:1 row_mask:0xf bank_mask:0xf
	v_mov_b32_dpp v9, v1 row_shr:1 row_mask:0xf bank_mask:0xf
	v_add_f64 v[0:1], v[0:1], v[8:9]
	s_nop 1
	v_mov_b32_dpp v8, v0 row_shr:2 row_mask:0xf bank_mask:0xf
	v_mov_b32_dpp v9, v1 row_shr:2 row_mask:0xf bank_mask:0xf
	v_add_f64 v[0:1], v[0:1], v[8:9]
	s_nop 1
	;; [unrolled: 4-line block ×4, first 2 shown]
	v_mov_b32_dpp v8, v0 row_bcast:15 row_mask:0xa bank_mask:0xf
	v_mov_b32_dpp v9, v1 row_bcast:15 row_mask:0xa bank_mask:0xf
	s_and_saveexec_b64 s[14:15], vcc
	s_cbranch_execz .LBB37_8
; %bb.14:                               ;   in Loop: Header=BB37_9 Depth=1
	v_add_f64 v[0:1], v[0:1], v[8:9]
	v_lshlrev_b64 v[8:9], 3, v[6:7]
	v_mov_b32_e32 v7, s7
	v_add_co_u32_e64 v8, s[2:3], s6, v8
	v_addc_co_u32_e64 v9, s[2:3], v7, v9, s[2:3]
	s_and_saveexec_b64 s[2:3], s[0:1]
	s_cbranch_execz .LBB37_7
; %bb.15:                               ;   in Loop: Header=BB37_9 Depth=1
	global_load_dwordx2 v[14:15], v[8:9], off
	s_waitcnt vmcnt(0)
	v_fmac_f64_e32 v[0:1], v[4:5], v[14:15]
	s_branch .LBB37_7
.LBB37_16:
	s_endpgm
	.section	.rodata,"a",@progbits
	.p2align	6, 0x0
	.amdhsa_kernel _ZN9rocsparseL21csrmvn_general_kernelILj256ELj32EiiddddEEvbT2_NS_24const_host_device_scalarIT6_EEPKT1_S7_PKS1_PKT3_PKT4_S4_PT5_21rocsparse_index_base_b
		.amdhsa_group_segment_fixed_size 0
		.amdhsa_private_segment_fixed_size 0
		.amdhsa_kernarg_size 336
		.amdhsa_user_sgpr_count 6
		.amdhsa_user_sgpr_private_segment_buffer 1
		.amdhsa_user_sgpr_dispatch_ptr 0
		.amdhsa_user_sgpr_queue_ptr 0
		.amdhsa_user_sgpr_kernarg_segment_ptr 1
		.amdhsa_user_sgpr_dispatch_id 0
		.amdhsa_user_sgpr_flat_scratch_init 0
		.amdhsa_user_sgpr_kernarg_preload_length 0
		.amdhsa_user_sgpr_kernarg_preload_offset 0
		.amdhsa_user_sgpr_private_segment_size 0
		.amdhsa_uses_dynamic_stack 0
		.amdhsa_system_sgpr_private_segment_wavefront_offset 0
		.amdhsa_system_sgpr_workgroup_id_x 1
		.amdhsa_system_sgpr_workgroup_id_y 0
		.amdhsa_system_sgpr_workgroup_id_z 0
		.amdhsa_system_sgpr_workgroup_info 0
		.amdhsa_system_vgpr_workitem_id 0
		.amdhsa_next_free_vgpr 19
		.amdhsa_next_free_sgpr 25
		.amdhsa_accum_offset 20
		.amdhsa_reserve_vcc 1
		.amdhsa_reserve_flat_scratch 0
		.amdhsa_float_round_mode_32 0
		.amdhsa_float_round_mode_16_64 0
		.amdhsa_float_denorm_mode_32 3
		.amdhsa_float_denorm_mode_16_64 3
		.amdhsa_dx10_clamp 1
		.amdhsa_ieee_mode 1
		.amdhsa_fp16_overflow 0
		.amdhsa_tg_split 0
		.amdhsa_exception_fp_ieee_invalid_op 0
		.amdhsa_exception_fp_denorm_src 0
		.amdhsa_exception_fp_ieee_div_zero 0
		.amdhsa_exception_fp_ieee_overflow 0
		.amdhsa_exception_fp_ieee_underflow 0
		.amdhsa_exception_fp_ieee_inexact 0
		.amdhsa_exception_int_div_zero 0
	.end_amdhsa_kernel
	.section	.text._ZN9rocsparseL21csrmvn_general_kernelILj256ELj32EiiddddEEvbT2_NS_24const_host_device_scalarIT6_EEPKT1_S7_PKS1_PKT3_PKT4_S4_PT5_21rocsparse_index_base_b,"axG",@progbits,_ZN9rocsparseL21csrmvn_general_kernelILj256ELj32EiiddddEEvbT2_NS_24const_host_device_scalarIT6_EEPKT1_S7_PKS1_PKT3_PKT4_S4_PT5_21rocsparse_index_base_b,comdat
.Lfunc_end37:
	.size	_ZN9rocsparseL21csrmvn_general_kernelILj256ELj32EiiddddEEvbT2_NS_24const_host_device_scalarIT6_EEPKT1_S7_PKS1_PKT3_PKT4_S4_PT5_21rocsparse_index_base_b, .Lfunc_end37-_ZN9rocsparseL21csrmvn_general_kernelILj256ELj32EiiddddEEvbT2_NS_24const_host_device_scalarIT6_EEPKT1_S7_PKS1_PKT3_PKT4_S4_PT5_21rocsparse_index_base_b
                                        ; -- End function
	.section	.AMDGPU.csdata,"",@progbits
; Kernel info:
; codeLenInByte = 780
; NumSgprs: 29
; NumVgprs: 19
; NumAgprs: 0
; TotalNumVgprs: 19
; ScratchSize: 0
; MemoryBound: 1
; FloatMode: 240
; IeeeMode: 1
; LDSByteSize: 0 bytes/workgroup (compile time only)
; SGPRBlocks: 3
; VGPRBlocks: 2
; NumSGPRsForWavesPerEU: 29
; NumVGPRsForWavesPerEU: 19
; AccumOffset: 20
; Occupancy: 8
; WaveLimiterHint : 1
; COMPUTE_PGM_RSRC2:SCRATCH_EN: 0
; COMPUTE_PGM_RSRC2:USER_SGPR: 6
; COMPUTE_PGM_RSRC2:TRAP_HANDLER: 0
; COMPUTE_PGM_RSRC2:TGID_X_EN: 1
; COMPUTE_PGM_RSRC2:TGID_Y_EN: 0
; COMPUTE_PGM_RSRC2:TGID_Z_EN: 0
; COMPUTE_PGM_RSRC2:TIDIG_COMP_CNT: 0
; COMPUTE_PGM_RSRC3_GFX90A:ACCUM_OFFSET: 4
; COMPUTE_PGM_RSRC3_GFX90A:TG_SPLIT: 0
	.section	.text._ZN9rocsparseL21csrmvn_general_kernelILj256ELj64EiiddddEEvbT2_NS_24const_host_device_scalarIT6_EEPKT1_S7_PKS1_PKT3_PKT4_S4_PT5_21rocsparse_index_base_b,"axG",@progbits,_ZN9rocsparseL21csrmvn_general_kernelILj256ELj64EiiddddEEvbT2_NS_24const_host_device_scalarIT6_EEPKT1_S7_PKS1_PKT3_PKT4_S4_PT5_21rocsparse_index_base_b,comdat
	.globl	_ZN9rocsparseL21csrmvn_general_kernelILj256ELj64EiiddddEEvbT2_NS_24const_host_device_scalarIT6_EEPKT1_S7_PKS1_PKT3_PKT4_S4_PT5_21rocsparse_index_base_b ; -- Begin function _ZN9rocsparseL21csrmvn_general_kernelILj256ELj64EiiddddEEvbT2_NS_24const_host_device_scalarIT6_EEPKT1_S7_PKS1_PKT3_PKT4_S4_PT5_21rocsparse_index_base_b
	.p2align	8
	.type	_ZN9rocsparseL21csrmvn_general_kernelILj256ELj64EiiddddEEvbT2_NS_24const_host_device_scalarIT6_EEPKT1_S7_PKS1_PKT3_PKT4_S4_PT5_21rocsparse_index_base_b,@function
_ZN9rocsparseL21csrmvn_general_kernelILj256ELj64EiiddddEEvbT2_NS_24const_host_device_scalarIT6_EEPKT1_S7_PKS1_PKT3_PKT4_S4_PT5_21rocsparse_index_base_b: ; @_ZN9rocsparseL21csrmvn_general_kernelILj256ELj64EiiddddEEvbT2_NS_24const_host_device_scalarIT6_EEPKT1_S7_PKS1_PKT3_PKT4_S4_PT5_21rocsparse_index_base_b
; %bb.0:
	s_load_dwordx2 s[20:21], s[4:5], 0x48
	s_load_dwordx4 s[16:19], s[4:5], 0x8
	s_load_dwordx2 s[0:1], s[4:5], 0x38
	s_waitcnt lgkmcnt(0)
	s_bitcmp1_b32 s21, 0
	s_cselect_b64 s[8:9], -1, 0
	s_xor_b64 s[2:3], s[8:9], -1
	s_and_b64 vcc, exec, s[8:9]
	v_pk_mov_b32 v[2:3], s[16:17], s[16:17] op_sel:[0,1]
	s_cbranch_vccnz .LBB38_2
; %bb.1:
	v_pk_mov_b32 v[2:3], s[16:17], s[16:17] op_sel:[0,1]
	flat_load_dwordx2 v[2:3], v[2:3]
.LBB38_2:
	s_andn2_b64 vcc, exec, s[2:3]
	v_pk_mov_b32 v[4:5], s[0:1], s[0:1] op_sel:[0,1]
	s_cbranch_vccnz .LBB38_4
; %bb.3:
	v_pk_mov_b32 v[4:5], s[0:1], s[0:1] op_sel:[0,1]
	flat_load_dwordx2 v[4:5], v[4:5]
.LBB38_4:
	s_waitcnt vmcnt(0) lgkmcnt(0)
	v_cmp_neq_f64_e32 vcc, 0, v[2:3]
	v_cmp_neq_f64_e64 s[0:1], 1.0, v[4:5]
	s_or_b64 s[0:1], vcc, s[0:1]
	s_and_saveexec_b64 s[2:3], s[0:1]
	s_cbranch_execz .LBB38_16
; %bb.5:
	s_load_dword s22, s[4:5], 0x4
	v_lshl_or_b32 v1, s6, 8, v0
	v_lshrrev_b32_e32 v6, 6, v1
	s_waitcnt lgkmcnt(0)
	v_cmp_gt_i32_e32 vcc, s22, v6
	s_and_b64 exec, exec, vcc
	s_cbranch_execz .LBB38_16
; %bb.6:
	s_load_dword s0, s[4:5], 0x50
	s_load_dwordx2 s[6:7], s[4:5], 0x40
	s_load_dwordx8 s[8:15], s[4:5], 0x18
	s_ashr_i32 s21, s20, 31
	v_and_b32_e32 v0, 63, v0
	s_waitcnt lgkmcnt(0)
	s_lshl_b32 s23, s0, 2
	s_lshl_b64 s[0:1], s[20:21], 3
	s_sub_u32 s21, s14, s0
	v_subrev_u32_e32 v10, s20, v0
	s_subb_u32 s24, s15, s1
	v_cmp_eq_u32_e32 vcc, 63, v0
	s_mov_b64 s[4:5], 0
	v_cmp_neq_f64_e64 s[0:1], 0, v[4:5]
	v_mov_b32_e32 v11, s19
	v_mov_b32_e32 v12, s9
	s_branch .LBB38_9
.LBB38_7:                               ;   in Loop: Header=BB38_9 Depth=1
	s_or_b64 exec, exec, s[2:3]
	global_store_dwordx2 v[8:9], v[0:1], off
.LBB38_8:                               ;   in Loop: Header=BB38_9 Depth=1
	s_or_b64 exec, exec, s[14:15]
	v_add_u32_e32 v6, s23, v6
	v_cmp_le_i32_e64 s[2:3], s22, v6
	s_or_b64 s[4:5], s[2:3], s[4:5]
	s_andn2_b64 exec, exec, s[4:5]
	s_cbranch_execz .LBB38_16
.LBB38_9:                               ; =>This Loop Header: Depth=1
                                        ;     Child Loop BB38_11 Depth 2
	v_ashrrev_i32_e32 v7, 31, v6
	v_lshlrev_b64 v[0:1], 2, v[6:7]
	v_add_co_u32_e64 v8, s[2:3], s18, v0
	v_addc_co_u32_e64 v9, s[2:3], v11, v1, s[2:3]
	v_add_co_u32_e64 v0, s[2:3], s8, v0
	v_addc_co_u32_e64 v1, s[2:3], v12, v1, s[2:3]
	global_load_dword v13, v[0:1], off
	global_load_dword v14, v[8:9], off
	v_pk_mov_b32 v[0:1], 0, 0
	s_waitcnt vmcnt(1)
	v_subrev_u32_e32 v13, s20, v13
	s_waitcnt vmcnt(0)
	v_add_u32_e32 v8, v14, v10
	v_cmp_lt_i32_e64 s[2:3], v8, v13
	s_and_saveexec_b64 s[14:15], s[2:3]
	s_cbranch_execz .LBB38_13
; %bb.10:                               ;   in Loop: Header=BB38_9 Depth=1
	s_mov_b64 s[16:17], 0
	v_pk_mov_b32 v[0:1], 0, 0
.LBB38_11:                              ;   Parent Loop BB38_9 Depth=1
                                        ; =>  This Inner Loop Header: Depth=2
	v_ashrrev_i32_e32 v9, 31, v8
	v_lshlrev_b64 v[14:15], 2, v[8:9]
	v_mov_b32_e32 v16, s11
	v_add_co_u32_e64 v14, s[2:3], s10, v14
	v_addc_co_u32_e64 v15, s[2:3], v16, v15, s[2:3]
	global_load_dword v14, v[14:15], off
	v_lshlrev_b64 v[16:17], 3, v[8:9]
	v_mov_b32_e32 v15, s13
	v_add_co_u32_e64 v16, s[2:3], s12, v16
	v_addc_co_u32_e64 v17, s[2:3], v15, v17, s[2:3]
	v_mov_b32_e32 v18, s24
	global_load_dwordx2 v[16:17], v[16:17], off
	v_add_u32_e32 v8, 64, v8
	s_waitcnt vmcnt(1)
	v_ashrrev_i32_e32 v15, 31, v14
	v_lshlrev_b64 v[14:15], 3, v[14:15]
	v_add_co_u32_e64 v14, s[2:3], s21, v14
	v_addc_co_u32_e64 v15, s[2:3], v18, v15, s[2:3]
	global_load_dwordx2 v[14:15], v[14:15], off
	v_cmp_ge_i32_e64 s[2:3], v8, v13
	s_waitcnt vmcnt(1)
	v_mul_f64 v[16:17], v[2:3], v[16:17]
	s_or_b64 s[16:17], s[2:3], s[16:17]
	s_waitcnt vmcnt(0)
	v_fmac_f64_e32 v[0:1], v[16:17], v[14:15]
	s_andn2_b64 exec, exec, s[16:17]
	s_cbranch_execnz .LBB38_11
; %bb.12:                               ;   in Loop: Header=BB38_9 Depth=1
	s_or_b64 exec, exec, s[16:17]
.LBB38_13:                              ;   in Loop: Header=BB38_9 Depth=1
	s_or_b64 exec, exec, s[14:15]
	v_mov_b32_dpp v8, v0 row_shr:1 row_mask:0xf bank_mask:0xf
	v_mov_b32_dpp v9, v1 row_shr:1 row_mask:0xf bank_mask:0xf
	v_add_f64 v[0:1], v[0:1], v[8:9]
	s_nop 1
	v_mov_b32_dpp v8, v0 row_shr:2 row_mask:0xf bank_mask:0xf
	v_mov_b32_dpp v9, v1 row_shr:2 row_mask:0xf bank_mask:0xf
	v_add_f64 v[0:1], v[0:1], v[8:9]
	s_nop 1
	;; [unrolled: 4-line block ×4, first 2 shown]
	v_mov_b32_dpp v8, v0 row_bcast:15 row_mask:0xa bank_mask:0xf
	v_mov_b32_dpp v9, v1 row_bcast:15 row_mask:0xa bank_mask:0xf
	v_add_f64 v[0:1], v[0:1], v[8:9]
	s_nop 1
	v_mov_b32_dpp v8, v0 row_bcast:31 row_mask:0xc bank_mask:0xf
	v_mov_b32_dpp v9, v1 row_bcast:31 row_mask:0xc bank_mask:0xf
	s_and_saveexec_b64 s[14:15], vcc
	s_cbranch_execz .LBB38_8
; %bb.14:                               ;   in Loop: Header=BB38_9 Depth=1
	v_add_f64 v[0:1], v[0:1], v[8:9]
	v_lshlrev_b64 v[8:9], 3, v[6:7]
	v_mov_b32_e32 v7, s7
	v_add_co_u32_e64 v8, s[2:3], s6, v8
	v_addc_co_u32_e64 v9, s[2:3], v7, v9, s[2:3]
	s_and_saveexec_b64 s[2:3], s[0:1]
	s_cbranch_execz .LBB38_7
; %bb.15:                               ;   in Loop: Header=BB38_9 Depth=1
	global_load_dwordx2 v[14:15], v[8:9], off
	s_waitcnt vmcnt(0)
	v_fmac_f64_e32 v[0:1], v[4:5], v[14:15]
	s_branch .LBB38_7
.LBB38_16:
	s_endpgm
	.section	.rodata,"a",@progbits
	.p2align	6, 0x0
	.amdhsa_kernel _ZN9rocsparseL21csrmvn_general_kernelILj256ELj64EiiddddEEvbT2_NS_24const_host_device_scalarIT6_EEPKT1_S7_PKS1_PKT3_PKT4_S4_PT5_21rocsparse_index_base_b
		.amdhsa_group_segment_fixed_size 0
		.amdhsa_private_segment_fixed_size 0
		.amdhsa_kernarg_size 336
		.amdhsa_user_sgpr_count 6
		.amdhsa_user_sgpr_private_segment_buffer 1
		.amdhsa_user_sgpr_dispatch_ptr 0
		.amdhsa_user_sgpr_queue_ptr 0
		.amdhsa_user_sgpr_kernarg_segment_ptr 1
		.amdhsa_user_sgpr_dispatch_id 0
		.amdhsa_user_sgpr_flat_scratch_init 0
		.amdhsa_user_sgpr_kernarg_preload_length 0
		.amdhsa_user_sgpr_kernarg_preload_offset 0
		.amdhsa_user_sgpr_private_segment_size 0
		.amdhsa_uses_dynamic_stack 0
		.amdhsa_system_sgpr_private_segment_wavefront_offset 0
		.amdhsa_system_sgpr_workgroup_id_x 1
		.amdhsa_system_sgpr_workgroup_id_y 0
		.amdhsa_system_sgpr_workgroup_id_z 0
		.amdhsa_system_sgpr_workgroup_info 0
		.amdhsa_system_vgpr_workitem_id 0
		.amdhsa_next_free_vgpr 19
		.amdhsa_next_free_sgpr 25
		.amdhsa_accum_offset 20
		.amdhsa_reserve_vcc 1
		.amdhsa_reserve_flat_scratch 0
		.amdhsa_float_round_mode_32 0
		.amdhsa_float_round_mode_16_64 0
		.amdhsa_float_denorm_mode_32 3
		.amdhsa_float_denorm_mode_16_64 3
		.amdhsa_dx10_clamp 1
		.amdhsa_ieee_mode 1
		.amdhsa_fp16_overflow 0
		.amdhsa_tg_split 0
		.amdhsa_exception_fp_ieee_invalid_op 0
		.amdhsa_exception_fp_denorm_src 0
		.amdhsa_exception_fp_ieee_div_zero 0
		.amdhsa_exception_fp_ieee_overflow 0
		.amdhsa_exception_fp_ieee_underflow 0
		.amdhsa_exception_fp_ieee_inexact 0
		.amdhsa_exception_int_div_zero 0
	.end_amdhsa_kernel
	.section	.text._ZN9rocsparseL21csrmvn_general_kernelILj256ELj64EiiddddEEvbT2_NS_24const_host_device_scalarIT6_EEPKT1_S7_PKS1_PKT3_PKT4_S4_PT5_21rocsparse_index_base_b,"axG",@progbits,_ZN9rocsparseL21csrmvn_general_kernelILj256ELj64EiiddddEEvbT2_NS_24const_host_device_scalarIT6_EEPKT1_S7_PKS1_PKT3_PKT4_S4_PT5_21rocsparse_index_base_b,comdat
.Lfunc_end38:
	.size	_ZN9rocsparseL21csrmvn_general_kernelILj256ELj64EiiddddEEvbT2_NS_24const_host_device_scalarIT6_EEPKT1_S7_PKS1_PKT3_PKT4_S4_PT5_21rocsparse_index_base_b, .Lfunc_end38-_ZN9rocsparseL21csrmvn_general_kernelILj256ELj64EiiddddEEvbT2_NS_24const_host_device_scalarIT6_EEPKT1_S7_PKS1_PKT3_PKT4_S4_PT5_21rocsparse_index_base_b
                                        ; -- End function
	.section	.AMDGPU.csdata,"",@progbits
; Kernel info:
; codeLenInByte = 808
; NumSgprs: 29
; NumVgprs: 19
; NumAgprs: 0
; TotalNumVgprs: 19
; ScratchSize: 0
; MemoryBound: 1
; FloatMode: 240
; IeeeMode: 1
; LDSByteSize: 0 bytes/workgroup (compile time only)
; SGPRBlocks: 3
; VGPRBlocks: 2
; NumSGPRsForWavesPerEU: 29
; NumVGPRsForWavesPerEU: 19
; AccumOffset: 20
; Occupancy: 8
; WaveLimiterHint : 1
; COMPUTE_PGM_RSRC2:SCRATCH_EN: 0
; COMPUTE_PGM_RSRC2:USER_SGPR: 6
; COMPUTE_PGM_RSRC2:TRAP_HANDLER: 0
; COMPUTE_PGM_RSRC2:TGID_X_EN: 1
; COMPUTE_PGM_RSRC2:TGID_Y_EN: 0
; COMPUTE_PGM_RSRC2:TGID_Z_EN: 0
; COMPUTE_PGM_RSRC2:TIDIG_COMP_CNT: 0
; COMPUTE_PGM_RSRC3_GFX90A:ACCUM_OFFSET: 4
; COMPUTE_PGM_RSRC3_GFX90A:TG_SPLIT: 0
	.section	.text._ZN9rocsparseL21csrmvt_general_kernelILj256ELj4EiiddddEEvbbT2_NS_24const_host_device_scalarIT6_EEPKT1_S7_PKS1_PKT3_PKT4_PT5_21rocsparse_index_base_b,"axG",@progbits,_ZN9rocsparseL21csrmvt_general_kernelILj256ELj4EiiddddEEvbbT2_NS_24const_host_device_scalarIT6_EEPKT1_S7_PKS1_PKT3_PKT4_PT5_21rocsparse_index_base_b,comdat
	.globl	_ZN9rocsparseL21csrmvt_general_kernelILj256ELj4EiiddddEEvbbT2_NS_24const_host_device_scalarIT6_EEPKT1_S7_PKS1_PKT3_PKT4_PT5_21rocsparse_index_base_b ; -- Begin function _ZN9rocsparseL21csrmvt_general_kernelILj256ELj4EiiddddEEvbbT2_NS_24const_host_device_scalarIT6_EEPKT1_S7_PKS1_PKT3_PKT4_PT5_21rocsparse_index_base_b
	.p2align	8
	.type	_ZN9rocsparseL21csrmvt_general_kernelILj256ELj4EiiddddEEvbbT2_NS_24const_host_device_scalarIT6_EEPKT1_S7_PKS1_PKT3_PKT4_PT5_21rocsparse_index_base_b,@function
_ZN9rocsparseL21csrmvt_general_kernelILj256ELj4EiiddddEEvbbT2_NS_24const_host_device_scalarIT6_EEPKT1_S7_PKS1_PKT3_PKT4_PT5_21rocsparse_index_base_b: ; @_ZN9rocsparseL21csrmvt_general_kernelILj256ELj4EiiddddEEvbbT2_NS_24const_host_device_scalarIT6_EEPKT1_S7_PKS1_PKT3_PKT4_PT5_21rocsparse_index_base_b
; %bb.0:
	s_load_dwordx2 s[16:17], s[4:5], 0x40
	s_load_dwordx4 s[0:3], s[4:5], 0x8
	s_waitcnt lgkmcnt(0)
	s_bitcmp1_b32 s17, 0
	s_cselect_b64 s[8:9], -1, 0
	s_and_b64 vcc, exec, s[8:9]
	v_pk_mov_b32 v[4:5], s[0:1], s[0:1] op_sel:[0,1]
	s_cbranch_vccnz .LBB39_2
; %bb.1:
	v_pk_mov_b32 v[2:3], s[0:1], s[0:1] op_sel:[0,1]
	flat_load_dwordx2 v[4:5], v[2:3]
.LBB39_2:
	s_waitcnt vmcnt(0) lgkmcnt(0)
	v_cmp_neq_f64_e32 vcc, 0, v[4:5]
	s_and_saveexec_b64 s[0:1], vcc
	s_cbranch_execz .LBB39_23
; %bb.3:
	s_load_dwordx2 s[18:19], s[4:5], 0x0
	s_load_dword s0, s[4:5], 0x48
	s_load_dwordx2 s[20:21], s[4:5], 0x38
	s_load_dwordx8 s[8:15], s[4:5], 0x18
	v_and_b32_e32 v7, 3, v0
	v_lshl_or_b32 v0, s6, 8, v0
	s_waitcnt lgkmcnt(0)
	s_and_b32 s1, s18, 1
	s_lshl_b32 s17, s0, 6
	v_lshrrev_b32_e32 v6, 2, v0
	s_cmp_eq_u32 s1, 0
	v_cmp_gt_i32_e64 s[0:1], s19, v6
	s_mov_b64 s[4:5], -1
	s_cbranch_scc0 .LBB39_13
; %bb.4:
	s_and_saveexec_b64 s[4:5], s[0:1]
	s_cbranch_execz .LBB39_12
; %bb.5:
	v_subrev_u32_e32 v18, s16, v7
	s_mov_b64 s[6:7], 0
	v_mov_b32_e32 v19, s3
	v_mov_b32_e32 v20, s9
	;; [unrolled: 1-line block ×3, first 2 shown]
	s_branch .LBB39_7
.LBB39_6:                               ;   in Loop: Header=BB39_7 Depth=1
	s_or_b64 exec, exec, s[22:23]
	v_add_u32_e32 v8, s17, v8
	v_cmp_le_i32_e32 vcc, s19, v8
	s_or_b64 s[6:7], vcc, s[6:7]
	s_andn2_b64 exec, exec, s[6:7]
	s_cbranch_execz .LBB39_12
.LBB39_7:                               ; =>This Loop Header: Depth=1
                                        ;     Child Loop BB39_9 Depth 2
                                        ;       Child Loop BB39_10 Depth 3
	v_ashrrev_i32_e32 v9, 31, v8
	v_lshlrev_b64 v[0:1], 2, v[8:9]
	v_add_co_u32_e32 v2, vcc, s2, v0
	v_addc_co_u32_e32 v3, vcc, v19, v1, vcc
	v_add_co_u32_e32 v0, vcc, s8, v0
	v_addc_co_u32_e32 v1, vcc, v20, v1, vcc
	global_load_dword v10, v[0:1], off
	global_load_dword v11, v[2:3], off
	s_waitcnt vmcnt(1)
	v_subrev_u32_e32 v21, s16, v10
	s_waitcnt vmcnt(0)
	v_add_u32_e32 v10, v11, v18
	v_cmp_lt_i32_e32 vcc, v10, v21
	s_and_saveexec_b64 s[22:23], vcc
	s_cbranch_execz .LBB39_6
; %bb.8:                                ;   in Loop: Header=BB39_7 Depth=1
	v_lshlrev_b64 v[0:1], 3, v[8:9]
	v_mov_b32_e32 v2, s15
	v_add_co_u32_e32 v0, vcc, s14, v0
	v_addc_co_u32_e32 v1, vcc, v2, v1, vcc
	global_load_dwordx2 v[0:1], v[0:1], off
	s_mov_b64 s[24:25], 0
	s_waitcnt vmcnt(0)
	v_mul_f64 v[12:13], v[4:5], v[0:1]
.LBB39_9:                               ;   Parent Loop BB39_7 Depth=1
                                        ; =>  This Loop Header: Depth=2
                                        ;       Child Loop BB39_10 Depth 3
	v_ashrrev_i32_e32 v11, 31, v10
	v_lshlrev_b64 v[0:1], 2, v[10:11]
	v_mov_b32_e32 v2, s11
	v_add_co_u32_e32 v0, vcc, s10, v0
	v_addc_co_u32_e32 v1, vcc, v2, v1, vcc
	global_load_dword v2, v[0:1], off
	v_lshlrev_b64 v[0:1], 3, v[10:11]
	v_mov_b32_e32 v3, s13
	v_add_co_u32_e32 v0, vcc, s12, v0
	v_addc_co_u32_e32 v1, vcc, v3, v1, vcc
	v_mov_b32_e32 v9, s21
	global_load_dwordx2 v[0:1], v[0:1], off
	s_mov_b64 s[26:27], 0
	s_waitcnt vmcnt(1)
	v_subrev_u32_e32 v2, s16, v2
	v_ashrrev_i32_e32 v3, 31, v2
	v_lshlrev_b64 v[2:3], 3, v[2:3]
	v_add_co_u32_e32 v14, vcc, s20, v2
	v_addc_co_u32_e32 v15, vcc, v9, v3, vcc
	global_load_dwordx2 v[2:3], v[14:15], off
	s_waitcnt vmcnt(1)
	v_mul_f64 v[16:17], v[12:13], v[0:1]
.LBB39_10:                              ;   Parent Loop BB39_7 Depth=1
                                        ;     Parent Loop BB39_9 Depth=2
                                        ; =>    This Inner Loop Header: Depth=3
	s_waitcnt vmcnt(0)
	v_add_f64 v[0:1], v[2:3], v[16:17]
	global_atomic_cmpswap_x2 v[0:1], v[14:15], v[0:3], off glc
	s_waitcnt vmcnt(0)
	v_cmp_eq_u64_e32 vcc, v[0:1], v[2:3]
	s_or_b64 s[26:27], vcc, s[26:27]
	v_pk_mov_b32 v[2:3], v[0:1], v[0:1] op_sel:[0,1]
	s_andn2_b64 exec, exec, s[26:27]
	s_cbranch_execnz .LBB39_10
; %bb.11:                               ;   in Loop: Header=BB39_9 Depth=2
	s_or_b64 exec, exec, s[26:27]
	v_add_u32_e32 v10, 4, v10
	v_cmp_ge_i32_e32 vcc, v10, v21
	s_or_b64 s[24:25], vcc, s[24:25]
	s_andn2_b64 exec, exec, s[24:25]
	s_cbranch_execnz .LBB39_9
	s_branch .LBB39_6
.LBB39_12:
	s_or_b64 exec, exec, s[4:5]
	s_mov_b64 s[4:5], 0
.LBB39_13:
	s_andn2_b64 vcc, exec, s[4:5]
	s_cbranch_vccnz .LBB39_23
; %bb.14:
	s_and_b64 exec, exec, s[0:1]
	s_cbranch_execz .LBB39_23
; %bb.15:
	v_subrev_u32_e32 v16, s16, v7
	s_mov_b64 s[0:1], 0
	v_mov_b32_e32 v17, s3
	v_mov_b32_e32 v18, s9
	s_branch .LBB39_17
.LBB39_16:                              ;   in Loop: Header=BB39_17 Depth=1
	s_or_b64 exec, exec, s[4:5]
	v_add_u32_e32 v6, s17, v6
	v_cmp_le_i32_e32 vcc, s19, v6
	s_or_b64 s[0:1], vcc, s[0:1]
	s_andn2_b64 exec, exec, s[0:1]
	s_cbranch_execz .LBB39_23
.LBB39_17:                              ; =>This Loop Header: Depth=1
                                        ;     Child Loop BB39_20 Depth 2
                                        ;       Child Loop BB39_22 Depth 3
	v_ashrrev_i32_e32 v7, 31, v6
	v_lshlrev_b64 v[0:1], 2, v[6:7]
	v_add_co_u32_e32 v2, vcc, s2, v0
	v_addc_co_u32_e32 v3, vcc, v17, v1, vcc
	v_add_co_u32_e32 v0, vcc, s8, v0
	v_addc_co_u32_e32 v1, vcc, v18, v1, vcc
	global_load_dword v8, v[0:1], off
	global_load_dword v9, v[2:3], off
	s_waitcnt vmcnt(1)
	v_subrev_u32_e32 v19, s16, v8
	s_waitcnt vmcnt(0)
	v_add_u32_e32 v8, v9, v16
	v_cmp_lt_i32_e32 vcc, v8, v19
	s_and_saveexec_b64 s[4:5], vcc
	s_cbranch_execz .LBB39_16
; %bb.18:                               ;   in Loop: Header=BB39_17 Depth=1
	v_lshlrev_b64 v[0:1], 3, v[6:7]
	v_mov_b32_e32 v2, s15
	v_add_co_u32_e32 v0, vcc, s14, v0
	v_addc_co_u32_e32 v1, vcc, v2, v1, vcc
	global_load_dwordx2 v[0:1], v[0:1], off
	s_mov_b64 s[6:7], 0
	s_waitcnt vmcnt(0)
	v_mul_f64 v[10:11], v[4:5], v[0:1]
	s_branch .LBB39_20
.LBB39_19:                              ;   in Loop: Header=BB39_20 Depth=2
	s_or_b64 exec, exec, s[22:23]
	v_add_u32_e32 v8, 4, v8
	v_cmp_ge_i32_e32 vcc, v8, v19
	s_or_b64 s[6:7], vcc, s[6:7]
	s_andn2_b64 exec, exec, s[6:7]
	s_cbranch_execz .LBB39_16
.LBB39_20:                              ;   Parent Loop BB39_17 Depth=1
                                        ; =>  This Loop Header: Depth=2
                                        ;       Child Loop BB39_22 Depth 3
	v_ashrrev_i32_e32 v9, 31, v8
	v_lshlrev_b64 v[0:1], 2, v[8:9]
	v_mov_b32_e32 v2, s11
	v_add_co_u32_e32 v0, vcc, s10, v0
	v_addc_co_u32_e32 v1, vcc, v2, v1, vcc
	global_load_dword v0, v[0:1], off
	s_waitcnt vmcnt(0)
	v_subrev_u32_e32 v0, s16, v0
	v_cmp_ne_u32_e32 vcc, v0, v6
	s_and_saveexec_b64 s[22:23], vcc
	s_cbranch_execz .LBB39_19
; %bb.21:                               ;   in Loop: Header=BB39_20 Depth=2
	v_lshlrev_b64 v[2:3], 3, v[8:9]
	v_mov_b32_e32 v1, s13
	v_add_co_u32_e32 v2, vcc, s12, v2
	v_addc_co_u32_e32 v3, vcc, v1, v3, vcc
	v_ashrrev_i32_e32 v1, 31, v0
	v_lshlrev_b64 v[0:1], 3, v[0:1]
	v_mov_b32_e32 v7, s21
	v_add_co_u32_e32 v12, vcc, s20, v0
	global_load_dwordx2 v[14:15], v[2:3], off
	v_addc_co_u32_e32 v13, vcc, v7, v1, vcc
	global_load_dwordx2 v[2:3], v[12:13], off
	s_mov_b64 s[24:25], 0
	s_waitcnt vmcnt(1)
	v_mul_f64 v[14:15], v[10:11], v[14:15]
.LBB39_22:                              ;   Parent Loop BB39_17 Depth=1
                                        ;     Parent Loop BB39_20 Depth=2
                                        ; =>    This Inner Loop Header: Depth=3
	s_waitcnt vmcnt(0)
	v_add_f64 v[0:1], v[2:3], v[14:15]
	global_atomic_cmpswap_x2 v[0:1], v[12:13], v[0:3], off glc
	s_waitcnt vmcnt(0)
	v_cmp_eq_u64_e32 vcc, v[0:1], v[2:3]
	s_or_b64 s[24:25], vcc, s[24:25]
	v_pk_mov_b32 v[2:3], v[0:1], v[0:1] op_sel:[0,1]
	s_andn2_b64 exec, exec, s[24:25]
	s_cbranch_execnz .LBB39_22
	s_branch .LBB39_19
.LBB39_23:
	s_endpgm
	.section	.rodata,"a",@progbits
	.p2align	6, 0x0
	.amdhsa_kernel _ZN9rocsparseL21csrmvt_general_kernelILj256ELj4EiiddddEEvbbT2_NS_24const_host_device_scalarIT6_EEPKT1_S7_PKS1_PKT3_PKT4_PT5_21rocsparse_index_base_b
		.amdhsa_group_segment_fixed_size 0
		.amdhsa_private_segment_fixed_size 0
		.amdhsa_kernarg_size 328
		.amdhsa_user_sgpr_count 6
		.amdhsa_user_sgpr_private_segment_buffer 1
		.amdhsa_user_sgpr_dispatch_ptr 0
		.amdhsa_user_sgpr_queue_ptr 0
		.amdhsa_user_sgpr_kernarg_segment_ptr 1
		.amdhsa_user_sgpr_dispatch_id 0
		.amdhsa_user_sgpr_flat_scratch_init 0
		.amdhsa_user_sgpr_kernarg_preload_length 0
		.amdhsa_user_sgpr_kernarg_preload_offset 0
		.amdhsa_user_sgpr_private_segment_size 0
		.amdhsa_uses_dynamic_stack 0
		.amdhsa_system_sgpr_private_segment_wavefront_offset 0
		.amdhsa_system_sgpr_workgroup_id_x 1
		.amdhsa_system_sgpr_workgroup_id_y 0
		.amdhsa_system_sgpr_workgroup_id_z 0
		.amdhsa_system_sgpr_workgroup_info 0
		.amdhsa_system_vgpr_workitem_id 0
		.amdhsa_next_free_vgpr 22
		.amdhsa_next_free_sgpr 28
		.amdhsa_accum_offset 24
		.amdhsa_reserve_vcc 1
		.amdhsa_reserve_flat_scratch 0
		.amdhsa_float_round_mode_32 0
		.amdhsa_float_round_mode_16_64 0
		.amdhsa_float_denorm_mode_32 3
		.amdhsa_float_denorm_mode_16_64 3
		.amdhsa_dx10_clamp 1
		.amdhsa_ieee_mode 1
		.amdhsa_fp16_overflow 0
		.amdhsa_tg_split 0
		.amdhsa_exception_fp_ieee_invalid_op 0
		.amdhsa_exception_fp_denorm_src 0
		.amdhsa_exception_fp_ieee_div_zero 0
		.amdhsa_exception_fp_ieee_overflow 0
		.amdhsa_exception_fp_ieee_underflow 0
		.amdhsa_exception_fp_ieee_inexact 0
		.amdhsa_exception_int_div_zero 0
	.end_amdhsa_kernel
	.section	.text._ZN9rocsparseL21csrmvt_general_kernelILj256ELj4EiiddddEEvbbT2_NS_24const_host_device_scalarIT6_EEPKT1_S7_PKS1_PKT3_PKT4_PT5_21rocsparse_index_base_b,"axG",@progbits,_ZN9rocsparseL21csrmvt_general_kernelILj256ELj4EiiddddEEvbbT2_NS_24const_host_device_scalarIT6_EEPKT1_S7_PKS1_PKT3_PKT4_PT5_21rocsparse_index_base_b,comdat
.Lfunc_end39:
	.size	_ZN9rocsparseL21csrmvt_general_kernelILj256ELj4EiiddddEEvbbT2_NS_24const_host_device_scalarIT6_EEPKT1_S7_PKS1_PKT3_PKT4_PT5_21rocsparse_index_base_b, .Lfunc_end39-_ZN9rocsparseL21csrmvt_general_kernelILj256ELj4EiiddddEEvbbT2_NS_24const_host_device_scalarIT6_EEPKT1_S7_PKS1_PKT3_PKT4_PT5_21rocsparse_index_base_b
                                        ; -- End function
	.section	.AMDGPU.csdata,"",@progbits
; Kernel info:
; codeLenInByte = 916
; NumSgprs: 32
; NumVgprs: 22
; NumAgprs: 0
; TotalNumVgprs: 22
; ScratchSize: 0
; MemoryBound: 0
; FloatMode: 240
; IeeeMode: 1
; LDSByteSize: 0 bytes/workgroup (compile time only)
; SGPRBlocks: 3
; VGPRBlocks: 2
; NumSGPRsForWavesPerEU: 32
; NumVGPRsForWavesPerEU: 22
; AccumOffset: 24
; Occupancy: 8
; WaveLimiterHint : 1
; COMPUTE_PGM_RSRC2:SCRATCH_EN: 0
; COMPUTE_PGM_RSRC2:USER_SGPR: 6
; COMPUTE_PGM_RSRC2:TRAP_HANDLER: 0
; COMPUTE_PGM_RSRC2:TGID_X_EN: 1
; COMPUTE_PGM_RSRC2:TGID_Y_EN: 0
; COMPUTE_PGM_RSRC2:TGID_Z_EN: 0
; COMPUTE_PGM_RSRC2:TIDIG_COMP_CNT: 0
; COMPUTE_PGM_RSRC3_GFX90A:ACCUM_OFFSET: 5
; COMPUTE_PGM_RSRC3_GFX90A:TG_SPLIT: 0
	.section	.text._ZN9rocsparseL21csrmvt_general_kernelILj256ELj8EiiddddEEvbbT2_NS_24const_host_device_scalarIT6_EEPKT1_S7_PKS1_PKT3_PKT4_PT5_21rocsparse_index_base_b,"axG",@progbits,_ZN9rocsparseL21csrmvt_general_kernelILj256ELj8EiiddddEEvbbT2_NS_24const_host_device_scalarIT6_EEPKT1_S7_PKS1_PKT3_PKT4_PT5_21rocsparse_index_base_b,comdat
	.globl	_ZN9rocsparseL21csrmvt_general_kernelILj256ELj8EiiddddEEvbbT2_NS_24const_host_device_scalarIT6_EEPKT1_S7_PKS1_PKT3_PKT4_PT5_21rocsparse_index_base_b ; -- Begin function _ZN9rocsparseL21csrmvt_general_kernelILj256ELj8EiiddddEEvbbT2_NS_24const_host_device_scalarIT6_EEPKT1_S7_PKS1_PKT3_PKT4_PT5_21rocsparse_index_base_b
	.p2align	8
	.type	_ZN9rocsparseL21csrmvt_general_kernelILj256ELj8EiiddddEEvbbT2_NS_24const_host_device_scalarIT6_EEPKT1_S7_PKS1_PKT3_PKT4_PT5_21rocsparse_index_base_b,@function
_ZN9rocsparseL21csrmvt_general_kernelILj256ELj8EiiddddEEvbbT2_NS_24const_host_device_scalarIT6_EEPKT1_S7_PKS1_PKT3_PKT4_PT5_21rocsparse_index_base_b: ; @_ZN9rocsparseL21csrmvt_general_kernelILj256ELj8EiiddddEEvbbT2_NS_24const_host_device_scalarIT6_EEPKT1_S7_PKS1_PKT3_PKT4_PT5_21rocsparse_index_base_b
; %bb.0:
	s_load_dwordx2 s[16:17], s[4:5], 0x40
	s_load_dwordx4 s[0:3], s[4:5], 0x8
	s_waitcnt lgkmcnt(0)
	s_bitcmp1_b32 s17, 0
	s_cselect_b64 s[8:9], -1, 0
	s_and_b64 vcc, exec, s[8:9]
	v_pk_mov_b32 v[4:5], s[0:1], s[0:1] op_sel:[0,1]
	s_cbranch_vccnz .LBB40_2
; %bb.1:
	v_pk_mov_b32 v[2:3], s[0:1], s[0:1] op_sel:[0,1]
	flat_load_dwordx2 v[4:5], v[2:3]
.LBB40_2:
	s_waitcnt vmcnt(0) lgkmcnt(0)
	v_cmp_neq_f64_e32 vcc, 0, v[4:5]
	s_and_saveexec_b64 s[0:1], vcc
	s_cbranch_execz .LBB40_23
; %bb.3:
	s_load_dwordx2 s[18:19], s[4:5], 0x0
	s_load_dword s0, s[4:5], 0x48
	s_load_dwordx2 s[20:21], s[4:5], 0x38
	s_load_dwordx8 s[8:15], s[4:5], 0x18
	v_and_b32_e32 v7, 7, v0
	v_lshl_or_b32 v0, s6, 8, v0
	s_waitcnt lgkmcnt(0)
	s_and_b32 s1, s18, 1
	s_lshl_b32 s17, s0, 5
	v_lshrrev_b32_e32 v6, 3, v0
	s_cmp_eq_u32 s1, 0
	v_cmp_gt_i32_e64 s[0:1], s19, v6
	s_mov_b64 s[4:5], -1
	s_cbranch_scc0 .LBB40_13
; %bb.4:
	s_and_saveexec_b64 s[4:5], s[0:1]
	s_cbranch_execz .LBB40_12
; %bb.5:
	v_subrev_u32_e32 v18, s16, v7
	s_mov_b64 s[6:7], 0
	v_mov_b32_e32 v19, s3
	v_mov_b32_e32 v20, s9
	;; [unrolled: 1-line block ×3, first 2 shown]
	s_branch .LBB40_7
.LBB40_6:                               ;   in Loop: Header=BB40_7 Depth=1
	s_or_b64 exec, exec, s[22:23]
	v_add_u32_e32 v8, s17, v8
	v_cmp_le_i32_e32 vcc, s19, v8
	s_or_b64 s[6:7], vcc, s[6:7]
	s_andn2_b64 exec, exec, s[6:7]
	s_cbranch_execz .LBB40_12
.LBB40_7:                               ; =>This Loop Header: Depth=1
                                        ;     Child Loop BB40_9 Depth 2
                                        ;       Child Loop BB40_10 Depth 3
	v_ashrrev_i32_e32 v9, 31, v8
	v_lshlrev_b64 v[0:1], 2, v[8:9]
	v_add_co_u32_e32 v2, vcc, s2, v0
	v_addc_co_u32_e32 v3, vcc, v19, v1, vcc
	v_add_co_u32_e32 v0, vcc, s8, v0
	v_addc_co_u32_e32 v1, vcc, v20, v1, vcc
	global_load_dword v10, v[0:1], off
	global_load_dword v11, v[2:3], off
	s_waitcnt vmcnt(1)
	v_subrev_u32_e32 v21, s16, v10
	s_waitcnt vmcnt(0)
	v_add_u32_e32 v10, v11, v18
	v_cmp_lt_i32_e32 vcc, v10, v21
	s_and_saveexec_b64 s[22:23], vcc
	s_cbranch_execz .LBB40_6
; %bb.8:                                ;   in Loop: Header=BB40_7 Depth=1
	v_lshlrev_b64 v[0:1], 3, v[8:9]
	v_mov_b32_e32 v2, s15
	v_add_co_u32_e32 v0, vcc, s14, v0
	v_addc_co_u32_e32 v1, vcc, v2, v1, vcc
	global_load_dwordx2 v[0:1], v[0:1], off
	s_mov_b64 s[24:25], 0
	s_waitcnt vmcnt(0)
	v_mul_f64 v[12:13], v[4:5], v[0:1]
.LBB40_9:                               ;   Parent Loop BB40_7 Depth=1
                                        ; =>  This Loop Header: Depth=2
                                        ;       Child Loop BB40_10 Depth 3
	v_ashrrev_i32_e32 v11, 31, v10
	v_lshlrev_b64 v[0:1], 2, v[10:11]
	v_mov_b32_e32 v2, s11
	v_add_co_u32_e32 v0, vcc, s10, v0
	v_addc_co_u32_e32 v1, vcc, v2, v1, vcc
	global_load_dword v2, v[0:1], off
	v_lshlrev_b64 v[0:1], 3, v[10:11]
	v_mov_b32_e32 v3, s13
	v_add_co_u32_e32 v0, vcc, s12, v0
	v_addc_co_u32_e32 v1, vcc, v3, v1, vcc
	v_mov_b32_e32 v9, s21
	global_load_dwordx2 v[0:1], v[0:1], off
	s_mov_b64 s[26:27], 0
	s_waitcnt vmcnt(1)
	v_subrev_u32_e32 v2, s16, v2
	v_ashrrev_i32_e32 v3, 31, v2
	v_lshlrev_b64 v[2:3], 3, v[2:3]
	v_add_co_u32_e32 v14, vcc, s20, v2
	v_addc_co_u32_e32 v15, vcc, v9, v3, vcc
	global_load_dwordx2 v[2:3], v[14:15], off
	s_waitcnt vmcnt(1)
	v_mul_f64 v[16:17], v[12:13], v[0:1]
.LBB40_10:                              ;   Parent Loop BB40_7 Depth=1
                                        ;     Parent Loop BB40_9 Depth=2
                                        ; =>    This Inner Loop Header: Depth=3
	s_waitcnt vmcnt(0)
	v_add_f64 v[0:1], v[2:3], v[16:17]
	global_atomic_cmpswap_x2 v[0:1], v[14:15], v[0:3], off glc
	s_waitcnt vmcnt(0)
	v_cmp_eq_u64_e32 vcc, v[0:1], v[2:3]
	s_or_b64 s[26:27], vcc, s[26:27]
	v_pk_mov_b32 v[2:3], v[0:1], v[0:1] op_sel:[0,1]
	s_andn2_b64 exec, exec, s[26:27]
	s_cbranch_execnz .LBB40_10
; %bb.11:                               ;   in Loop: Header=BB40_9 Depth=2
	s_or_b64 exec, exec, s[26:27]
	v_add_u32_e32 v10, 8, v10
	v_cmp_ge_i32_e32 vcc, v10, v21
	s_or_b64 s[24:25], vcc, s[24:25]
	s_andn2_b64 exec, exec, s[24:25]
	s_cbranch_execnz .LBB40_9
	s_branch .LBB40_6
.LBB40_12:
	s_or_b64 exec, exec, s[4:5]
	s_mov_b64 s[4:5], 0
.LBB40_13:
	s_andn2_b64 vcc, exec, s[4:5]
	s_cbranch_vccnz .LBB40_23
; %bb.14:
	s_and_b64 exec, exec, s[0:1]
	s_cbranch_execz .LBB40_23
; %bb.15:
	v_subrev_u32_e32 v16, s16, v7
	s_mov_b64 s[0:1], 0
	v_mov_b32_e32 v17, s3
	v_mov_b32_e32 v18, s9
	s_branch .LBB40_17
.LBB40_16:                              ;   in Loop: Header=BB40_17 Depth=1
	s_or_b64 exec, exec, s[4:5]
	v_add_u32_e32 v6, s17, v6
	v_cmp_le_i32_e32 vcc, s19, v6
	s_or_b64 s[0:1], vcc, s[0:1]
	s_andn2_b64 exec, exec, s[0:1]
	s_cbranch_execz .LBB40_23
.LBB40_17:                              ; =>This Loop Header: Depth=1
                                        ;     Child Loop BB40_20 Depth 2
                                        ;       Child Loop BB40_22 Depth 3
	v_ashrrev_i32_e32 v7, 31, v6
	v_lshlrev_b64 v[0:1], 2, v[6:7]
	v_add_co_u32_e32 v2, vcc, s2, v0
	v_addc_co_u32_e32 v3, vcc, v17, v1, vcc
	v_add_co_u32_e32 v0, vcc, s8, v0
	v_addc_co_u32_e32 v1, vcc, v18, v1, vcc
	global_load_dword v8, v[0:1], off
	global_load_dword v9, v[2:3], off
	s_waitcnt vmcnt(1)
	v_subrev_u32_e32 v19, s16, v8
	s_waitcnt vmcnt(0)
	v_add_u32_e32 v8, v9, v16
	v_cmp_lt_i32_e32 vcc, v8, v19
	s_and_saveexec_b64 s[4:5], vcc
	s_cbranch_execz .LBB40_16
; %bb.18:                               ;   in Loop: Header=BB40_17 Depth=1
	v_lshlrev_b64 v[0:1], 3, v[6:7]
	v_mov_b32_e32 v2, s15
	v_add_co_u32_e32 v0, vcc, s14, v0
	v_addc_co_u32_e32 v1, vcc, v2, v1, vcc
	global_load_dwordx2 v[0:1], v[0:1], off
	s_mov_b64 s[6:7], 0
	s_waitcnt vmcnt(0)
	v_mul_f64 v[10:11], v[4:5], v[0:1]
	s_branch .LBB40_20
.LBB40_19:                              ;   in Loop: Header=BB40_20 Depth=2
	s_or_b64 exec, exec, s[22:23]
	v_add_u32_e32 v8, 8, v8
	v_cmp_ge_i32_e32 vcc, v8, v19
	s_or_b64 s[6:7], vcc, s[6:7]
	s_andn2_b64 exec, exec, s[6:7]
	s_cbranch_execz .LBB40_16
.LBB40_20:                              ;   Parent Loop BB40_17 Depth=1
                                        ; =>  This Loop Header: Depth=2
                                        ;       Child Loop BB40_22 Depth 3
	v_ashrrev_i32_e32 v9, 31, v8
	v_lshlrev_b64 v[0:1], 2, v[8:9]
	v_mov_b32_e32 v2, s11
	v_add_co_u32_e32 v0, vcc, s10, v0
	v_addc_co_u32_e32 v1, vcc, v2, v1, vcc
	global_load_dword v0, v[0:1], off
	s_waitcnt vmcnt(0)
	v_subrev_u32_e32 v0, s16, v0
	v_cmp_ne_u32_e32 vcc, v0, v6
	s_and_saveexec_b64 s[22:23], vcc
	s_cbranch_execz .LBB40_19
; %bb.21:                               ;   in Loop: Header=BB40_20 Depth=2
	v_lshlrev_b64 v[2:3], 3, v[8:9]
	v_mov_b32_e32 v1, s13
	v_add_co_u32_e32 v2, vcc, s12, v2
	v_addc_co_u32_e32 v3, vcc, v1, v3, vcc
	v_ashrrev_i32_e32 v1, 31, v0
	v_lshlrev_b64 v[0:1], 3, v[0:1]
	v_mov_b32_e32 v7, s21
	v_add_co_u32_e32 v12, vcc, s20, v0
	global_load_dwordx2 v[14:15], v[2:3], off
	v_addc_co_u32_e32 v13, vcc, v7, v1, vcc
	global_load_dwordx2 v[2:3], v[12:13], off
	s_mov_b64 s[24:25], 0
	s_waitcnt vmcnt(1)
	v_mul_f64 v[14:15], v[10:11], v[14:15]
.LBB40_22:                              ;   Parent Loop BB40_17 Depth=1
                                        ;     Parent Loop BB40_20 Depth=2
                                        ; =>    This Inner Loop Header: Depth=3
	s_waitcnt vmcnt(0)
	v_add_f64 v[0:1], v[2:3], v[14:15]
	global_atomic_cmpswap_x2 v[0:1], v[12:13], v[0:3], off glc
	s_waitcnt vmcnt(0)
	v_cmp_eq_u64_e32 vcc, v[0:1], v[2:3]
	s_or_b64 s[24:25], vcc, s[24:25]
	v_pk_mov_b32 v[2:3], v[0:1], v[0:1] op_sel:[0,1]
	s_andn2_b64 exec, exec, s[24:25]
	s_cbranch_execnz .LBB40_22
	s_branch .LBB40_19
.LBB40_23:
	s_endpgm
	.section	.rodata,"a",@progbits
	.p2align	6, 0x0
	.amdhsa_kernel _ZN9rocsparseL21csrmvt_general_kernelILj256ELj8EiiddddEEvbbT2_NS_24const_host_device_scalarIT6_EEPKT1_S7_PKS1_PKT3_PKT4_PT5_21rocsparse_index_base_b
		.amdhsa_group_segment_fixed_size 0
		.amdhsa_private_segment_fixed_size 0
		.amdhsa_kernarg_size 328
		.amdhsa_user_sgpr_count 6
		.amdhsa_user_sgpr_private_segment_buffer 1
		.amdhsa_user_sgpr_dispatch_ptr 0
		.amdhsa_user_sgpr_queue_ptr 0
		.amdhsa_user_sgpr_kernarg_segment_ptr 1
		.amdhsa_user_sgpr_dispatch_id 0
		.amdhsa_user_sgpr_flat_scratch_init 0
		.amdhsa_user_sgpr_kernarg_preload_length 0
		.amdhsa_user_sgpr_kernarg_preload_offset 0
		.amdhsa_user_sgpr_private_segment_size 0
		.amdhsa_uses_dynamic_stack 0
		.amdhsa_system_sgpr_private_segment_wavefront_offset 0
		.amdhsa_system_sgpr_workgroup_id_x 1
		.amdhsa_system_sgpr_workgroup_id_y 0
		.amdhsa_system_sgpr_workgroup_id_z 0
		.amdhsa_system_sgpr_workgroup_info 0
		.amdhsa_system_vgpr_workitem_id 0
		.amdhsa_next_free_vgpr 22
		.amdhsa_next_free_sgpr 28
		.amdhsa_accum_offset 24
		.amdhsa_reserve_vcc 1
		.amdhsa_reserve_flat_scratch 0
		.amdhsa_float_round_mode_32 0
		.amdhsa_float_round_mode_16_64 0
		.amdhsa_float_denorm_mode_32 3
		.amdhsa_float_denorm_mode_16_64 3
		.amdhsa_dx10_clamp 1
		.amdhsa_ieee_mode 1
		.amdhsa_fp16_overflow 0
		.amdhsa_tg_split 0
		.amdhsa_exception_fp_ieee_invalid_op 0
		.amdhsa_exception_fp_denorm_src 0
		.amdhsa_exception_fp_ieee_div_zero 0
		.amdhsa_exception_fp_ieee_overflow 0
		.amdhsa_exception_fp_ieee_underflow 0
		.amdhsa_exception_fp_ieee_inexact 0
		.amdhsa_exception_int_div_zero 0
	.end_amdhsa_kernel
	.section	.text._ZN9rocsparseL21csrmvt_general_kernelILj256ELj8EiiddddEEvbbT2_NS_24const_host_device_scalarIT6_EEPKT1_S7_PKS1_PKT3_PKT4_PT5_21rocsparse_index_base_b,"axG",@progbits,_ZN9rocsparseL21csrmvt_general_kernelILj256ELj8EiiddddEEvbbT2_NS_24const_host_device_scalarIT6_EEPKT1_S7_PKS1_PKT3_PKT4_PT5_21rocsparse_index_base_b,comdat
.Lfunc_end40:
	.size	_ZN9rocsparseL21csrmvt_general_kernelILj256ELj8EiiddddEEvbbT2_NS_24const_host_device_scalarIT6_EEPKT1_S7_PKS1_PKT3_PKT4_PT5_21rocsparse_index_base_b, .Lfunc_end40-_ZN9rocsparseL21csrmvt_general_kernelILj256ELj8EiiddddEEvbbT2_NS_24const_host_device_scalarIT6_EEPKT1_S7_PKS1_PKT3_PKT4_PT5_21rocsparse_index_base_b
                                        ; -- End function
	.section	.AMDGPU.csdata,"",@progbits
; Kernel info:
; codeLenInByte = 916
; NumSgprs: 32
; NumVgprs: 22
; NumAgprs: 0
; TotalNumVgprs: 22
; ScratchSize: 0
; MemoryBound: 0
; FloatMode: 240
; IeeeMode: 1
; LDSByteSize: 0 bytes/workgroup (compile time only)
; SGPRBlocks: 3
; VGPRBlocks: 2
; NumSGPRsForWavesPerEU: 32
; NumVGPRsForWavesPerEU: 22
; AccumOffset: 24
; Occupancy: 8
; WaveLimiterHint : 1
; COMPUTE_PGM_RSRC2:SCRATCH_EN: 0
; COMPUTE_PGM_RSRC2:USER_SGPR: 6
; COMPUTE_PGM_RSRC2:TRAP_HANDLER: 0
; COMPUTE_PGM_RSRC2:TGID_X_EN: 1
; COMPUTE_PGM_RSRC2:TGID_Y_EN: 0
; COMPUTE_PGM_RSRC2:TGID_Z_EN: 0
; COMPUTE_PGM_RSRC2:TIDIG_COMP_CNT: 0
; COMPUTE_PGM_RSRC3_GFX90A:ACCUM_OFFSET: 5
; COMPUTE_PGM_RSRC3_GFX90A:TG_SPLIT: 0
	.section	.text._ZN9rocsparseL21csrmvt_general_kernelILj256ELj16EiiddddEEvbbT2_NS_24const_host_device_scalarIT6_EEPKT1_S7_PKS1_PKT3_PKT4_PT5_21rocsparse_index_base_b,"axG",@progbits,_ZN9rocsparseL21csrmvt_general_kernelILj256ELj16EiiddddEEvbbT2_NS_24const_host_device_scalarIT6_EEPKT1_S7_PKS1_PKT3_PKT4_PT5_21rocsparse_index_base_b,comdat
	.globl	_ZN9rocsparseL21csrmvt_general_kernelILj256ELj16EiiddddEEvbbT2_NS_24const_host_device_scalarIT6_EEPKT1_S7_PKS1_PKT3_PKT4_PT5_21rocsparse_index_base_b ; -- Begin function _ZN9rocsparseL21csrmvt_general_kernelILj256ELj16EiiddddEEvbbT2_NS_24const_host_device_scalarIT6_EEPKT1_S7_PKS1_PKT3_PKT4_PT5_21rocsparse_index_base_b
	.p2align	8
	.type	_ZN9rocsparseL21csrmvt_general_kernelILj256ELj16EiiddddEEvbbT2_NS_24const_host_device_scalarIT6_EEPKT1_S7_PKS1_PKT3_PKT4_PT5_21rocsparse_index_base_b,@function
_ZN9rocsparseL21csrmvt_general_kernelILj256ELj16EiiddddEEvbbT2_NS_24const_host_device_scalarIT6_EEPKT1_S7_PKS1_PKT3_PKT4_PT5_21rocsparse_index_base_b: ; @_ZN9rocsparseL21csrmvt_general_kernelILj256ELj16EiiddddEEvbbT2_NS_24const_host_device_scalarIT6_EEPKT1_S7_PKS1_PKT3_PKT4_PT5_21rocsparse_index_base_b
; %bb.0:
	s_load_dwordx2 s[16:17], s[4:5], 0x40
	s_load_dwordx4 s[0:3], s[4:5], 0x8
	s_waitcnt lgkmcnt(0)
	s_bitcmp1_b32 s17, 0
	s_cselect_b64 s[8:9], -1, 0
	s_and_b64 vcc, exec, s[8:9]
	v_pk_mov_b32 v[4:5], s[0:1], s[0:1] op_sel:[0,1]
	s_cbranch_vccnz .LBB41_2
; %bb.1:
	v_pk_mov_b32 v[2:3], s[0:1], s[0:1] op_sel:[0,1]
	flat_load_dwordx2 v[4:5], v[2:3]
.LBB41_2:
	s_waitcnt vmcnt(0) lgkmcnt(0)
	v_cmp_neq_f64_e32 vcc, 0, v[4:5]
	s_and_saveexec_b64 s[0:1], vcc
	s_cbranch_execz .LBB41_23
; %bb.3:
	s_load_dwordx2 s[18:19], s[4:5], 0x0
	s_load_dword s0, s[4:5], 0x48
	s_load_dwordx2 s[20:21], s[4:5], 0x38
	s_load_dwordx8 s[8:15], s[4:5], 0x18
	v_and_b32_e32 v7, 15, v0
	v_lshl_or_b32 v0, s6, 8, v0
	s_waitcnt lgkmcnt(0)
	s_and_b32 s1, s18, 1
	s_lshl_b32 s17, s0, 4
	v_lshrrev_b32_e32 v6, 4, v0
	s_cmp_eq_u32 s1, 0
	v_cmp_gt_i32_e64 s[0:1], s19, v6
	s_mov_b64 s[4:5], -1
	s_cbranch_scc0 .LBB41_13
; %bb.4:
	s_and_saveexec_b64 s[4:5], s[0:1]
	s_cbranch_execz .LBB41_12
; %bb.5:
	v_subrev_u32_e32 v18, s16, v7
	s_mov_b64 s[6:7], 0
	v_mov_b32_e32 v19, s3
	v_mov_b32_e32 v20, s9
	;; [unrolled: 1-line block ×3, first 2 shown]
	s_branch .LBB41_7
.LBB41_6:                               ;   in Loop: Header=BB41_7 Depth=1
	s_or_b64 exec, exec, s[22:23]
	v_add_u32_e32 v8, s17, v8
	v_cmp_le_i32_e32 vcc, s19, v8
	s_or_b64 s[6:7], vcc, s[6:7]
	s_andn2_b64 exec, exec, s[6:7]
	s_cbranch_execz .LBB41_12
.LBB41_7:                               ; =>This Loop Header: Depth=1
                                        ;     Child Loop BB41_9 Depth 2
                                        ;       Child Loop BB41_10 Depth 3
	v_ashrrev_i32_e32 v9, 31, v8
	v_lshlrev_b64 v[0:1], 2, v[8:9]
	v_add_co_u32_e32 v2, vcc, s2, v0
	v_addc_co_u32_e32 v3, vcc, v19, v1, vcc
	v_add_co_u32_e32 v0, vcc, s8, v0
	v_addc_co_u32_e32 v1, vcc, v20, v1, vcc
	global_load_dword v10, v[0:1], off
	global_load_dword v11, v[2:3], off
	s_waitcnt vmcnt(1)
	v_subrev_u32_e32 v21, s16, v10
	s_waitcnt vmcnt(0)
	v_add_u32_e32 v10, v11, v18
	v_cmp_lt_i32_e32 vcc, v10, v21
	s_and_saveexec_b64 s[22:23], vcc
	s_cbranch_execz .LBB41_6
; %bb.8:                                ;   in Loop: Header=BB41_7 Depth=1
	v_lshlrev_b64 v[0:1], 3, v[8:9]
	v_mov_b32_e32 v2, s15
	v_add_co_u32_e32 v0, vcc, s14, v0
	v_addc_co_u32_e32 v1, vcc, v2, v1, vcc
	global_load_dwordx2 v[0:1], v[0:1], off
	s_mov_b64 s[24:25], 0
	s_waitcnt vmcnt(0)
	v_mul_f64 v[12:13], v[4:5], v[0:1]
.LBB41_9:                               ;   Parent Loop BB41_7 Depth=1
                                        ; =>  This Loop Header: Depth=2
                                        ;       Child Loop BB41_10 Depth 3
	v_ashrrev_i32_e32 v11, 31, v10
	v_lshlrev_b64 v[0:1], 2, v[10:11]
	v_mov_b32_e32 v2, s11
	v_add_co_u32_e32 v0, vcc, s10, v0
	v_addc_co_u32_e32 v1, vcc, v2, v1, vcc
	global_load_dword v2, v[0:1], off
	v_lshlrev_b64 v[0:1], 3, v[10:11]
	v_mov_b32_e32 v3, s13
	v_add_co_u32_e32 v0, vcc, s12, v0
	v_addc_co_u32_e32 v1, vcc, v3, v1, vcc
	v_mov_b32_e32 v9, s21
	global_load_dwordx2 v[0:1], v[0:1], off
	s_mov_b64 s[26:27], 0
	s_waitcnt vmcnt(1)
	v_subrev_u32_e32 v2, s16, v2
	v_ashrrev_i32_e32 v3, 31, v2
	v_lshlrev_b64 v[2:3], 3, v[2:3]
	v_add_co_u32_e32 v14, vcc, s20, v2
	v_addc_co_u32_e32 v15, vcc, v9, v3, vcc
	global_load_dwordx2 v[2:3], v[14:15], off
	s_waitcnt vmcnt(1)
	v_mul_f64 v[16:17], v[12:13], v[0:1]
.LBB41_10:                              ;   Parent Loop BB41_7 Depth=1
                                        ;     Parent Loop BB41_9 Depth=2
                                        ; =>    This Inner Loop Header: Depth=3
	s_waitcnt vmcnt(0)
	v_add_f64 v[0:1], v[2:3], v[16:17]
	global_atomic_cmpswap_x2 v[0:1], v[14:15], v[0:3], off glc
	s_waitcnt vmcnt(0)
	v_cmp_eq_u64_e32 vcc, v[0:1], v[2:3]
	s_or_b64 s[26:27], vcc, s[26:27]
	v_pk_mov_b32 v[2:3], v[0:1], v[0:1] op_sel:[0,1]
	s_andn2_b64 exec, exec, s[26:27]
	s_cbranch_execnz .LBB41_10
; %bb.11:                               ;   in Loop: Header=BB41_9 Depth=2
	s_or_b64 exec, exec, s[26:27]
	v_add_u32_e32 v10, 16, v10
	v_cmp_ge_i32_e32 vcc, v10, v21
	s_or_b64 s[24:25], vcc, s[24:25]
	s_andn2_b64 exec, exec, s[24:25]
	s_cbranch_execnz .LBB41_9
	s_branch .LBB41_6
.LBB41_12:
	s_or_b64 exec, exec, s[4:5]
	s_mov_b64 s[4:5], 0
.LBB41_13:
	s_andn2_b64 vcc, exec, s[4:5]
	s_cbranch_vccnz .LBB41_23
; %bb.14:
	s_and_b64 exec, exec, s[0:1]
	s_cbranch_execz .LBB41_23
; %bb.15:
	v_subrev_u32_e32 v16, s16, v7
	s_mov_b64 s[0:1], 0
	v_mov_b32_e32 v17, s3
	v_mov_b32_e32 v18, s9
	s_branch .LBB41_17
.LBB41_16:                              ;   in Loop: Header=BB41_17 Depth=1
	s_or_b64 exec, exec, s[4:5]
	v_add_u32_e32 v6, s17, v6
	v_cmp_le_i32_e32 vcc, s19, v6
	s_or_b64 s[0:1], vcc, s[0:1]
	s_andn2_b64 exec, exec, s[0:1]
	s_cbranch_execz .LBB41_23
.LBB41_17:                              ; =>This Loop Header: Depth=1
                                        ;     Child Loop BB41_20 Depth 2
                                        ;       Child Loop BB41_22 Depth 3
	v_ashrrev_i32_e32 v7, 31, v6
	v_lshlrev_b64 v[0:1], 2, v[6:7]
	v_add_co_u32_e32 v2, vcc, s2, v0
	v_addc_co_u32_e32 v3, vcc, v17, v1, vcc
	v_add_co_u32_e32 v0, vcc, s8, v0
	v_addc_co_u32_e32 v1, vcc, v18, v1, vcc
	global_load_dword v8, v[0:1], off
	global_load_dword v9, v[2:3], off
	s_waitcnt vmcnt(1)
	v_subrev_u32_e32 v19, s16, v8
	s_waitcnt vmcnt(0)
	v_add_u32_e32 v8, v9, v16
	v_cmp_lt_i32_e32 vcc, v8, v19
	s_and_saveexec_b64 s[4:5], vcc
	s_cbranch_execz .LBB41_16
; %bb.18:                               ;   in Loop: Header=BB41_17 Depth=1
	v_lshlrev_b64 v[0:1], 3, v[6:7]
	v_mov_b32_e32 v2, s15
	v_add_co_u32_e32 v0, vcc, s14, v0
	v_addc_co_u32_e32 v1, vcc, v2, v1, vcc
	global_load_dwordx2 v[0:1], v[0:1], off
	s_mov_b64 s[6:7], 0
	s_waitcnt vmcnt(0)
	v_mul_f64 v[10:11], v[4:5], v[0:1]
	s_branch .LBB41_20
.LBB41_19:                              ;   in Loop: Header=BB41_20 Depth=2
	s_or_b64 exec, exec, s[22:23]
	v_add_u32_e32 v8, 16, v8
	v_cmp_ge_i32_e32 vcc, v8, v19
	s_or_b64 s[6:7], vcc, s[6:7]
	s_andn2_b64 exec, exec, s[6:7]
	s_cbranch_execz .LBB41_16
.LBB41_20:                              ;   Parent Loop BB41_17 Depth=1
                                        ; =>  This Loop Header: Depth=2
                                        ;       Child Loop BB41_22 Depth 3
	v_ashrrev_i32_e32 v9, 31, v8
	v_lshlrev_b64 v[0:1], 2, v[8:9]
	v_mov_b32_e32 v2, s11
	v_add_co_u32_e32 v0, vcc, s10, v0
	v_addc_co_u32_e32 v1, vcc, v2, v1, vcc
	global_load_dword v0, v[0:1], off
	s_waitcnt vmcnt(0)
	v_subrev_u32_e32 v0, s16, v0
	v_cmp_ne_u32_e32 vcc, v0, v6
	s_and_saveexec_b64 s[22:23], vcc
	s_cbranch_execz .LBB41_19
; %bb.21:                               ;   in Loop: Header=BB41_20 Depth=2
	v_lshlrev_b64 v[2:3], 3, v[8:9]
	v_mov_b32_e32 v1, s13
	v_add_co_u32_e32 v2, vcc, s12, v2
	v_addc_co_u32_e32 v3, vcc, v1, v3, vcc
	v_ashrrev_i32_e32 v1, 31, v0
	v_lshlrev_b64 v[0:1], 3, v[0:1]
	v_mov_b32_e32 v7, s21
	v_add_co_u32_e32 v12, vcc, s20, v0
	global_load_dwordx2 v[14:15], v[2:3], off
	v_addc_co_u32_e32 v13, vcc, v7, v1, vcc
	global_load_dwordx2 v[2:3], v[12:13], off
	s_mov_b64 s[24:25], 0
	s_waitcnt vmcnt(1)
	v_mul_f64 v[14:15], v[10:11], v[14:15]
.LBB41_22:                              ;   Parent Loop BB41_17 Depth=1
                                        ;     Parent Loop BB41_20 Depth=2
                                        ; =>    This Inner Loop Header: Depth=3
	s_waitcnt vmcnt(0)
	v_add_f64 v[0:1], v[2:3], v[14:15]
	global_atomic_cmpswap_x2 v[0:1], v[12:13], v[0:3], off glc
	s_waitcnt vmcnt(0)
	v_cmp_eq_u64_e32 vcc, v[0:1], v[2:3]
	s_or_b64 s[24:25], vcc, s[24:25]
	v_pk_mov_b32 v[2:3], v[0:1], v[0:1] op_sel:[0,1]
	s_andn2_b64 exec, exec, s[24:25]
	s_cbranch_execnz .LBB41_22
	s_branch .LBB41_19
.LBB41_23:
	s_endpgm
	.section	.rodata,"a",@progbits
	.p2align	6, 0x0
	.amdhsa_kernel _ZN9rocsparseL21csrmvt_general_kernelILj256ELj16EiiddddEEvbbT2_NS_24const_host_device_scalarIT6_EEPKT1_S7_PKS1_PKT3_PKT4_PT5_21rocsparse_index_base_b
		.amdhsa_group_segment_fixed_size 0
		.amdhsa_private_segment_fixed_size 0
		.amdhsa_kernarg_size 328
		.amdhsa_user_sgpr_count 6
		.amdhsa_user_sgpr_private_segment_buffer 1
		.amdhsa_user_sgpr_dispatch_ptr 0
		.amdhsa_user_sgpr_queue_ptr 0
		.amdhsa_user_sgpr_kernarg_segment_ptr 1
		.amdhsa_user_sgpr_dispatch_id 0
		.amdhsa_user_sgpr_flat_scratch_init 0
		.amdhsa_user_sgpr_kernarg_preload_length 0
		.amdhsa_user_sgpr_kernarg_preload_offset 0
		.amdhsa_user_sgpr_private_segment_size 0
		.amdhsa_uses_dynamic_stack 0
		.amdhsa_system_sgpr_private_segment_wavefront_offset 0
		.amdhsa_system_sgpr_workgroup_id_x 1
		.amdhsa_system_sgpr_workgroup_id_y 0
		.amdhsa_system_sgpr_workgroup_id_z 0
		.amdhsa_system_sgpr_workgroup_info 0
		.amdhsa_system_vgpr_workitem_id 0
		.amdhsa_next_free_vgpr 22
		.amdhsa_next_free_sgpr 28
		.amdhsa_accum_offset 24
		.amdhsa_reserve_vcc 1
		.amdhsa_reserve_flat_scratch 0
		.amdhsa_float_round_mode_32 0
		.amdhsa_float_round_mode_16_64 0
		.amdhsa_float_denorm_mode_32 3
		.amdhsa_float_denorm_mode_16_64 3
		.amdhsa_dx10_clamp 1
		.amdhsa_ieee_mode 1
		.amdhsa_fp16_overflow 0
		.amdhsa_tg_split 0
		.amdhsa_exception_fp_ieee_invalid_op 0
		.amdhsa_exception_fp_denorm_src 0
		.amdhsa_exception_fp_ieee_div_zero 0
		.amdhsa_exception_fp_ieee_overflow 0
		.amdhsa_exception_fp_ieee_underflow 0
		.amdhsa_exception_fp_ieee_inexact 0
		.amdhsa_exception_int_div_zero 0
	.end_amdhsa_kernel
	.section	.text._ZN9rocsparseL21csrmvt_general_kernelILj256ELj16EiiddddEEvbbT2_NS_24const_host_device_scalarIT6_EEPKT1_S7_PKS1_PKT3_PKT4_PT5_21rocsparse_index_base_b,"axG",@progbits,_ZN9rocsparseL21csrmvt_general_kernelILj256ELj16EiiddddEEvbbT2_NS_24const_host_device_scalarIT6_EEPKT1_S7_PKS1_PKT3_PKT4_PT5_21rocsparse_index_base_b,comdat
.Lfunc_end41:
	.size	_ZN9rocsparseL21csrmvt_general_kernelILj256ELj16EiiddddEEvbbT2_NS_24const_host_device_scalarIT6_EEPKT1_S7_PKS1_PKT3_PKT4_PT5_21rocsparse_index_base_b, .Lfunc_end41-_ZN9rocsparseL21csrmvt_general_kernelILj256ELj16EiiddddEEvbbT2_NS_24const_host_device_scalarIT6_EEPKT1_S7_PKS1_PKT3_PKT4_PT5_21rocsparse_index_base_b
                                        ; -- End function
	.section	.AMDGPU.csdata,"",@progbits
; Kernel info:
; codeLenInByte = 916
; NumSgprs: 32
; NumVgprs: 22
; NumAgprs: 0
; TotalNumVgprs: 22
; ScratchSize: 0
; MemoryBound: 0
; FloatMode: 240
; IeeeMode: 1
; LDSByteSize: 0 bytes/workgroup (compile time only)
; SGPRBlocks: 3
; VGPRBlocks: 2
; NumSGPRsForWavesPerEU: 32
; NumVGPRsForWavesPerEU: 22
; AccumOffset: 24
; Occupancy: 8
; WaveLimiterHint : 1
; COMPUTE_PGM_RSRC2:SCRATCH_EN: 0
; COMPUTE_PGM_RSRC2:USER_SGPR: 6
; COMPUTE_PGM_RSRC2:TRAP_HANDLER: 0
; COMPUTE_PGM_RSRC2:TGID_X_EN: 1
; COMPUTE_PGM_RSRC2:TGID_Y_EN: 0
; COMPUTE_PGM_RSRC2:TGID_Z_EN: 0
; COMPUTE_PGM_RSRC2:TIDIG_COMP_CNT: 0
; COMPUTE_PGM_RSRC3_GFX90A:ACCUM_OFFSET: 5
; COMPUTE_PGM_RSRC3_GFX90A:TG_SPLIT: 0
	.section	.text._ZN9rocsparseL21csrmvt_general_kernelILj256ELj32EiiddddEEvbbT2_NS_24const_host_device_scalarIT6_EEPKT1_S7_PKS1_PKT3_PKT4_PT5_21rocsparse_index_base_b,"axG",@progbits,_ZN9rocsparseL21csrmvt_general_kernelILj256ELj32EiiddddEEvbbT2_NS_24const_host_device_scalarIT6_EEPKT1_S7_PKS1_PKT3_PKT4_PT5_21rocsparse_index_base_b,comdat
	.globl	_ZN9rocsparseL21csrmvt_general_kernelILj256ELj32EiiddddEEvbbT2_NS_24const_host_device_scalarIT6_EEPKT1_S7_PKS1_PKT3_PKT4_PT5_21rocsparse_index_base_b ; -- Begin function _ZN9rocsparseL21csrmvt_general_kernelILj256ELj32EiiddddEEvbbT2_NS_24const_host_device_scalarIT6_EEPKT1_S7_PKS1_PKT3_PKT4_PT5_21rocsparse_index_base_b
	.p2align	8
	.type	_ZN9rocsparseL21csrmvt_general_kernelILj256ELj32EiiddddEEvbbT2_NS_24const_host_device_scalarIT6_EEPKT1_S7_PKS1_PKT3_PKT4_PT5_21rocsparse_index_base_b,@function
_ZN9rocsparseL21csrmvt_general_kernelILj256ELj32EiiddddEEvbbT2_NS_24const_host_device_scalarIT6_EEPKT1_S7_PKS1_PKT3_PKT4_PT5_21rocsparse_index_base_b: ; @_ZN9rocsparseL21csrmvt_general_kernelILj256ELj32EiiddddEEvbbT2_NS_24const_host_device_scalarIT6_EEPKT1_S7_PKS1_PKT3_PKT4_PT5_21rocsparse_index_base_b
; %bb.0:
	s_load_dwordx2 s[16:17], s[4:5], 0x40
	s_load_dwordx4 s[0:3], s[4:5], 0x8
	s_waitcnt lgkmcnt(0)
	s_bitcmp1_b32 s17, 0
	s_cselect_b64 s[8:9], -1, 0
	s_and_b64 vcc, exec, s[8:9]
	v_pk_mov_b32 v[4:5], s[0:1], s[0:1] op_sel:[0,1]
	s_cbranch_vccnz .LBB42_2
; %bb.1:
	v_pk_mov_b32 v[2:3], s[0:1], s[0:1] op_sel:[0,1]
	flat_load_dwordx2 v[4:5], v[2:3]
.LBB42_2:
	s_waitcnt vmcnt(0) lgkmcnt(0)
	v_cmp_neq_f64_e32 vcc, 0, v[4:5]
	s_and_saveexec_b64 s[0:1], vcc
	s_cbranch_execz .LBB42_23
; %bb.3:
	s_load_dwordx2 s[18:19], s[4:5], 0x0
	s_load_dword s0, s[4:5], 0x48
	s_load_dwordx2 s[20:21], s[4:5], 0x38
	s_load_dwordx8 s[8:15], s[4:5], 0x18
	v_and_b32_e32 v7, 31, v0
	v_lshl_or_b32 v0, s6, 8, v0
	s_waitcnt lgkmcnt(0)
	s_and_b32 s1, s18, 1
	s_lshl_b32 s17, s0, 3
	v_lshrrev_b32_e32 v6, 5, v0
	s_cmp_eq_u32 s1, 0
	v_cmp_gt_i32_e64 s[0:1], s19, v6
	s_mov_b64 s[4:5], -1
	s_cbranch_scc0 .LBB42_13
; %bb.4:
	s_and_saveexec_b64 s[4:5], s[0:1]
	s_cbranch_execz .LBB42_12
; %bb.5:
	v_subrev_u32_e32 v18, s16, v7
	s_mov_b64 s[6:7], 0
	v_mov_b32_e32 v19, s3
	v_mov_b32_e32 v20, s9
	;; [unrolled: 1-line block ×3, first 2 shown]
	s_branch .LBB42_7
.LBB42_6:                               ;   in Loop: Header=BB42_7 Depth=1
	s_or_b64 exec, exec, s[22:23]
	v_add_u32_e32 v8, s17, v8
	v_cmp_le_i32_e32 vcc, s19, v8
	s_or_b64 s[6:7], vcc, s[6:7]
	s_andn2_b64 exec, exec, s[6:7]
	s_cbranch_execz .LBB42_12
.LBB42_7:                               ; =>This Loop Header: Depth=1
                                        ;     Child Loop BB42_9 Depth 2
                                        ;       Child Loop BB42_10 Depth 3
	v_ashrrev_i32_e32 v9, 31, v8
	v_lshlrev_b64 v[0:1], 2, v[8:9]
	v_add_co_u32_e32 v2, vcc, s2, v0
	v_addc_co_u32_e32 v3, vcc, v19, v1, vcc
	v_add_co_u32_e32 v0, vcc, s8, v0
	v_addc_co_u32_e32 v1, vcc, v20, v1, vcc
	global_load_dword v10, v[0:1], off
	global_load_dword v11, v[2:3], off
	s_waitcnt vmcnt(1)
	v_subrev_u32_e32 v21, s16, v10
	s_waitcnt vmcnt(0)
	v_add_u32_e32 v10, v11, v18
	v_cmp_lt_i32_e32 vcc, v10, v21
	s_and_saveexec_b64 s[22:23], vcc
	s_cbranch_execz .LBB42_6
; %bb.8:                                ;   in Loop: Header=BB42_7 Depth=1
	v_lshlrev_b64 v[0:1], 3, v[8:9]
	v_mov_b32_e32 v2, s15
	v_add_co_u32_e32 v0, vcc, s14, v0
	v_addc_co_u32_e32 v1, vcc, v2, v1, vcc
	global_load_dwordx2 v[0:1], v[0:1], off
	s_mov_b64 s[24:25], 0
	s_waitcnt vmcnt(0)
	v_mul_f64 v[12:13], v[4:5], v[0:1]
.LBB42_9:                               ;   Parent Loop BB42_7 Depth=1
                                        ; =>  This Loop Header: Depth=2
                                        ;       Child Loop BB42_10 Depth 3
	v_ashrrev_i32_e32 v11, 31, v10
	v_lshlrev_b64 v[0:1], 2, v[10:11]
	v_mov_b32_e32 v2, s11
	v_add_co_u32_e32 v0, vcc, s10, v0
	v_addc_co_u32_e32 v1, vcc, v2, v1, vcc
	global_load_dword v2, v[0:1], off
	v_lshlrev_b64 v[0:1], 3, v[10:11]
	v_mov_b32_e32 v3, s13
	v_add_co_u32_e32 v0, vcc, s12, v0
	v_addc_co_u32_e32 v1, vcc, v3, v1, vcc
	v_mov_b32_e32 v9, s21
	global_load_dwordx2 v[0:1], v[0:1], off
	s_mov_b64 s[26:27], 0
	s_waitcnt vmcnt(1)
	v_subrev_u32_e32 v2, s16, v2
	v_ashrrev_i32_e32 v3, 31, v2
	v_lshlrev_b64 v[2:3], 3, v[2:3]
	v_add_co_u32_e32 v14, vcc, s20, v2
	v_addc_co_u32_e32 v15, vcc, v9, v3, vcc
	global_load_dwordx2 v[2:3], v[14:15], off
	s_waitcnt vmcnt(1)
	v_mul_f64 v[16:17], v[12:13], v[0:1]
.LBB42_10:                              ;   Parent Loop BB42_7 Depth=1
                                        ;     Parent Loop BB42_9 Depth=2
                                        ; =>    This Inner Loop Header: Depth=3
	s_waitcnt vmcnt(0)
	v_add_f64 v[0:1], v[2:3], v[16:17]
	global_atomic_cmpswap_x2 v[0:1], v[14:15], v[0:3], off glc
	s_waitcnt vmcnt(0)
	v_cmp_eq_u64_e32 vcc, v[0:1], v[2:3]
	s_or_b64 s[26:27], vcc, s[26:27]
	v_pk_mov_b32 v[2:3], v[0:1], v[0:1] op_sel:[0,1]
	s_andn2_b64 exec, exec, s[26:27]
	s_cbranch_execnz .LBB42_10
; %bb.11:                               ;   in Loop: Header=BB42_9 Depth=2
	s_or_b64 exec, exec, s[26:27]
	v_add_u32_e32 v10, 32, v10
	v_cmp_ge_i32_e32 vcc, v10, v21
	s_or_b64 s[24:25], vcc, s[24:25]
	s_andn2_b64 exec, exec, s[24:25]
	s_cbranch_execnz .LBB42_9
	s_branch .LBB42_6
.LBB42_12:
	s_or_b64 exec, exec, s[4:5]
	s_mov_b64 s[4:5], 0
.LBB42_13:
	s_andn2_b64 vcc, exec, s[4:5]
	s_cbranch_vccnz .LBB42_23
; %bb.14:
	s_and_b64 exec, exec, s[0:1]
	s_cbranch_execz .LBB42_23
; %bb.15:
	v_subrev_u32_e32 v16, s16, v7
	s_mov_b64 s[0:1], 0
	v_mov_b32_e32 v17, s3
	v_mov_b32_e32 v18, s9
	s_branch .LBB42_17
.LBB42_16:                              ;   in Loop: Header=BB42_17 Depth=1
	s_or_b64 exec, exec, s[4:5]
	v_add_u32_e32 v6, s17, v6
	v_cmp_le_i32_e32 vcc, s19, v6
	s_or_b64 s[0:1], vcc, s[0:1]
	s_andn2_b64 exec, exec, s[0:1]
	s_cbranch_execz .LBB42_23
.LBB42_17:                              ; =>This Loop Header: Depth=1
                                        ;     Child Loop BB42_20 Depth 2
                                        ;       Child Loop BB42_22 Depth 3
	v_ashrrev_i32_e32 v7, 31, v6
	v_lshlrev_b64 v[0:1], 2, v[6:7]
	v_add_co_u32_e32 v2, vcc, s2, v0
	v_addc_co_u32_e32 v3, vcc, v17, v1, vcc
	v_add_co_u32_e32 v0, vcc, s8, v0
	v_addc_co_u32_e32 v1, vcc, v18, v1, vcc
	global_load_dword v8, v[0:1], off
	global_load_dword v9, v[2:3], off
	s_waitcnt vmcnt(1)
	v_subrev_u32_e32 v19, s16, v8
	s_waitcnt vmcnt(0)
	v_add_u32_e32 v8, v9, v16
	v_cmp_lt_i32_e32 vcc, v8, v19
	s_and_saveexec_b64 s[4:5], vcc
	s_cbranch_execz .LBB42_16
; %bb.18:                               ;   in Loop: Header=BB42_17 Depth=1
	v_lshlrev_b64 v[0:1], 3, v[6:7]
	v_mov_b32_e32 v2, s15
	v_add_co_u32_e32 v0, vcc, s14, v0
	v_addc_co_u32_e32 v1, vcc, v2, v1, vcc
	global_load_dwordx2 v[0:1], v[0:1], off
	s_mov_b64 s[6:7], 0
	s_waitcnt vmcnt(0)
	v_mul_f64 v[10:11], v[4:5], v[0:1]
	s_branch .LBB42_20
.LBB42_19:                              ;   in Loop: Header=BB42_20 Depth=2
	s_or_b64 exec, exec, s[22:23]
	v_add_u32_e32 v8, 32, v8
	v_cmp_ge_i32_e32 vcc, v8, v19
	s_or_b64 s[6:7], vcc, s[6:7]
	s_andn2_b64 exec, exec, s[6:7]
	s_cbranch_execz .LBB42_16
.LBB42_20:                              ;   Parent Loop BB42_17 Depth=1
                                        ; =>  This Loop Header: Depth=2
                                        ;       Child Loop BB42_22 Depth 3
	v_ashrrev_i32_e32 v9, 31, v8
	v_lshlrev_b64 v[0:1], 2, v[8:9]
	v_mov_b32_e32 v2, s11
	v_add_co_u32_e32 v0, vcc, s10, v0
	v_addc_co_u32_e32 v1, vcc, v2, v1, vcc
	global_load_dword v0, v[0:1], off
	s_waitcnt vmcnt(0)
	v_subrev_u32_e32 v0, s16, v0
	v_cmp_ne_u32_e32 vcc, v0, v6
	s_and_saveexec_b64 s[22:23], vcc
	s_cbranch_execz .LBB42_19
; %bb.21:                               ;   in Loop: Header=BB42_20 Depth=2
	v_lshlrev_b64 v[2:3], 3, v[8:9]
	v_mov_b32_e32 v1, s13
	v_add_co_u32_e32 v2, vcc, s12, v2
	v_addc_co_u32_e32 v3, vcc, v1, v3, vcc
	v_ashrrev_i32_e32 v1, 31, v0
	v_lshlrev_b64 v[0:1], 3, v[0:1]
	v_mov_b32_e32 v7, s21
	v_add_co_u32_e32 v12, vcc, s20, v0
	global_load_dwordx2 v[14:15], v[2:3], off
	v_addc_co_u32_e32 v13, vcc, v7, v1, vcc
	global_load_dwordx2 v[2:3], v[12:13], off
	s_mov_b64 s[24:25], 0
	s_waitcnt vmcnt(1)
	v_mul_f64 v[14:15], v[10:11], v[14:15]
.LBB42_22:                              ;   Parent Loop BB42_17 Depth=1
                                        ;     Parent Loop BB42_20 Depth=2
                                        ; =>    This Inner Loop Header: Depth=3
	s_waitcnt vmcnt(0)
	v_add_f64 v[0:1], v[2:3], v[14:15]
	global_atomic_cmpswap_x2 v[0:1], v[12:13], v[0:3], off glc
	s_waitcnt vmcnt(0)
	v_cmp_eq_u64_e32 vcc, v[0:1], v[2:3]
	s_or_b64 s[24:25], vcc, s[24:25]
	v_pk_mov_b32 v[2:3], v[0:1], v[0:1] op_sel:[0,1]
	s_andn2_b64 exec, exec, s[24:25]
	s_cbranch_execnz .LBB42_22
	s_branch .LBB42_19
.LBB42_23:
	s_endpgm
	.section	.rodata,"a",@progbits
	.p2align	6, 0x0
	.amdhsa_kernel _ZN9rocsparseL21csrmvt_general_kernelILj256ELj32EiiddddEEvbbT2_NS_24const_host_device_scalarIT6_EEPKT1_S7_PKS1_PKT3_PKT4_PT5_21rocsparse_index_base_b
		.amdhsa_group_segment_fixed_size 0
		.amdhsa_private_segment_fixed_size 0
		.amdhsa_kernarg_size 328
		.amdhsa_user_sgpr_count 6
		.amdhsa_user_sgpr_private_segment_buffer 1
		.amdhsa_user_sgpr_dispatch_ptr 0
		.amdhsa_user_sgpr_queue_ptr 0
		.amdhsa_user_sgpr_kernarg_segment_ptr 1
		.amdhsa_user_sgpr_dispatch_id 0
		.amdhsa_user_sgpr_flat_scratch_init 0
		.amdhsa_user_sgpr_kernarg_preload_length 0
		.amdhsa_user_sgpr_kernarg_preload_offset 0
		.amdhsa_user_sgpr_private_segment_size 0
		.amdhsa_uses_dynamic_stack 0
		.amdhsa_system_sgpr_private_segment_wavefront_offset 0
		.amdhsa_system_sgpr_workgroup_id_x 1
		.amdhsa_system_sgpr_workgroup_id_y 0
		.amdhsa_system_sgpr_workgroup_id_z 0
		.amdhsa_system_sgpr_workgroup_info 0
		.amdhsa_system_vgpr_workitem_id 0
		.amdhsa_next_free_vgpr 22
		.amdhsa_next_free_sgpr 28
		.amdhsa_accum_offset 24
		.amdhsa_reserve_vcc 1
		.amdhsa_reserve_flat_scratch 0
		.amdhsa_float_round_mode_32 0
		.amdhsa_float_round_mode_16_64 0
		.amdhsa_float_denorm_mode_32 3
		.amdhsa_float_denorm_mode_16_64 3
		.amdhsa_dx10_clamp 1
		.amdhsa_ieee_mode 1
		.amdhsa_fp16_overflow 0
		.amdhsa_tg_split 0
		.amdhsa_exception_fp_ieee_invalid_op 0
		.amdhsa_exception_fp_denorm_src 0
		.amdhsa_exception_fp_ieee_div_zero 0
		.amdhsa_exception_fp_ieee_overflow 0
		.amdhsa_exception_fp_ieee_underflow 0
		.amdhsa_exception_fp_ieee_inexact 0
		.amdhsa_exception_int_div_zero 0
	.end_amdhsa_kernel
	.section	.text._ZN9rocsparseL21csrmvt_general_kernelILj256ELj32EiiddddEEvbbT2_NS_24const_host_device_scalarIT6_EEPKT1_S7_PKS1_PKT3_PKT4_PT5_21rocsparse_index_base_b,"axG",@progbits,_ZN9rocsparseL21csrmvt_general_kernelILj256ELj32EiiddddEEvbbT2_NS_24const_host_device_scalarIT6_EEPKT1_S7_PKS1_PKT3_PKT4_PT5_21rocsparse_index_base_b,comdat
.Lfunc_end42:
	.size	_ZN9rocsparseL21csrmvt_general_kernelILj256ELj32EiiddddEEvbbT2_NS_24const_host_device_scalarIT6_EEPKT1_S7_PKS1_PKT3_PKT4_PT5_21rocsparse_index_base_b, .Lfunc_end42-_ZN9rocsparseL21csrmvt_general_kernelILj256ELj32EiiddddEEvbbT2_NS_24const_host_device_scalarIT6_EEPKT1_S7_PKS1_PKT3_PKT4_PT5_21rocsparse_index_base_b
                                        ; -- End function
	.section	.AMDGPU.csdata,"",@progbits
; Kernel info:
; codeLenInByte = 916
; NumSgprs: 32
; NumVgprs: 22
; NumAgprs: 0
; TotalNumVgprs: 22
; ScratchSize: 0
; MemoryBound: 0
; FloatMode: 240
; IeeeMode: 1
; LDSByteSize: 0 bytes/workgroup (compile time only)
; SGPRBlocks: 3
; VGPRBlocks: 2
; NumSGPRsForWavesPerEU: 32
; NumVGPRsForWavesPerEU: 22
; AccumOffset: 24
; Occupancy: 8
; WaveLimiterHint : 1
; COMPUTE_PGM_RSRC2:SCRATCH_EN: 0
; COMPUTE_PGM_RSRC2:USER_SGPR: 6
; COMPUTE_PGM_RSRC2:TRAP_HANDLER: 0
; COMPUTE_PGM_RSRC2:TGID_X_EN: 1
; COMPUTE_PGM_RSRC2:TGID_Y_EN: 0
; COMPUTE_PGM_RSRC2:TGID_Z_EN: 0
; COMPUTE_PGM_RSRC2:TIDIG_COMP_CNT: 0
; COMPUTE_PGM_RSRC3_GFX90A:ACCUM_OFFSET: 5
; COMPUTE_PGM_RSRC3_GFX90A:TG_SPLIT: 0
	.section	.text._ZN9rocsparseL21csrmvt_general_kernelILj256ELj64EiiddddEEvbbT2_NS_24const_host_device_scalarIT6_EEPKT1_S7_PKS1_PKT3_PKT4_PT5_21rocsparse_index_base_b,"axG",@progbits,_ZN9rocsparseL21csrmvt_general_kernelILj256ELj64EiiddddEEvbbT2_NS_24const_host_device_scalarIT6_EEPKT1_S7_PKS1_PKT3_PKT4_PT5_21rocsparse_index_base_b,comdat
	.globl	_ZN9rocsparseL21csrmvt_general_kernelILj256ELj64EiiddddEEvbbT2_NS_24const_host_device_scalarIT6_EEPKT1_S7_PKS1_PKT3_PKT4_PT5_21rocsparse_index_base_b ; -- Begin function _ZN9rocsparseL21csrmvt_general_kernelILj256ELj64EiiddddEEvbbT2_NS_24const_host_device_scalarIT6_EEPKT1_S7_PKS1_PKT3_PKT4_PT5_21rocsparse_index_base_b
	.p2align	8
	.type	_ZN9rocsparseL21csrmvt_general_kernelILj256ELj64EiiddddEEvbbT2_NS_24const_host_device_scalarIT6_EEPKT1_S7_PKS1_PKT3_PKT4_PT5_21rocsparse_index_base_b,@function
_ZN9rocsparseL21csrmvt_general_kernelILj256ELj64EiiddddEEvbbT2_NS_24const_host_device_scalarIT6_EEPKT1_S7_PKS1_PKT3_PKT4_PT5_21rocsparse_index_base_b: ; @_ZN9rocsparseL21csrmvt_general_kernelILj256ELj64EiiddddEEvbbT2_NS_24const_host_device_scalarIT6_EEPKT1_S7_PKS1_PKT3_PKT4_PT5_21rocsparse_index_base_b
; %bb.0:
	s_load_dwordx2 s[16:17], s[4:5], 0x40
	s_load_dwordx4 s[0:3], s[4:5], 0x8
	s_waitcnt lgkmcnt(0)
	s_bitcmp1_b32 s17, 0
	s_cselect_b64 s[8:9], -1, 0
	s_and_b64 vcc, exec, s[8:9]
	v_pk_mov_b32 v[4:5], s[0:1], s[0:1] op_sel:[0,1]
	s_cbranch_vccnz .LBB43_2
; %bb.1:
	v_pk_mov_b32 v[2:3], s[0:1], s[0:1] op_sel:[0,1]
	flat_load_dwordx2 v[4:5], v[2:3]
.LBB43_2:
	s_waitcnt vmcnt(0) lgkmcnt(0)
	v_cmp_neq_f64_e32 vcc, 0, v[4:5]
	s_and_saveexec_b64 s[0:1], vcc
	s_cbranch_execz .LBB43_23
; %bb.3:
	s_load_dwordx2 s[18:19], s[4:5], 0x0
	s_load_dword s0, s[4:5], 0x48
	s_load_dwordx2 s[20:21], s[4:5], 0x38
	s_load_dwordx8 s[8:15], s[4:5], 0x18
	v_and_b32_e32 v7, 63, v0
	v_lshl_or_b32 v0, s6, 8, v0
	s_waitcnt lgkmcnt(0)
	s_and_b32 s1, s18, 1
	s_lshl_b32 s17, s0, 2
	v_lshrrev_b32_e32 v6, 6, v0
	s_cmp_eq_u32 s1, 0
	v_cmp_gt_i32_e64 s[0:1], s19, v6
	s_mov_b64 s[4:5], -1
	s_cbranch_scc0 .LBB43_13
; %bb.4:
	s_and_saveexec_b64 s[4:5], s[0:1]
	s_cbranch_execz .LBB43_12
; %bb.5:
	v_subrev_u32_e32 v18, s16, v7
	s_mov_b64 s[6:7], 0
	v_mov_b32_e32 v19, s3
	v_mov_b32_e32 v20, s9
	;; [unrolled: 1-line block ×3, first 2 shown]
	s_branch .LBB43_7
.LBB43_6:                               ;   in Loop: Header=BB43_7 Depth=1
	s_or_b64 exec, exec, s[22:23]
	v_add_u32_e32 v8, s17, v8
	v_cmp_le_i32_e32 vcc, s19, v8
	s_or_b64 s[6:7], vcc, s[6:7]
	s_andn2_b64 exec, exec, s[6:7]
	s_cbranch_execz .LBB43_12
.LBB43_7:                               ; =>This Loop Header: Depth=1
                                        ;     Child Loop BB43_9 Depth 2
                                        ;       Child Loop BB43_10 Depth 3
	v_ashrrev_i32_e32 v9, 31, v8
	v_lshlrev_b64 v[0:1], 2, v[8:9]
	v_add_co_u32_e32 v2, vcc, s2, v0
	v_addc_co_u32_e32 v3, vcc, v19, v1, vcc
	v_add_co_u32_e32 v0, vcc, s8, v0
	v_addc_co_u32_e32 v1, vcc, v20, v1, vcc
	global_load_dword v10, v[0:1], off
	global_load_dword v11, v[2:3], off
	s_waitcnt vmcnt(1)
	v_subrev_u32_e32 v21, s16, v10
	s_waitcnt vmcnt(0)
	v_add_u32_e32 v10, v11, v18
	v_cmp_lt_i32_e32 vcc, v10, v21
	s_and_saveexec_b64 s[22:23], vcc
	s_cbranch_execz .LBB43_6
; %bb.8:                                ;   in Loop: Header=BB43_7 Depth=1
	v_lshlrev_b64 v[0:1], 3, v[8:9]
	v_mov_b32_e32 v2, s15
	v_add_co_u32_e32 v0, vcc, s14, v0
	v_addc_co_u32_e32 v1, vcc, v2, v1, vcc
	global_load_dwordx2 v[0:1], v[0:1], off
	s_mov_b64 s[24:25], 0
	s_waitcnt vmcnt(0)
	v_mul_f64 v[12:13], v[4:5], v[0:1]
.LBB43_9:                               ;   Parent Loop BB43_7 Depth=1
                                        ; =>  This Loop Header: Depth=2
                                        ;       Child Loop BB43_10 Depth 3
	v_ashrrev_i32_e32 v11, 31, v10
	v_lshlrev_b64 v[0:1], 2, v[10:11]
	v_mov_b32_e32 v2, s11
	v_add_co_u32_e32 v0, vcc, s10, v0
	v_addc_co_u32_e32 v1, vcc, v2, v1, vcc
	global_load_dword v2, v[0:1], off
	v_lshlrev_b64 v[0:1], 3, v[10:11]
	v_mov_b32_e32 v3, s13
	v_add_co_u32_e32 v0, vcc, s12, v0
	v_addc_co_u32_e32 v1, vcc, v3, v1, vcc
	v_mov_b32_e32 v9, s21
	global_load_dwordx2 v[0:1], v[0:1], off
	s_mov_b64 s[26:27], 0
	s_waitcnt vmcnt(1)
	v_subrev_u32_e32 v2, s16, v2
	v_ashrrev_i32_e32 v3, 31, v2
	v_lshlrev_b64 v[2:3], 3, v[2:3]
	v_add_co_u32_e32 v14, vcc, s20, v2
	v_addc_co_u32_e32 v15, vcc, v9, v3, vcc
	global_load_dwordx2 v[2:3], v[14:15], off
	s_waitcnt vmcnt(1)
	v_mul_f64 v[16:17], v[12:13], v[0:1]
.LBB43_10:                              ;   Parent Loop BB43_7 Depth=1
                                        ;     Parent Loop BB43_9 Depth=2
                                        ; =>    This Inner Loop Header: Depth=3
	s_waitcnt vmcnt(0)
	v_add_f64 v[0:1], v[2:3], v[16:17]
	global_atomic_cmpswap_x2 v[0:1], v[14:15], v[0:3], off glc
	s_waitcnt vmcnt(0)
	v_cmp_eq_u64_e32 vcc, v[0:1], v[2:3]
	s_or_b64 s[26:27], vcc, s[26:27]
	v_pk_mov_b32 v[2:3], v[0:1], v[0:1] op_sel:[0,1]
	s_andn2_b64 exec, exec, s[26:27]
	s_cbranch_execnz .LBB43_10
; %bb.11:                               ;   in Loop: Header=BB43_9 Depth=2
	s_or_b64 exec, exec, s[26:27]
	v_add_u32_e32 v10, 64, v10
	v_cmp_ge_i32_e32 vcc, v10, v21
	s_or_b64 s[24:25], vcc, s[24:25]
	s_andn2_b64 exec, exec, s[24:25]
	s_cbranch_execnz .LBB43_9
	s_branch .LBB43_6
.LBB43_12:
	s_or_b64 exec, exec, s[4:5]
	s_mov_b64 s[4:5], 0
.LBB43_13:
	s_andn2_b64 vcc, exec, s[4:5]
	s_cbranch_vccnz .LBB43_23
; %bb.14:
	s_and_b64 exec, exec, s[0:1]
	s_cbranch_execz .LBB43_23
; %bb.15:
	v_subrev_u32_e32 v16, s16, v7
	s_mov_b64 s[0:1], 0
	v_mov_b32_e32 v17, s3
	v_mov_b32_e32 v18, s9
	s_branch .LBB43_17
.LBB43_16:                              ;   in Loop: Header=BB43_17 Depth=1
	s_or_b64 exec, exec, s[4:5]
	v_add_u32_e32 v6, s17, v6
	v_cmp_le_i32_e32 vcc, s19, v6
	s_or_b64 s[0:1], vcc, s[0:1]
	s_andn2_b64 exec, exec, s[0:1]
	s_cbranch_execz .LBB43_23
.LBB43_17:                              ; =>This Loop Header: Depth=1
                                        ;     Child Loop BB43_20 Depth 2
                                        ;       Child Loop BB43_22 Depth 3
	v_ashrrev_i32_e32 v7, 31, v6
	v_lshlrev_b64 v[0:1], 2, v[6:7]
	v_add_co_u32_e32 v2, vcc, s2, v0
	v_addc_co_u32_e32 v3, vcc, v17, v1, vcc
	v_add_co_u32_e32 v0, vcc, s8, v0
	v_addc_co_u32_e32 v1, vcc, v18, v1, vcc
	global_load_dword v8, v[0:1], off
	global_load_dword v9, v[2:3], off
	s_waitcnt vmcnt(1)
	v_subrev_u32_e32 v19, s16, v8
	s_waitcnt vmcnt(0)
	v_add_u32_e32 v8, v9, v16
	v_cmp_lt_i32_e32 vcc, v8, v19
	s_and_saveexec_b64 s[4:5], vcc
	s_cbranch_execz .LBB43_16
; %bb.18:                               ;   in Loop: Header=BB43_17 Depth=1
	v_lshlrev_b64 v[0:1], 3, v[6:7]
	v_mov_b32_e32 v2, s15
	v_add_co_u32_e32 v0, vcc, s14, v0
	v_addc_co_u32_e32 v1, vcc, v2, v1, vcc
	global_load_dwordx2 v[0:1], v[0:1], off
	s_mov_b64 s[6:7], 0
	s_waitcnt vmcnt(0)
	v_mul_f64 v[10:11], v[4:5], v[0:1]
	s_branch .LBB43_20
.LBB43_19:                              ;   in Loop: Header=BB43_20 Depth=2
	s_or_b64 exec, exec, s[22:23]
	v_add_u32_e32 v8, 64, v8
	v_cmp_ge_i32_e32 vcc, v8, v19
	s_or_b64 s[6:7], vcc, s[6:7]
	s_andn2_b64 exec, exec, s[6:7]
	s_cbranch_execz .LBB43_16
.LBB43_20:                              ;   Parent Loop BB43_17 Depth=1
                                        ; =>  This Loop Header: Depth=2
                                        ;       Child Loop BB43_22 Depth 3
	v_ashrrev_i32_e32 v9, 31, v8
	v_lshlrev_b64 v[0:1], 2, v[8:9]
	v_mov_b32_e32 v2, s11
	v_add_co_u32_e32 v0, vcc, s10, v0
	v_addc_co_u32_e32 v1, vcc, v2, v1, vcc
	global_load_dword v0, v[0:1], off
	s_waitcnt vmcnt(0)
	v_subrev_u32_e32 v0, s16, v0
	v_cmp_ne_u32_e32 vcc, v0, v6
	s_and_saveexec_b64 s[22:23], vcc
	s_cbranch_execz .LBB43_19
; %bb.21:                               ;   in Loop: Header=BB43_20 Depth=2
	v_lshlrev_b64 v[2:3], 3, v[8:9]
	v_mov_b32_e32 v1, s13
	v_add_co_u32_e32 v2, vcc, s12, v2
	v_addc_co_u32_e32 v3, vcc, v1, v3, vcc
	v_ashrrev_i32_e32 v1, 31, v0
	v_lshlrev_b64 v[0:1], 3, v[0:1]
	v_mov_b32_e32 v7, s21
	v_add_co_u32_e32 v12, vcc, s20, v0
	global_load_dwordx2 v[14:15], v[2:3], off
	v_addc_co_u32_e32 v13, vcc, v7, v1, vcc
	global_load_dwordx2 v[2:3], v[12:13], off
	s_mov_b64 s[24:25], 0
	s_waitcnt vmcnt(1)
	v_mul_f64 v[14:15], v[10:11], v[14:15]
.LBB43_22:                              ;   Parent Loop BB43_17 Depth=1
                                        ;     Parent Loop BB43_20 Depth=2
                                        ; =>    This Inner Loop Header: Depth=3
	s_waitcnt vmcnt(0)
	v_add_f64 v[0:1], v[2:3], v[14:15]
	global_atomic_cmpswap_x2 v[0:1], v[12:13], v[0:3], off glc
	s_waitcnt vmcnt(0)
	v_cmp_eq_u64_e32 vcc, v[0:1], v[2:3]
	s_or_b64 s[24:25], vcc, s[24:25]
	v_pk_mov_b32 v[2:3], v[0:1], v[0:1] op_sel:[0,1]
	s_andn2_b64 exec, exec, s[24:25]
	s_cbranch_execnz .LBB43_22
	s_branch .LBB43_19
.LBB43_23:
	s_endpgm
	.section	.rodata,"a",@progbits
	.p2align	6, 0x0
	.amdhsa_kernel _ZN9rocsparseL21csrmvt_general_kernelILj256ELj64EiiddddEEvbbT2_NS_24const_host_device_scalarIT6_EEPKT1_S7_PKS1_PKT3_PKT4_PT5_21rocsparse_index_base_b
		.amdhsa_group_segment_fixed_size 0
		.amdhsa_private_segment_fixed_size 0
		.amdhsa_kernarg_size 328
		.amdhsa_user_sgpr_count 6
		.amdhsa_user_sgpr_private_segment_buffer 1
		.amdhsa_user_sgpr_dispatch_ptr 0
		.amdhsa_user_sgpr_queue_ptr 0
		.amdhsa_user_sgpr_kernarg_segment_ptr 1
		.amdhsa_user_sgpr_dispatch_id 0
		.amdhsa_user_sgpr_flat_scratch_init 0
		.amdhsa_user_sgpr_kernarg_preload_length 0
		.amdhsa_user_sgpr_kernarg_preload_offset 0
		.amdhsa_user_sgpr_private_segment_size 0
		.amdhsa_uses_dynamic_stack 0
		.amdhsa_system_sgpr_private_segment_wavefront_offset 0
		.amdhsa_system_sgpr_workgroup_id_x 1
		.amdhsa_system_sgpr_workgroup_id_y 0
		.amdhsa_system_sgpr_workgroup_id_z 0
		.amdhsa_system_sgpr_workgroup_info 0
		.amdhsa_system_vgpr_workitem_id 0
		.amdhsa_next_free_vgpr 22
		.amdhsa_next_free_sgpr 28
		.amdhsa_accum_offset 24
		.amdhsa_reserve_vcc 1
		.amdhsa_reserve_flat_scratch 0
		.amdhsa_float_round_mode_32 0
		.amdhsa_float_round_mode_16_64 0
		.amdhsa_float_denorm_mode_32 3
		.amdhsa_float_denorm_mode_16_64 3
		.amdhsa_dx10_clamp 1
		.amdhsa_ieee_mode 1
		.amdhsa_fp16_overflow 0
		.amdhsa_tg_split 0
		.amdhsa_exception_fp_ieee_invalid_op 0
		.amdhsa_exception_fp_denorm_src 0
		.amdhsa_exception_fp_ieee_div_zero 0
		.amdhsa_exception_fp_ieee_overflow 0
		.amdhsa_exception_fp_ieee_underflow 0
		.amdhsa_exception_fp_ieee_inexact 0
		.amdhsa_exception_int_div_zero 0
	.end_amdhsa_kernel
	.section	.text._ZN9rocsparseL21csrmvt_general_kernelILj256ELj64EiiddddEEvbbT2_NS_24const_host_device_scalarIT6_EEPKT1_S7_PKS1_PKT3_PKT4_PT5_21rocsparse_index_base_b,"axG",@progbits,_ZN9rocsparseL21csrmvt_general_kernelILj256ELj64EiiddddEEvbbT2_NS_24const_host_device_scalarIT6_EEPKT1_S7_PKS1_PKT3_PKT4_PT5_21rocsparse_index_base_b,comdat
.Lfunc_end43:
	.size	_ZN9rocsparseL21csrmvt_general_kernelILj256ELj64EiiddddEEvbbT2_NS_24const_host_device_scalarIT6_EEPKT1_S7_PKS1_PKT3_PKT4_PT5_21rocsparse_index_base_b, .Lfunc_end43-_ZN9rocsparseL21csrmvt_general_kernelILj256ELj64EiiddddEEvbbT2_NS_24const_host_device_scalarIT6_EEPKT1_S7_PKS1_PKT3_PKT4_PT5_21rocsparse_index_base_b
                                        ; -- End function
	.section	.AMDGPU.csdata,"",@progbits
; Kernel info:
; codeLenInByte = 916
; NumSgprs: 32
; NumVgprs: 22
; NumAgprs: 0
; TotalNumVgprs: 22
; ScratchSize: 0
; MemoryBound: 0
; FloatMode: 240
; IeeeMode: 1
; LDSByteSize: 0 bytes/workgroup (compile time only)
; SGPRBlocks: 3
; VGPRBlocks: 2
; NumSGPRsForWavesPerEU: 32
; NumVGPRsForWavesPerEU: 22
; AccumOffset: 24
; Occupancy: 8
; WaveLimiterHint : 1
; COMPUTE_PGM_RSRC2:SCRATCH_EN: 0
; COMPUTE_PGM_RSRC2:USER_SGPR: 6
; COMPUTE_PGM_RSRC2:TRAP_HANDLER: 0
; COMPUTE_PGM_RSRC2:TGID_X_EN: 1
; COMPUTE_PGM_RSRC2:TGID_Y_EN: 0
; COMPUTE_PGM_RSRC2:TGID_Z_EN: 0
; COMPUTE_PGM_RSRC2:TIDIG_COMP_CNT: 0
; COMPUTE_PGM_RSRC3_GFX90A:ACCUM_OFFSET: 5
; COMPUTE_PGM_RSRC3_GFX90A:TG_SPLIT: 0
	.section	.text._ZN9rocsparseL21csrmvn_general_kernelILj256ELj2EliddddEEvbT2_NS_24const_host_device_scalarIT6_EEPKT1_S7_PKS1_PKT3_PKT4_S4_PT5_21rocsparse_index_base_b,"axG",@progbits,_ZN9rocsparseL21csrmvn_general_kernelILj256ELj2EliddddEEvbT2_NS_24const_host_device_scalarIT6_EEPKT1_S7_PKS1_PKT3_PKT4_S4_PT5_21rocsparse_index_base_b,comdat
	.globl	_ZN9rocsparseL21csrmvn_general_kernelILj256ELj2EliddddEEvbT2_NS_24const_host_device_scalarIT6_EEPKT1_S7_PKS1_PKT3_PKT4_S4_PT5_21rocsparse_index_base_b ; -- Begin function _ZN9rocsparseL21csrmvn_general_kernelILj256ELj2EliddddEEvbT2_NS_24const_host_device_scalarIT6_EEPKT1_S7_PKS1_PKT3_PKT4_S4_PT5_21rocsparse_index_base_b
	.p2align	8
	.type	_ZN9rocsparseL21csrmvn_general_kernelILj256ELj2EliddddEEvbT2_NS_24const_host_device_scalarIT6_EEPKT1_S7_PKS1_PKT3_PKT4_S4_PT5_21rocsparse_index_base_b,@function
_ZN9rocsparseL21csrmvn_general_kernelILj256ELj2EliddddEEvbT2_NS_24const_host_device_scalarIT6_EEPKT1_S7_PKS1_PKT3_PKT4_S4_PT5_21rocsparse_index_base_b: ; @_ZN9rocsparseL21csrmvn_general_kernelILj256ELj2EliddddEEvbT2_NS_24const_host_device_scalarIT6_EEPKT1_S7_PKS1_PKT3_PKT4_S4_PT5_21rocsparse_index_base_b
; %bb.0:
	s_load_dwordx2 s[20:21], s[4:5], 0x48
	s_load_dwordx4 s[16:19], s[4:5], 0x8
	s_load_dwordx2 s[0:1], s[4:5], 0x38
	s_waitcnt lgkmcnt(0)
	s_bitcmp1_b32 s21, 0
	s_cselect_b64 s[8:9], -1, 0
	s_xor_b64 s[2:3], s[8:9], -1
	s_and_b64 vcc, exec, s[8:9]
	v_pk_mov_b32 v[2:3], s[16:17], s[16:17] op_sel:[0,1]
	s_cbranch_vccnz .LBB44_2
; %bb.1:
	v_pk_mov_b32 v[2:3], s[16:17], s[16:17] op_sel:[0,1]
	flat_load_dwordx2 v[2:3], v[2:3]
.LBB44_2:
	s_andn2_b64 vcc, exec, s[2:3]
	v_pk_mov_b32 v[4:5], s[0:1], s[0:1] op_sel:[0,1]
	s_cbranch_vccnz .LBB44_4
; %bb.3:
	v_pk_mov_b32 v[4:5], s[0:1], s[0:1] op_sel:[0,1]
	flat_load_dwordx2 v[4:5], v[4:5]
.LBB44_4:
	s_waitcnt vmcnt(0) lgkmcnt(0)
	v_cmp_neq_f64_e32 vcc, 0, v[2:3]
	v_cmp_neq_f64_e64 s[0:1], 1.0, v[4:5]
	s_or_b64 s[0:1], vcc, s[0:1]
	s_and_saveexec_b64 s[2:3], s[0:1]
	s_cbranch_execz .LBB44_16
; %bb.5:
	s_load_dword s21, s[4:5], 0x4
	v_lshl_or_b32 v1, s6, 8, v0
	v_lshrrev_b32_e32 v6, 1, v1
	s_waitcnt lgkmcnt(0)
	v_cmp_gt_i32_e32 vcc, s21, v6
	s_and_b64 exec, exec, vcc
	s_cbranch_execz .LBB44_16
; %bb.6:
	s_load_dword s0, s[4:5], 0x50
	s_load_dwordx2 s[6:7], s[4:5], 0x40
	s_load_dwordx8 s[8:15], s[4:5], 0x18
	v_and_b32_e32 v0, 1, v0
	v_subrev_co_u32_e32 v18, vcc, s20, v0
	s_waitcnt lgkmcnt(0)
	s_lshl_b32 s22, s0, 7
	v_subb_co_u32_e64 v19, s[0:1], 0, 0, vcc
	s_ashr_i32 s1, s20, 31
	s_mov_b32 s0, s20
	s_lshl_b64 s[0:1], s[0:1], 3
	s_sub_u32 s23, s14, s0
	s_mov_b32 s2, 0
	s_subb_u32 s3, s15, s1
	v_cmp_eq_u32_e32 vcc, 1, v0
	s_mov_b64 s[4:5], 0
	v_cmp_neq_f64_e64 s[0:1], 0, v[4:5]
	v_mov_b32_e32 v20, s19
	v_mov_b32_e32 v21, s9
	;; [unrolled: 1-line block ×4, first 2 shown]
	s_branch .LBB44_9
.LBB44_7:                               ;   in Loop: Header=BB44_9 Depth=1
	s_or_b64 exec, exec, s[2:3]
	global_store_dwordx2 v[0:1], v[8:9], off
.LBB44_8:                               ;   in Loop: Header=BB44_9 Depth=1
	s_or_b64 exec, exec, s[14:15]
	v_add_u32_e32 v6, s22, v6
	v_cmp_le_i32_e64 s[2:3], s21, v6
	s_or_b64 s[4:5], s[2:3], s[4:5]
	s_andn2_b64 exec, exec, s[4:5]
	s_cbranch_execz .LBB44_16
.LBB44_9:                               ; =>This Loop Header: Depth=1
                                        ;     Child Loop BB44_11 Depth 2
	v_ashrrev_i32_e32 v7, 31, v6
	v_lshlrev_b64 v[0:1], 3, v[6:7]
	v_add_co_u32_e64 v8, s[2:3], s8, v0
	v_addc_co_u32_e64 v9, s[2:3], v21, v1, s[2:3]
	global_load_dwordx2 v[8:9], v[8:9], off
	v_add_co_u32_e64 v10, s[2:3], s18, v0
	v_addc_co_u32_e64 v11, s[2:3], v20, v1, s[2:3]
	global_load_dwordx2 v[10:11], v[10:11], off
	v_pk_mov_b32 v[12:13], 0, 0
	s_waitcnt vmcnt(1)
	v_subrev_co_u32_e64 v8, s[2:3], s20, v8
	v_subb_co_u32_e64 v9, s[2:3], v9, v22, s[2:3]
	s_waitcnt vmcnt(0)
	v_add_co_u32_e64 v10, s[2:3], v10, v18
	v_addc_co_u32_e64 v11, s[2:3], v11, v19, s[2:3]
	v_cmp_lt_i64_e64 s[2:3], v[10:11], v[8:9]
	s_and_saveexec_b64 s[14:15], s[2:3]
	s_cbranch_execz .LBB44_13
; %bb.10:                               ;   in Loop: Header=BB44_9 Depth=1
	v_lshlrev_b64 v[12:13], 3, v[10:11]
	v_mov_b32_e32 v7, s13
	v_add_co_u32_e64 v14, s[2:3], s12, v12
	v_addc_co_u32_e64 v15, s[2:3], v7, v13, s[2:3]
	v_lshlrev_b64 v[12:13], 2, v[10:11]
	v_mov_b32_e32 v7, s11
	v_add_co_u32_e64 v16, s[2:3], s10, v12
	v_addc_co_u32_e64 v17, s[2:3], v7, v13, s[2:3]
	s_mov_b64 s[16:17], 0
	v_pk_mov_b32 v[12:13], 0, 0
.LBB44_11:                              ;   Parent Loop BB44_9 Depth=1
                                        ; =>  This Inner Loop Header: Depth=2
	global_load_dword v24, v[16:17], off
	global_load_dwordx2 v[26:27], v[14:15], off
	s_waitcnt vmcnt(1)
	v_ashrrev_i32_e32 v25, 31, v24
	v_lshlrev_b64 v[24:25], 3, v[24:25]
	v_add_co_u32_e64 v24, s[2:3], s23, v24
	v_addc_co_u32_e64 v25, s[2:3], v23, v25, s[2:3]
	global_load_dwordx2 v[24:25], v[24:25], off
	v_add_co_u32_e64 v10, s[2:3], 2, v10
	v_addc_co_u32_e64 v11, s[2:3], 0, v11, s[2:3]
	v_add_co_u32_e64 v14, s[2:3], 16, v14
	v_addc_co_u32_e64 v15, s[2:3], 0, v15, s[2:3]
	v_add_co_u32_e64 v16, s[2:3], 8, v16
	v_addc_co_u32_e64 v17, s[2:3], 0, v17, s[2:3]
	v_cmp_ge_i64_e64 s[2:3], v[10:11], v[8:9]
	s_waitcnt vmcnt(1)
	v_mul_f64 v[26:27], v[2:3], v[26:27]
	s_or_b64 s[16:17], s[2:3], s[16:17]
	s_waitcnt vmcnt(0)
	v_fmac_f64_e32 v[12:13], v[26:27], v[24:25]
	s_andn2_b64 exec, exec, s[16:17]
	s_cbranch_execnz .LBB44_11
; %bb.12:                               ;   in Loop: Header=BB44_9 Depth=1
	s_or_b64 exec, exec, s[16:17]
.LBB44_13:                              ;   in Loop: Header=BB44_9 Depth=1
	s_or_b64 exec, exec, s[14:15]
	v_mov_b32_dpp v8, v12 row_shr:1 row_mask:0xf bank_mask:0xf
	v_mov_b32_dpp v9, v13 row_shr:1 row_mask:0xf bank_mask:0xf
	s_and_saveexec_b64 s[14:15], vcc
	s_cbranch_execz .LBB44_8
; %bb.14:                               ;   in Loop: Header=BB44_9 Depth=1
	v_mov_b32_e32 v7, s7
	v_add_co_u32_e64 v0, s[2:3], s6, v0
	v_add_f64 v[8:9], v[12:13], v[8:9]
	v_addc_co_u32_e64 v1, s[2:3], v7, v1, s[2:3]
	s_and_saveexec_b64 s[2:3], s[0:1]
	s_cbranch_execz .LBB44_7
; %bb.15:                               ;   in Loop: Header=BB44_9 Depth=1
	global_load_dwordx2 v[10:11], v[0:1], off
	s_waitcnt vmcnt(0)
	v_fmac_f64_e32 v[8:9], v[4:5], v[10:11]
	s_branch .LBB44_7
.LBB44_16:
	s_endpgm
	.section	.rodata,"a",@progbits
	.p2align	6, 0x0
	.amdhsa_kernel _ZN9rocsparseL21csrmvn_general_kernelILj256ELj2EliddddEEvbT2_NS_24const_host_device_scalarIT6_EEPKT1_S7_PKS1_PKT3_PKT4_S4_PT5_21rocsparse_index_base_b
		.amdhsa_group_segment_fixed_size 0
		.amdhsa_private_segment_fixed_size 0
		.amdhsa_kernarg_size 336
		.amdhsa_user_sgpr_count 6
		.amdhsa_user_sgpr_private_segment_buffer 1
		.amdhsa_user_sgpr_dispatch_ptr 0
		.amdhsa_user_sgpr_queue_ptr 0
		.amdhsa_user_sgpr_kernarg_segment_ptr 1
		.amdhsa_user_sgpr_dispatch_id 0
		.amdhsa_user_sgpr_flat_scratch_init 0
		.amdhsa_user_sgpr_kernarg_preload_length 0
		.amdhsa_user_sgpr_kernarg_preload_offset 0
		.amdhsa_user_sgpr_private_segment_size 0
		.amdhsa_uses_dynamic_stack 0
		.amdhsa_system_sgpr_private_segment_wavefront_offset 0
		.amdhsa_system_sgpr_workgroup_id_x 1
		.amdhsa_system_sgpr_workgroup_id_y 0
		.amdhsa_system_sgpr_workgroup_id_z 0
		.amdhsa_system_sgpr_workgroup_info 0
		.amdhsa_system_vgpr_workitem_id 0
		.amdhsa_next_free_vgpr 28
		.amdhsa_next_free_sgpr 24
		.amdhsa_accum_offset 28
		.amdhsa_reserve_vcc 1
		.amdhsa_reserve_flat_scratch 0
		.amdhsa_float_round_mode_32 0
		.amdhsa_float_round_mode_16_64 0
		.amdhsa_float_denorm_mode_32 3
		.amdhsa_float_denorm_mode_16_64 3
		.amdhsa_dx10_clamp 1
		.amdhsa_ieee_mode 1
		.amdhsa_fp16_overflow 0
		.amdhsa_tg_split 0
		.amdhsa_exception_fp_ieee_invalid_op 0
		.amdhsa_exception_fp_denorm_src 0
		.amdhsa_exception_fp_ieee_div_zero 0
		.amdhsa_exception_fp_ieee_overflow 0
		.amdhsa_exception_fp_ieee_underflow 0
		.amdhsa_exception_fp_ieee_inexact 0
		.amdhsa_exception_int_div_zero 0
	.end_amdhsa_kernel
	.section	.text._ZN9rocsparseL21csrmvn_general_kernelILj256ELj2EliddddEEvbT2_NS_24const_host_device_scalarIT6_EEPKT1_S7_PKS1_PKT3_PKT4_S4_PT5_21rocsparse_index_base_b,"axG",@progbits,_ZN9rocsparseL21csrmvn_general_kernelILj256ELj2EliddddEEvbT2_NS_24const_host_device_scalarIT6_EEPKT1_S7_PKS1_PKT3_PKT4_S4_PT5_21rocsparse_index_base_b,comdat
.Lfunc_end44:
	.size	_ZN9rocsparseL21csrmvn_general_kernelILj256ELj2EliddddEEvbT2_NS_24const_host_device_scalarIT6_EEPKT1_S7_PKS1_PKT3_PKT4_S4_PT5_21rocsparse_index_base_b, .Lfunc_end44-_ZN9rocsparseL21csrmvn_general_kernelILj256ELj2EliddddEEvbT2_NS_24const_host_device_scalarIT6_EEPKT1_S7_PKS1_PKT3_PKT4_S4_PT5_21rocsparse_index_base_b
                                        ; -- End function
	.section	.AMDGPU.csdata,"",@progbits
; Kernel info:
; codeLenInByte = 744
; NumSgprs: 28
; NumVgprs: 28
; NumAgprs: 0
; TotalNumVgprs: 28
; ScratchSize: 0
; MemoryBound: 1
; FloatMode: 240
; IeeeMode: 1
; LDSByteSize: 0 bytes/workgroup (compile time only)
; SGPRBlocks: 3
; VGPRBlocks: 3
; NumSGPRsForWavesPerEU: 28
; NumVGPRsForWavesPerEU: 28
; AccumOffset: 28
; Occupancy: 8
; WaveLimiterHint : 1
; COMPUTE_PGM_RSRC2:SCRATCH_EN: 0
; COMPUTE_PGM_RSRC2:USER_SGPR: 6
; COMPUTE_PGM_RSRC2:TRAP_HANDLER: 0
; COMPUTE_PGM_RSRC2:TGID_X_EN: 1
; COMPUTE_PGM_RSRC2:TGID_Y_EN: 0
; COMPUTE_PGM_RSRC2:TGID_Z_EN: 0
; COMPUTE_PGM_RSRC2:TIDIG_COMP_CNT: 0
; COMPUTE_PGM_RSRC3_GFX90A:ACCUM_OFFSET: 6
; COMPUTE_PGM_RSRC3_GFX90A:TG_SPLIT: 0
	.section	.text._ZN9rocsparseL21csrmvn_general_kernelILj256ELj4EliddddEEvbT2_NS_24const_host_device_scalarIT6_EEPKT1_S7_PKS1_PKT3_PKT4_S4_PT5_21rocsparse_index_base_b,"axG",@progbits,_ZN9rocsparseL21csrmvn_general_kernelILj256ELj4EliddddEEvbT2_NS_24const_host_device_scalarIT6_EEPKT1_S7_PKS1_PKT3_PKT4_S4_PT5_21rocsparse_index_base_b,comdat
	.globl	_ZN9rocsparseL21csrmvn_general_kernelILj256ELj4EliddddEEvbT2_NS_24const_host_device_scalarIT6_EEPKT1_S7_PKS1_PKT3_PKT4_S4_PT5_21rocsparse_index_base_b ; -- Begin function _ZN9rocsparseL21csrmvn_general_kernelILj256ELj4EliddddEEvbT2_NS_24const_host_device_scalarIT6_EEPKT1_S7_PKS1_PKT3_PKT4_S4_PT5_21rocsparse_index_base_b
	.p2align	8
	.type	_ZN9rocsparseL21csrmvn_general_kernelILj256ELj4EliddddEEvbT2_NS_24const_host_device_scalarIT6_EEPKT1_S7_PKS1_PKT3_PKT4_S4_PT5_21rocsparse_index_base_b,@function
_ZN9rocsparseL21csrmvn_general_kernelILj256ELj4EliddddEEvbT2_NS_24const_host_device_scalarIT6_EEPKT1_S7_PKS1_PKT3_PKT4_S4_PT5_21rocsparse_index_base_b: ; @_ZN9rocsparseL21csrmvn_general_kernelILj256ELj4EliddddEEvbT2_NS_24const_host_device_scalarIT6_EEPKT1_S7_PKS1_PKT3_PKT4_S4_PT5_21rocsparse_index_base_b
; %bb.0:
	s_load_dwordx2 s[20:21], s[4:5], 0x48
	s_load_dwordx4 s[16:19], s[4:5], 0x8
	s_load_dwordx2 s[0:1], s[4:5], 0x38
	s_waitcnt lgkmcnt(0)
	s_bitcmp1_b32 s21, 0
	s_cselect_b64 s[8:9], -1, 0
	s_xor_b64 s[2:3], s[8:9], -1
	s_and_b64 vcc, exec, s[8:9]
	v_pk_mov_b32 v[2:3], s[16:17], s[16:17] op_sel:[0,1]
	s_cbranch_vccnz .LBB45_2
; %bb.1:
	v_pk_mov_b32 v[2:3], s[16:17], s[16:17] op_sel:[0,1]
	flat_load_dwordx2 v[2:3], v[2:3]
.LBB45_2:
	s_andn2_b64 vcc, exec, s[2:3]
	v_pk_mov_b32 v[4:5], s[0:1], s[0:1] op_sel:[0,1]
	s_cbranch_vccnz .LBB45_4
; %bb.3:
	v_pk_mov_b32 v[4:5], s[0:1], s[0:1] op_sel:[0,1]
	flat_load_dwordx2 v[4:5], v[4:5]
.LBB45_4:
	s_waitcnt vmcnt(0) lgkmcnt(0)
	v_cmp_neq_f64_e32 vcc, 0, v[2:3]
	v_cmp_neq_f64_e64 s[0:1], 1.0, v[4:5]
	s_or_b64 s[0:1], vcc, s[0:1]
	s_and_saveexec_b64 s[2:3], s[0:1]
	s_cbranch_execz .LBB45_16
; %bb.5:
	s_load_dword s21, s[4:5], 0x4
	v_lshl_or_b32 v1, s6, 8, v0
	v_lshrrev_b32_e32 v6, 2, v1
	s_waitcnt lgkmcnt(0)
	v_cmp_gt_i32_e32 vcc, s21, v6
	s_and_b64 exec, exec, vcc
	s_cbranch_execz .LBB45_16
; %bb.6:
	s_load_dword s0, s[4:5], 0x50
	s_load_dwordx2 s[6:7], s[4:5], 0x40
	s_load_dwordx8 s[8:15], s[4:5], 0x18
	v_and_b32_e32 v0, 3, v0
	v_subrev_co_u32_e32 v18, vcc, s20, v0
	s_waitcnt lgkmcnt(0)
	s_lshl_b32 s22, s0, 6
	v_subb_co_u32_e64 v19, s[0:1], 0, 0, vcc
	s_ashr_i32 s1, s20, 31
	s_mov_b32 s0, s20
	s_lshl_b64 s[0:1], s[0:1], 3
	s_sub_u32 s23, s14, s0
	s_mov_b32 s2, 0
	s_subb_u32 s3, s15, s1
	v_cmp_eq_u32_e32 vcc, 3, v0
	s_mov_b64 s[4:5], 0
	v_cmp_neq_f64_e64 s[0:1], 0, v[4:5]
	v_mov_b32_e32 v20, s19
	v_mov_b32_e32 v21, s9
	;; [unrolled: 1-line block ×4, first 2 shown]
	s_branch .LBB45_9
.LBB45_7:                               ;   in Loop: Header=BB45_9 Depth=1
	s_or_b64 exec, exec, s[2:3]
	global_store_dwordx2 v[0:1], v[8:9], off
.LBB45_8:                               ;   in Loop: Header=BB45_9 Depth=1
	s_or_b64 exec, exec, s[14:15]
	v_add_u32_e32 v6, s22, v6
	v_cmp_le_i32_e64 s[2:3], s21, v6
	s_or_b64 s[4:5], s[2:3], s[4:5]
	s_andn2_b64 exec, exec, s[4:5]
	s_cbranch_execz .LBB45_16
.LBB45_9:                               ; =>This Loop Header: Depth=1
                                        ;     Child Loop BB45_11 Depth 2
	v_ashrrev_i32_e32 v7, 31, v6
	v_lshlrev_b64 v[0:1], 3, v[6:7]
	v_add_co_u32_e64 v8, s[2:3], s8, v0
	v_addc_co_u32_e64 v9, s[2:3], v21, v1, s[2:3]
	global_load_dwordx2 v[8:9], v[8:9], off
	v_add_co_u32_e64 v10, s[2:3], s18, v0
	v_addc_co_u32_e64 v11, s[2:3], v20, v1, s[2:3]
	global_load_dwordx2 v[10:11], v[10:11], off
	v_pk_mov_b32 v[12:13], 0, 0
	s_waitcnt vmcnt(1)
	v_subrev_co_u32_e64 v8, s[2:3], s20, v8
	v_subb_co_u32_e64 v9, s[2:3], v9, v22, s[2:3]
	s_waitcnt vmcnt(0)
	v_add_co_u32_e64 v10, s[2:3], v10, v18
	v_addc_co_u32_e64 v11, s[2:3], v11, v19, s[2:3]
	v_cmp_lt_i64_e64 s[2:3], v[10:11], v[8:9]
	s_and_saveexec_b64 s[14:15], s[2:3]
	s_cbranch_execz .LBB45_13
; %bb.10:                               ;   in Loop: Header=BB45_9 Depth=1
	v_lshlrev_b64 v[12:13], 3, v[10:11]
	v_mov_b32_e32 v7, s13
	v_add_co_u32_e64 v14, s[2:3], s12, v12
	v_addc_co_u32_e64 v15, s[2:3], v7, v13, s[2:3]
	v_lshlrev_b64 v[12:13], 2, v[10:11]
	v_mov_b32_e32 v7, s11
	v_add_co_u32_e64 v16, s[2:3], s10, v12
	v_addc_co_u32_e64 v17, s[2:3], v7, v13, s[2:3]
	s_mov_b64 s[16:17], 0
	v_pk_mov_b32 v[12:13], 0, 0
.LBB45_11:                              ;   Parent Loop BB45_9 Depth=1
                                        ; =>  This Inner Loop Header: Depth=2
	global_load_dword v24, v[16:17], off
	global_load_dwordx2 v[26:27], v[14:15], off
	s_waitcnt vmcnt(1)
	v_ashrrev_i32_e32 v25, 31, v24
	v_lshlrev_b64 v[24:25], 3, v[24:25]
	v_add_co_u32_e64 v24, s[2:3], s23, v24
	v_addc_co_u32_e64 v25, s[2:3], v23, v25, s[2:3]
	global_load_dwordx2 v[24:25], v[24:25], off
	v_add_co_u32_e64 v10, s[2:3], 4, v10
	v_addc_co_u32_e64 v11, s[2:3], 0, v11, s[2:3]
	v_add_co_u32_e64 v14, s[2:3], 32, v14
	v_addc_co_u32_e64 v15, s[2:3], 0, v15, s[2:3]
	;; [unrolled: 2-line block ×3, first 2 shown]
	v_cmp_ge_i64_e64 s[2:3], v[10:11], v[8:9]
	s_waitcnt vmcnt(1)
	v_mul_f64 v[26:27], v[2:3], v[26:27]
	s_or_b64 s[16:17], s[2:3], s[16:17]
	s_waitcnt vmcnt(0)
	v_fmac_f64_e32 v[12:13], v[26:27], v[24:25]
	s_andn2_b64 exec, exec, s[16:17]
	s_cbranch_execnz .LBB45_11
; %bb.12:                               ;   in Loop: Header=BB45_9 Depth=1
	s_or_b64 exec, exec, s[16:17]
.LBB45_13:                              ;   in Loop: Header=BB45_9 Depth=1
	s_or_b64 exec, exec, s[14:15]
	v_mov_b32_dpp v8, v12 row_shr:1 row_mask:0xf bank_mask:0xf
	v_mov_b32_dpp v9, v13 row_shr:1 row_mask:0xf bank_mask:0xf
	v_add_f64 v[8:9], v[12:13], v[8:9]
	s_nop 1
	v_mov_b32_dpp v10, v8 row_shr:2 row_mask:0xf bank_mask:0xf
	v_mov_b32_dpp v11, v9 row_shr:2 row_mask:0xf bank_mask:0xf
	s_and_saveexec_b64 s[14:15], vcc
	s_cbranch_execz .LBB45_8
; %bb.14:                               ;   in Loop: Header=BB45_9 Depth=1
	v_mov_b32_e32 v7, s7
	v_add_co_u32_e64 v0, s[2:3], s6, v0
	v_add_f64 v[8:9], v[8:9], v[10:11]
	v_addc_co_u32_e64 v1, s[2:3], v7, v1, s[2:3]
	s_and_saveexec_b64 s[2:3], s[0:1]
	s_cbranch_execz .LBB45_7
; %bb.15:                               ;   in Loop: Header=BB45_9 Depth=1
	global_load_dwordx2 v[10:11], v[0:1], off
	s_waitcnt vmcnt(0)
	v_fmac_f64_e32 v[8:9], v[4:5], v[10:11]
	s_branch .LBB45_7
.LBB45_16:
	s_endpgm
	.section	.rodata,"a",@progbits
	.p2align	6, 0x0
	.amdhsa_kernel _ZN9rocsparseL21csrmvn_general_kernelILj256ELj4EliddddEEvbT2_NS_24const_host_device_scalarIT6_EEPKT1_S7_PKS1_PKT3_PKT4_S4_PT5_21rocsparse_index_base_b
		.amdhsa_group_segment_fixed_size 0
		.amdhsa_private_segment_fixed_size 0
		.amdhsa_kernarg_size 336
		.amdhsa_user_sgpr_count 6
		.amdhsa_user_sgpr_private_segment_buffer 1
		.amdhsa_user_sgpr_dispatch_ptr 0
		.amdhsa_user_sgpr_queue_ptr 0
		.amdhsa_user_sgpr_kernarg_segment_ptr 1
		.amdhsa_user_sgpr_dispatch_id 0
		.amdhsa_user_sgpr_flat_scratch_init 0
		.amdhsa_user_sgpr_kernarg_preload_length 0
		.amdhsa_user_sgpr_kernarg_preload_offset 0
		.amdhsa_user_sgpr_private_segment_size 0
		.amdhsa_uses_dynamic_stack 0
		.amdhsa_system_sgpr_private_segment_wavefront_offset 0
		.amdhsa_system_sgpr_workgroup_id_x 1
		.amdhsa_system_sgpr_workgroup_id_y 0
		.amdhsa_system_sgpr_workgroup_id_z 0
		.amdhsa_system_sgpr_workgroup_info 0
		.amdhsa_system_vgpr_workitem_id 0
		.amdhsa_next_free_vgpr 28
		.amdhsa_next_free_sgpr 24
		.amdhsa_accum_offset 28
		.amdhsa_reserve_vcc 1
		.amdhsa_reserve_flat_scratch 0
		.amdhsa_float_round_mode_32 0
		.amdhsa_float_round_mode_16_64 0
		.amdhsa_float_denorm_mode_32 3
		.amdhsa_float_denorm_mode_16_64 3
		.amdhsa_dx10_clamp 1
		.amdhsa_ieee_mode 1
		.amdhsa_fp16_overflow 0
		.amdhsa_tg_split 0
		.amdhsa_exception_fp_ieee_invalid_op 0
		.amdhsa_exception_fp_denorm_src 0
		.amdhsa_exception_fp_ieee_div_zero 0
		.amdhsa_exception_fp_ieee_overflow 0
		.amdhsa_exception_fp_ieee_underflow 0
		.amdhsa_exception_fp_ieee_inexact 0
		.amdhsa_exception_int_div_zero 0
	.end_amdhsa_kernel
	.section	.text._ZN9rocsparseL21csrmvn_general_kernelILj256ELj4EliddddEEvbT2_NS_24const_host_device_scalarIT6_EEPKT1_S7_PKS1_PKT3_PKT4_S4_PT5_21rocsparse_index_base_b,"axG",@progbits,_ZN9rocsparseL21csrmvn_general_kernelILj256ELj4EliddddEEvbT2_NS_24const_host_device_scalarIT6_EEPKT1_S7_PKS1_PKT3_PKT4_S4_PT5_21rocsparse_index_base_b,comdat
.Lfunc_end45:
	.size	_ZN9rocsparseL21csrmvn_general_kernelILj256ELj4EliddddEEvbT2_NS_24const_host_device_scalarIT6_EEPKT1_S7_PKS1_PKT3_PKT4_S4_PT5_21rocsparse_index_base_b, .Lfunc_end45-_ZN9rocsparseL21csrmvn_general_kernelILj256ELj4EliddddEEvbT2_NS_24const_host_device_scalarIT6_EEPKT1_S7_PKS1_PKT3_PKT4_S4_PT5_21rocsparse_index_base_b
                                        ; -- End function
	.section	.AMDGPU.csdata,"",@progbits
; Kernel info:
; codeLenInByte = 772
; NumSgprs: 28
; NumVgprs: 28
; NumAgprs: 0
; TotalNumVgprs: 28
; ScratchSize: 0
; MemoryBound: 1
; FloatMode: 240
; IeeeMode: 1
; LDSByteSize: 0 bytes/workgroup (compile time only)
; SGPRBlocks: 3
; VGPRBlocks: 3
; NumSGPRsForWavesPerEU: 28
; NumVGPRsForWavesPerEU: 28
; AccumOffset: 28
; Occupancy: 8
; WaveLimiterHint : 1
; COMPUTE_PGM_RSRC2:SCRATCH_EN: 0
; COMPUTE_PGM_RSRC2:USER_SGPR: 6
; COMPUTE_PGM_RSRC2:TRAP_HANDLER: 0
; COMPUTE_PGM_RSRC2:TGID_X_EN: 1
; COMPUTE_PGM_RSRC2:TGID_Y_EN: 0
; COMPUTE_PGM_RSRC2:TGID_Z_EN: 0
; COMPUTE_PGM_RSRC2:TIDIG_COMP_CNT: 0
; COMPUTE_PGM_RSRC3_GFX90A:ACCUM_OFFSET: 6
; COMPUTE_PGM_RSRC3_GFX90A:TG_SPLIT: 0
	.section	.text._ZN9rocsparseL21csrmvn_general_kernelILj256ELj8EliddddEEvbT2_NS_24const_host_device_scalarIT6_EEPKT1_S7_PKS1_PKT3_PKT4_S4_PT5_21rocsparse_index_base_b,"axG",@progbits,_ZN9rocsparseL21csrmvn_general_kernelILj256ELj8EliddddEEvbT2_NS_24const_host_device_scalarIT6_EEPKT1_S7_PKS1_PKT3_PKT4_S4_PT5_21rocsparse_index_base_b,comdat
	.globl	_ZN9rocsparseL21csrmvn_general_kernelILj256ELj8EliddddEEvbT2_NS_24const_host_device_scalarIT6_EEPKT1_S7_PKS1_PKT3_PKT4_S4_PT5_21rocsparse_index_base_b ; -- Begin function _ZN9rocsparseL21csrmvn_general_kernelILj256ELj8EliddddEEvbT2_NS_24const_host_device_scalarIT6_EEPKT1_S7_PKS1_PKT3_PKT4_S4_PT5_21rocsparse_index_base_b
	.p2align	8
	.type	_ZN9rocsparseL21csrmvn_general_kernelILj256ELj8EliddddEEvbT2_NS_24const_host_device_scalarIT6_EEPKT1_S7_PKS1_PKT3_PKT4_S4_PT5_21rocsparse_index_base_b,@function
_ZN9rocsparseL21csrmvn_general_kernelILj256ELj8EliddddEEvbT2_NS_24const_host_device_scalarIT6_EEPKT1_S7_PKS1_PKT3_PKT4_S4_PT5_21rocsparse_index_base_b: ; @_ZN9rocsparseL21csrmvn_general_kernelILj256ELj8EliddddEEvbT2_NS_24const_host_device_scalarIT6_EEPKT1_S7_PKS1_PKT3_PKT4_S4_PT5_21rocsparse_index_base_b
; %bb.0:
	s_load_dwordx2 s[20:21], s[4:5], 0x48
	s_load_dwordx4 s[16:19], s[4:5], 0x8
	s_load_dwordx2 s[0:1], s[4:5], 0x38
	s_waitcnt lgkmcnt(0)
	s_bitcmp1_b32 s21, 0
	s_cselect_b64 s[8:9], -1, 0
	s_xor_b64 s[2:3], s[8:9], -1
	s_and_b64 vcc, exec, s[8:9]
	v_pk_mov_b32 v[2:3], s[16:17], s[16:17] op_sel:[0,1]
	s_cbranch_vccnz .LBB46_2
; %bb.1:
	v_pk_mov_b32 v[2:3], s[16:17], s[16:17] op_sel:[0,1]
	flat_load_dwordx2 v[2:3], v[2:3]
.LBB46_2:
	s_andn2_b64 vcc, exec, s[2:3]
	v_pk_mov_b32 v[4:5], s[0:1], s[0:1] op_sel:[0,1]
	s_cbranch_vccnz .LBB46_4
; %bb.3:
	v_pk_mov_b32 v[4:5], s[0:1], s[0:1] op_sel:[0,1]
	flat_load_dwordx2 v[4:5], v[4:5]
.LBB46_4:
	s_waitcnt vmcnt(0) lgkmcnt(0)
	v_cmp_neq_f64_e32 vcc, 0, v[2:3]
	v_cmp_neq_f64_e64 s[0:1], 1.0, v[4:5]
	s_or_b64 s[0:1], vcc, s[0:1]
	s_and_saveexec_b64 s[2:3], s[0:1]
	s_cbranch_execz .LBB46_16
; %bb.5:
	s_load_dword s21, s[4:5], 0x4
	v_lshl_or_b32 v1, s6, 8, v0
	v_lshrrev_b32_e32 v6, 3, v1
	s_waitcnt lgkmcnt(0)
	v_cmp_gt_i32_e32 vcc, s21, v6
	s_and_b64 exec, exec, vcc
	s_cbranch_execz .LBB46_16
; %bb.6:
	s_load_dword s0, s[4:5], 0x50
	s_load_dwordx2 s[6:7], s[4:5], 0x40
	s_load_dwordx8 s[8:15], s[4:5], 0x18
	v_and_b32_e32 v0, 7, v0
	v_subrev_co_u32_e32 v18, vcc, s20, v0
	s_waitcnt lgkmcnt(0)
	s_lshl_b32 s22, s0, 5
	v_subb_co_u32_e64 v19, s[0:1], 0, 0, vcc
	s_ashr_i32 s1, s20, 31
	s_mov_b32 s0, s20
	s_lshl_b64 s[0:1], s[0:1], 3
	s_sub_u32 s23, s14, s0
	s_mov_b32 s2, 0
	s_subb_u32 s3, s15, s1
	v_cmp_eq_u32_e32 vcc, 7, v0
	s_mov_b64 s[4:5], 0
	v_cmp_neq_f64_e64 s[0:1], 0, v[4:5]
	v_mov_b32_e32 v20, s19
	v_mov_b32_e32 v21, s9
	;; [unrolled: 1-line block ×4, first 2 shown]
	s_branch .LBB46_9
.LBB46_7:                               ;   in Loop: Header=BB46_9 Depth=1
	s_or_b64 exec, exec, s[2:3]
	global_store_dwordx2 v[0:1], v[8:9], off
.LBB46_8:                               ;   in Loop: Header=BB46_9 Depth=1
	s_or_b64 exec, exec, s[14:15]
	v_add_u32_e32 v6, s22, v6
	v_cmp_le_i32_e64 s[2:3], s21, v6
	s_or_b64 s[4:5], s[2:3], s[4:5]
	s_andn2_b64 exec, exec, s[4:5]
	s_cbranch_execz .LBB46_16
.LBB46_9:                               ; =>This Loop Header: Depth=1
                                        ;     Child Loop BB46_11 Depth 2
	v_ashrrev_i32_e32 v7, 31, v6
	v_lshlrev_b64 v[0:1], 3, v[6:7]
	v_add_co_u32_e64 v8, s[2:3], s8, v0
	v_addc_co_u32_e64 v9, s[2:3], v21, v1, s[2:3]
	global_load_dwordx2 v[8:9], v[8:9], off
	v_add_co_u32_e64 v10, s[2:3], s18, v0
	v_addc_co_u32_e64 v11, s[2:3], v20, v1, s[2:3]
	global_load_dwordx2 v[10:11], v[10:11], off
	v_pk_mov_b32 v[12:13], 0, 0
	s_waitcnt vmcnt(1)
	v_subrev_co_u32_e64 v8, s[2:3], s20, v8
	v_subb_co_u32_e64 v9, s[2:3], v9, v22, s[2:3]
	s_waitcnt vmcnt(0)
	v_add_co_u32_e64 v10, s[2:3], v10, v18
	v_addc_co_u32_e64 v11, s[2:3], v11, v19, s[2:3]
	v_cmp_lt_i64_e64 s[2:3], v[10:11], v[8:9]
	s_and_saveexec_b64 s[14:15], s[2:3]
	s_cbranch_execz .LBB46_13
; %bb.10:                               ;   in Loop: Header=BB46_9 Depth=1
	v_lshlrev_b64 v[12:13], 3, v[10:11]
	v_mov_b32_e32 v7, s13
	v_add_co_u32_e64 v14, s[2:3], s12, v12
	v_addc_co_u32_e64 v15, s[2:3], v7, v13, s[2:3]
	v_lshlrev_b64 v[12:13], 2, v[10:11]
	v_mov_b32_e32 v7, s11
	v_add_co_u32_e64 v16, s[2:3], s10, v12
	v_addc_co_u32_e64 v17, s[2:3], v7, v13, s[2:3]
	s_mov_b64 s[16:17], 0
	v_pk_mov_b32 v[12:13], 0, 0
.LBB46_11:                              ;   Parent Loop BB46_9 Depth=1
                                        ; =>  This Inner Loop Header: Depth=2
	global_load_dword v24, v[16:17], off
	global_load_dwordx2 v[26:27], v[14:15], off
	s_waitcnt vmcnt(1)
	v_ashrrev_i32_e32 v25, 31, v24
	v_lshlrev_b64 v[24:25], 3, v[24:25]
	v_add_co_u32_e64 v24, s[2:3], s23, v24
	v_addc_co_u32_e64 v25, s[2:3], v23, v25, s[2:3]
	global_load_dwordx2 v[24:25], v[24:25], off
	v_add_co_u32_e64 v10, s[2:3], 8, v10
	v_addc_co_u32_e64 v11, s[2:3], 0, v11, s[2:3]
	v_add_co_u32_e64 v14, s[2:3], 64, v14
	v_addc_co_u32_e64 v15, s[2:3], 0, v15, s[2:3]
	;; [unrolled: 2-line block ×3, first 2 shown]
	v_cmp_ge_i64_e64 s[2:3], v[10:11], v[8:9]
	s_waitcnt vmcnt(1)
	v_mul_f64 v[26:27], v[2:3], v[26:27]
	s_or_b64 s[16:17], s[2:3], s[16:17]
	s_waitcnt vmcnt(0)
	v_fmac_f64_e32 v[12:13], v[26:27], v[24:25]
	s_andn2_b64 exec, exec, s[16:17]
	s_cbranch_execnz .LBB46_11
; %bb.12:                               ;   in Loop: Header=BB46_9 Depth=1
	s_or_b64 exec, exec, s[16:17]
.LBB46_13:                              ;   in Loop: Header=BB46_9 Depth=1
	s_or_b64 exec, exec, s[14:15]
	v_mov_b32_dpp v8, v12 row_shr:1 row_mask:0xf bank_mask:0xf
	v_mov_b32_dpp v9, v13 row_shr:1 row_mask:0xf bank_mask:0xf
	v_add_f64 v[8:9], v[12:13], v[8:9]
	s_nop 1
	v_mov_b32_dpp v10, v8 row_shr:2 row_mask:0xf bank_mask:0xf
	v_mov_b32_dpp v11, v9 row_shr:2 row_mask:0xf bank_mask:0xf
	v_add_f64 v[8:9], v[8:9], v[10:11]
	s_nop 1
	v_mov_b32_dpp v10, v8 row_shr:4 row_mask:0xf bank_mask:0xe
	v_mov_b32_dpp v11, v9 row_shr:4 row_mask:0xf bank_mask:0xe
	s_and_saveexec_b64 s[14:15], vcc
	s_cbranch_execz .LBB46_8
; %bb.14:                               ;   in Loop: Header=BB46_9 Depth=1
	v_mov_b32_e32 v7, s7
	v_add_co_u32_e64 v0, s[2:3], s6, v0
	v_add_f64 v[8:9], v[8:9], v[10:11]
	v_addc_co_u32_e64 v1, s[2:3], v7, v1, s[2:3]
	s_and_saveexec_b64 s[2:3], s[0:1]
	s_cbranch_execz .LBB46_7
; %bb.15:                               ;   in Loop: Header=BB46_9 Depth=1
	global_load_dwordx2 v[10:11], v[0:1], off
	s_waitcnt vmcnt(0)
	v_fmac_f64_e32 v[8:9], v[4:5], v[10:11]
	s_branch .LBB46_7
.LBB46_16:
	s_endpgm
	.section	.rodata,"a",@progbits
	.p2align	6, 0x0
	.amdhsa_kernel _ZN9rocsparseL21csrmvn_general_kernelILj256ELj8EliddddEEvbT2_NS_24const_host_device_scalarIT6_EEPKT1_S7_PKS1_PKT3_PKT4_S4_PT5_21rocsparse_index_base_b
		.amdhsa_group_segment_fixed_size 0
		.amdhsa_private_segment_fixed_size 0
		.amdhsa_kernarg_size 336
		.amdhsa_user_sgpr_count 6
		.amdhsa_user_sgpr_private_segment_buffer 1
		.amdhsa_user_sgpr_dispatch_ptr 0
		.amdhsa_user_sgpr_queue_ptr 0
		.amdhsa_user_sgpr_kernarg_segment_ptr 1
		.amdhsa_user_sgpr_dispatch_id 0
		.amdhsa_user_sgpr_flat_scratch_init 0
		.amdhsa_user_sgpr_kernarg_preload_length 0
		.amdhsa_user_sgpr_kernarg_preload_offset 0
		.amdhsa_user_sgpr_private_segment_size 0
		.amdhsa_uses_dynamic_stack 0
		.amdhsa_system_sgpr_private_segment_wavefront_offset 0
		.amdhsa_system_sgpr_workgroup_id_x 1
		.amdhsa_system_sgpr_workgroup_id_y 0
		.amdhsa_system_sgpr_workgroup_id_z 0
		.amdhsa_system_sgpr_workgroup_info 0
		.amdhsa_system_vgpr_workitem_id 0
		.amdhsa_next_free_vgpr 28
		.amdhsa_next_free_sgpr 24
		.amdhsa_accum_offset 28
		.amdhsa_reserve_vcc 1
		.amdhsa_reserve_flat_scratch 0
		.amdhsa_float_round_mode_32 0
		.amdhsa_float_round_mode_16_64 0
		.amdhsa_float_denorm_mode_32 3
		.amdhsa_float_denorm_mode_16_64 3
		.amdhsa_dx10_clamp 1
		.amdhsa_ieee_mode 1
		.amdhsa_fp16_overflow 0
		.amdhsa_tg_split 0
		.amdhsa_exception_fp_ieee_invalid_op 0
		.amdhsa_exception_fp_denorm_src 0
		.amdhsa_exception_fp_ieee_div_zero 0
		.amdhsa_exception_fp_ieee_overflow 0
		.amdhsa_exception_fp_ieee_underflow 0
		.amdhsa_exception_fp_ieee_inexact 0
		.amdhsa_exception_int_div_zero 0
	.end_amdhsa_kernel
	.section	.text._ZN9rocsparseL21csrmvn_general_kernelILj256ELj8EliddddEEvbT2_NS_24const_host_device_scalarIT6_EEPKT1_S7_PKS1_PKT3_PKT4_S4_PT5_21rocsparse_index_base_b,"axG",@progbits,_ZN9rocsparseL21csrmvn_general_kernelILj256ELj8EliddddEEvbT2_NS_24const_host_device_scalarIT6_EEPKT1_S7_PKS1_PKT3_PKT4_S4_PT5_21rocsparse_index_base_b,comdat
.Lfunc_end46:
	.size	_ZN9rocsparseL21csrmvn_general_kernelILj256ELj8EliddddEEvbT2_NS_24const_host_device_scalarIT6_EEPKT1_S7_PKS1_PKT3_PKT4_S4_PT5_21rocsparse_index_base_b, .Lfunc_end46-_ZN9rocsparseL21csrmvn_general_kernelILj256ELj8EliddddEEvbT2_NS_24const_host_device_scalarIT6_EEPKT1_S7_PKS1_PKT3_PKT4_S4_PT5_21rocsparse_index_base_b
                                        ; -- End function
	.section	.AMDGPU.csdata,"",@progbits
; Kernel info:
; codeLenInByte = 800
; NumSgprs: 28
; NumVgprs: 28
; NumAgprs: 0
; TotalNumVgprs: 28
; ScratchSize: 0
; MemoryBound: 1
; FloatMode: 240
; IeeeMode: 1
; LDSByteSize: 0 bytes/workgroup (compile time only)
; SGPRBlocks: 3
; VGPRBlocks: 3
; NumSGPRsForWavesPerEU: 28
; NumVGPRsForWavesPerEU: 28
; AccumOffset: 28
; Occupancy: 8
; WaveLimiterHint : 1
; COMPUTE_PGM_RSRC2:SCRATCH_EN: 0
; COMPUTE_PGM_RSRC2:USER_SGPR: 6
; COMPUTE_PGM_RSRC2:TRAP_HANDLER: 0
; COMPUTE_PGM_RSRC2:TGID_X_EN: 1
; COMPUTE_PGM_RSRC2:TGID_Y_EN: 0
; COMPUTE_PGM_RSRC2:TGID_Z_EN: 0
; COMPUTE_PGM_RSRC2:TIDIG_COMP_CNT: 0
; COMPUTE_PGM_RSRC3_GFX90A:ACCUM_OFFSET: 6
; COMPUTE_PGM_RSRC3_GFX90A:TG_SPLIT: 0
	.section	.text._ZN9rocsparseL21csrmvn_general_kernelILj256ELj16EliddddEEvbT2_NS_24const_host_device_scalarIT6_EEPKT1_S7_PKS1_PKT3_PKT4_S4_PT5_21rocsparse_index_base_b,"axG",@progbits,_ZN9rocsparseL21csrmvn_general_kernelILj256ELj16EliddddEEvbT2_NS_24const_host_device_scalarIT6_EEPKT1_S7_PKS1_PKT3_PKT4_S4_PT5_21rocsparse_index_base_b,comdat
	.globl	_ZN9rocsparseL21csrmvn_general_kernelILj256ELj16EliddddEEvbT2_NS_24const_host_device_scalarIT6_EEPKT1_S7_PKS1_PKT3_PKT4_S4_PT5_21rocsparse_index_base_b ; -- Begin function _ZN9rocsparseL21csrmvn_general_kernelILj256ELj16EliddddEEvbT2_NS_24const_host_device_scalarIT6_EEPKT1_S7_PKS1_PKT3_PKT4_S4_PT5_21rocsparse_index_base_b
	.p2align	8
	.type	_ZN9rocsparseL21csrmvn_general_kernelILj256ELj16EliddddEEvbT2_NS_24const_host_device_scalarIT6_EEPKT1_S7_PKS1_PKT3_PKT4_S4_PT5_21rocsparse_index_base_b,@function
_ZN9rocsparseL21csrmvn_general_kernelILj256ELj16EliddddEEvbT2_NS_24const_host_device_scalarIT6_EEPKT1_S7_PKS1_PKT3_PKT4_S4_PT5_21rocsparse_index_base_b: ; @_ZN9rocsparseL21csrmvn_general_kernelILj256ELj16EliddddEEvbT2_NS_24const_host_device_scalarIT6_EEPKT1_S7_PKS1_PKT3_PKT4_S4_PT5_21rocsparse_index_base_b
; %bb.0:
	s_load_dwordx2 s[20:21], s[4:5], 0x48
	s_load_dwordx4 s[16:19], s[4:5], 0x8
	s_load_dwordx2 s[0:1], s[4:5], 0x38
	s_waitcnt lgkmcnt(0)
	s_bitcmp1_b32 s21, 0
	s_cselect_b64 s[8:9], -1, 0
	s_xor_b64 s[2:3], s[8:9], -1
	s_and_b64 vcc, exec, s[8:9]
	v_pk_mov_b32 v[2:3], s[16:17], s[16:17] op_sel:[0,1]
	s_cbranch_vccnz .LBB47_2
; %bb.1:
	v_pk_mov_b32 v[2:3], s[16:17], s[16:17] op_sel:[0,1]
	flat_load_dwordx2 v[2:3], v[2:3]
.LBB47_2:
	s_andn2_b64 vcc, exec, s[2:3]
	v_pk_mov_b32 v[4:5], s[0:1], s[0:1] op_sel:[0,1]
	s_cbranch_vccnz .LBB47_4
; %bb.3:
	v_pk_mov_b32 v[4:5], s[0:1], s[0:1] op_sel:[0,1]
	flat_load_dwordx2 v[4:5], v[4:5]
.LBB47_4:
	s_waitcnt vmcnt(0) lgkmcnt(0)
	v_cmp_neq_f64_e32 vcc, 0, v[2:3]
	v_cmp_neq_f64_e64 s[0:1], 1.0, v[4:5]
	s_or_b64 s[0:1], vcc, s[0:1]
	s_and_saveexec_b64 s[2:3], s[0:1]
	s_cbranch_execz .LBB47_16
; %bb.5:
	s_load_dword s21, s[4:5], 0x4
	v_lshl_or_b32 v1, s6, 8, v0
	v_lshrrev_b32_e32 v6, 4, v1
	s_waitcnt lgkmcnt(0)
	v_cmp_gt_i32_e32 vcc, s21, v6
	s_and_b64 exec, exec, vcc
	s_cbranch_execz .LBB47_16
; %bb.6:
	s_load_dword s0, s[4:5], 0x50
	s_load_dwordx2 s[6:7], s[4:5], 0x40
	s_load_dwordx8 s[8:15], s[4:5], 0x18
	v_and_b32_e32 v0, 15, v0
	v_subrev_co_u32_e32 v18, vcc, s20, v0
	s_waitcnt lgkmcnt(0)
	s_lshl_b32 s24, s0, 4
	v_subb_co_u32_e64 v19, s[0:1], 0, 0, vcc
	s_ashr_i32 s1, s20, 31
	s_mov_b32 s0, s20
	s_lshl_b64 s[0:1], s[0:1], 3
	s_sub_u32 s25, s14, s0
	s_mov_b32 s4, 0
	s_subb_u32 s5, s15, s1
	v_cmp_eq_u32_e64 s[0:1], 15, v0
	s_mov_b64 s[14:15], 0
	v_cmp_neq_f64_e64 s[2:3], 0, v[4:5]
	v_mov_b32_e32 v20, s19
	v_mov_b32_e32 v21, s9
	v_mov_b32_e32 v22, s4
	v_mov_b32_e32 v23, s5
	s_branch .LBB47_9
.LBB47_7:                               ;   in Loop: Header=BB47_9 Depth=1
	s_or_b64 exec, exec, s[16:17]
	global_store_dwordx2 v[0:1], v[8:9], off
.LBB47_8:                               ;   in Loop: Header=BB47_9 Depth=1
	s_or_b64 exec, exec, s[4:5]
	v_add_u32_e32 v6, s24, v6
	v_cmp_le_i32_e32 vcc, s21, v6
	s_or_b64 s[14:15], vcc, s[14:15]
	s_andn2_b64 exec, exec, s[14:15]
	s_cbranch_execz .LBB47_16
.LBB47_9:                               ; =>This Loop Header: Depth=1
                                        ;     Child Loop BB47_11 Depth 2
	v_ashrrev_i32_e32 v7, 31, v6
	v_lshlrev_b64 v[0:1], 3, v[6:7]
	v_add_co_u32_e32 v8, vcc, s8, v0
	v_addc_co_u32_e32 v9, vcc, v21, v1, vcc
	global_load_dwordx2 v[8:9], v[8:9], off
	v_add_co_u32_e32 v10, vcc, s18, v0
	v_addc_co_u32_e32 v11, vcc, v20, v1, vcc
	global_load_dwordx2 v[10:11], v[10:11], off
	v_pk_mov_b32 v[12:13], 0, 0
	s_waitcnt vmcnt(1)
	v_subrev_co_u32_e32 v8, vcc, s20, v8
	v_subb_co_u32_e32 v9, vcc, v9, v22, vcc
	s_waitcnt vmcnt(0)
	v_add_co_u32_e32 v10, vcc, v10, v18
	v_addc_co_u32_e32 v11, vcc, v11, v19, vcc
	v_cmp_lt_i64_e32 vcc, v[10:11], v[8:9]
	s_and_saveexec_b64 s[16:17], vcc
	s_cbranch_execz .LBB47_13
; %bb.10:                               ;   in Loop: Header=BB47_9 Depth=1
	v_lshlrev_b64 v[12:13], 3, v[10:11]
	v_mov_b32_e32 v7, s13
	v_add_co_u32_e32 v14, vcc, s12, v12
	v_addc_co_u32_e32 v15, vcc, v7, v13, vcc
	v_lshlrev_b64 v[12:13], 2, v[10:11]
	v_mov_b32_e32 v7, s11
	v_add_co_u32_e32 v16, vcc, s10, v12
	v_addc_co_u32_e32 v17, vcc, v7, v13, vcc
	s_mov_b64 s[22:23], 0
	v_pk_mov_b32 v[12:13], 0, 0
.LBB47_11:                              ;   Parent Loop BB47_9 Depth=1
                                        ; =>  This Inner Loop Header: Depth=2
	global_load_dword v24, v[16:17], off
	global_load_dwordx2 v[26:27], v[14:15], off
	v_add_co_u32_e64 v16, s[4:5], 64, v16
	v_addc_co_u32_e64 v17, s[4:5], 0, v17, s[4:5]
	s_waitcnt vmcnt(1)
	v_ashrrev_i32_e32 v25, 31, v24
	v_lshlrev_b64 v[24:25], 3, v[24:25]
	v_add_co_u32_e32 v24, vcc, s25, v24
	v_addc_co_u32_e32 v25, vcc, v23, v25, vcc
	global_load_dwordx2 v[24:25], v[24:25], off
	v_add_co_u32_e32 v10, vcc, 16, v10
	v_addc_co_u32_e32 v11, vcc, 0, v11, vcc
	v_add_co_u32_e32 v14, vcc, 0x80, v14
	v_addc_co_u32_e32 v15, vcc, 0, v15, vcc
	v_cmp_ge_i64_e32 vcc, v[10:11], v[8:9]
	s_waitcnt vmcnt(1)
	v_mul_f64 v[26:27], v[2:3], v[26:27]
	s_or_b64 s[22:23], vcc, s[22:23]
	s_waitcnt vmcnt(0)
	v_fmac_f64_e32 v[12:13], v[26:27], v[24:25]
	s_andn2_b64 exec, exec, s[22:23]
	s_cbranch_execnz .LBB47_11
; %bb.12:                               ;   in Loop: Header=BB47_9 Depth=1
	s_or_b64 exec, exec, s[22:23]
.LBB47_13:                              ;   in Loop: Header=BB47_9 Depth=1
	s_or_b64 exec, exec, s[16:17]
	v_mov_b32_dpp v8, v12 row_shr:1 row_mask:0xf bank_mask:0xf
	v_mov_b32_dpp v9, v13 row_shr:1 row_mask:0xf bank_mask:0xf
	v_add_f64 v[8:9], v[12:13], v[8:9]
	s_nop 1
	v_mov_b32_dpp v10, v8 row_shr:2 row_mask:0xf bank_mask:0xf
	v_mov_b32_dpp v11, v9 row_shr:2 row_mask:0xf bank_mask:0xf
	v_add_f64 v[8:9], v[8:9], v[10:11]
	s_nop 1
	;; [unrolled: 4-line block ×3, first 2 shown]
	v_mov_b32_dpp v10, v8 row_shr:8 row_mask:0xf bank_mask:0xc
	v_mov_b32_dpp v11, v9 row_shr:8 row_mask:0xf bank_mask:0xc
	s_and_saveexec_b64 s[4:5], s[0:1]
	s_cbranch_execz .LBB47_8
; %bb.14:                               ;   in Loop: Header=BB47_9 Depth=1
	v_mov_b32_e32 v7, s7
	v_add_co_u32_e32 v0, vcc, s6, v0
	v_add_f64 v[8:9], v[8:9], v[10:11]
	v_addc_co_u32_e32 v1, vcc, v7, v1, vcc
	s_and_saveexec_b64 s[16:17], s[2:3]
	s_cbranch_execz .LBB47_7
; %bb.15:                               ;   in Loop: Header=BB47_9 Depth=1
	global_load_dwordx2 v[10:11], v[0:1], off
	s_waitcnt vmcnt(0)
	v_fmac_f64_e32 v[8:9], v[4:5], v[10:11]
	s_branch .LBB47_7
.LBB47_16:
	s_endpgm
	.section	.rodata,"a",@progbits
	.p2align	6, 0x0
	.amdhsa_kernel _ZN9rocsparseL21csrmvn_general_kernelILj256ELj16EliddddEEvbT2_NS_24const_host_device_scalarIT6_EEPKT1_S7_PKS1_PKT3_PKT4_S4_PT5_21rocsparse_index_base_b
		.amdhsa_group_segment_fixed_size 0
		.amdhsa_private_segment_fixed_size 0
		.amdhsa_kernarg_size 336
		.amdhsa_user_sgpr_count 6
		.amdhsa_user_sgpr_private_segment_buffer 1
		.amdhsa_user_sgpr_dispatch_ptr 0
		.amdhsa_user_sgpr_queue_ptr 0
		.amdhsa_user_sgpr_kernarg_segment_ptr 1
		.amdhsa_user_sgpr_dispatch_id 0
		.amdhsa_user_sgpr_flat_scratch_init 0
		.amdhsa_user_sgpr_kernarg_preload_length 0
		.amdhsa_user_sgpr_kernarg_preload_offset 0
		.amdhsa_user_sgpr_private_segment_size 0
		.amdhsa_uses_dynamic_stack 0
		.amdhsa_system_sgpr_private_segment_wavefront_offset 0
		.amdhsa_system_sgpr_workgroup_id_x 1
		.amdhsa_system_sgpr_workgroup_id_y 0
		.amdhsa_system_sgpr_workgroup_id_z 0
		.amdhsa_system_sgpr_workgroup_info 0
		.amdhsa_system_vgpr_workitem_id 0
		.amdhsa_next_free_vgpr 28
		.amdhsa_next_free_sgpr 26
		.amdhsa_accum_offset 28
		.amdhsa_reserve_vcc 1
		.amdhsa_reserve_flat_scratch 0
		.amdhsa_float_round_mode_32 0
		.amdhsa_float_round_mode_16_64 0
		.amdhsa_float_denorm_mode_32 3
		.amdhsa_float_denorm_mode_16_64 3
		.amdhsa_dx10_clamp 1
		.amdhsa_ieee_mode 1
		.amdhsa_fp16_overflow 0
		.amdhsa_tg_split 0
		.amdhsa_exception_fp_ieee_invalid_op 0
		.amdhsa_exception_fp_denorm_src 0
		.amdhsa_exception_fp_ieee_div_zero 0
		.amdhsa_exception_fp_ieee_overflow 0
		.amdhsa_exception_fp_ieee_underflow 0
		.amdhsa_exception_fp_ieee_inexact 0
		.amdhsa_exception_int_div_zero 0
	.end_amdhsa_kernel
	.section	.text._ZN9rocsparseL21csrmvn_general_kernelILj256ELj16EliddddEEvbT2_NS_24const_host_device_scalarIT6_EEPKT1_S7_PKS1_PKT3_PKT4_S4_PT5_21rocsparse_index_base_b,"axG",@progbits,_ZN9rocsparseL21csrmvn_general_kernelILj256ELj16EliddddEEvbT2_NS_24const_host_device_scalarIT6_EEPKT1_S7_PKS1_PKT3_PKT4_S4_PT5_21rocsparse_index_base_b,comdat
.Lfunc_end47:
	.size	_ZN9rocsparseL21csrmvn_general_kernelILj256ELj16EliddddEEvbT2_NS_24const_host_device_scalarIT6_EEPKT1_S7_PKS1_PKT3_PKT4_S4_PT5_21rocsparse_index_base_b, .Lfunc_end47-_ZN9rocsparseL21csrmvn_general_kernelILj256ELj16EliddddEEvbT2_NS_24const_host_device_scalarIT6_EEPKT1_S7_PKS1_PKT3_PKT4_S4_PT5_21rocsparse_index_base_b
                                        ; -- End function
	.section	.AMDGPU.csdata,"",@progbits
; Kernel info:
; codeLenInByte = 744
; NumSgprs: 30
; NumVgprs: 28
; NumAgprs: 0
; TotalNumVgprs: 28
; ScratchSize: 0
; MemoryBound: 1
; FloatMode: 240
; IeeeMode: 1
; LDSByteSize: 0 bytes/workgroup (compile time only)
; SGPRBlocks: 3
; VGPRBlocks: 3
; NumSGPRsForWavesPerEU: 30
; NumVGPRsForWavesPerEU: 28
; AccumOffset: 28
; Occupancy: 8
; WaveLimiterHint : 1
; COMPUTE_PGM_RSRC2:SCRATCH_EN: 0
; COMPUTE_PGM_RSRC2:USER_SGPR: 6
; COMPUTE_PGM_RSRC2:TRAP_HANDLER: 0
; COMPUTE_PGM_RSRC2:TGID_X_EN: 1
; COMPUTE_PGM_RSRC2:TGID_Y_EN: 0
; COMPUTE_PGM_RSRC2:TGID_Z_EN: 0
; COMPUTE_PGM_RSRC2:TIDIG_COMP_CNT: 0
; COMPUTE_PGM_RSRC3_GFX90A:ACCUM_OFFSET: 6
; COMPUTE_PGM_RSRC3_GFX90A:TG_SPLIT: 0
	.section	.text._ZN9rocsparseL21csrmvn_general_kernelILj256ELj32EliddddEEvbT2_NS_24const_host_device_scalarIT6_EEPKT1_S7_PKS1_PKT3_PKT4_S4_PT5_21rocsparse_index_base_b,"axG",@progbits,_ZN9rocsparseL21csrmvn_general_kernelILj256ELj32EliddddEEvbT2_NS_24const_host_device_scalarIT6_EEPKT1_S7_PKS1_PKT3_PKT4_S4_PT5_21rocsparse_index_base_b,comdat
	.globl	_ZN9rocsparseL21csrmvn_general_kernelILj256ELj32EliddddEEvbT2_NS_24const_host_device_scalarIT6_EEPKT1_S7_PKS1_PKT3_PKT4_S4_PT5_21rocsparse_index_base_b ; -- Begin function _ZN9rocsparseL21csrmvn_general_kernelILj256ELj32EliddddEEvbT2_NS_24const_host_device_scalarIT6_EEPKT1_S7_PKS1_PKT3_PKT4_S4_PT5_21rocsparse_index_base_b
	.p2align	8
	.type	_ZN9rocsparseL21csrmvn_general_kernelILj256ELj32EliddddEEvbT2_NS_24const_host_device_scalarIT6_EEPKT1_S7_PKS1_PKT3_PKT4_S4_PT5_21rocsparse_index_base_b,@function
_ZN9rocsparseL21csrmvn_general_kernelILj256ELj32EliddddEEvbT2_NS_24const_host_device_scalarIT6_EEPKT1_S7_PKS1_PKT3_PKT4_S4_PT5_21rocsparse_index_base_b: ; @_ZN9rocsparseL21csrmvn_general_kernelILj256ELj32EliddddEEvbT2_NS_24const_host_device_scalarIT6_EEPKT1_S7_PKS1_PKT3_PKT4_S4_PT5_21rocsparse_index_base_b
; %bb.0:
	s_load_dwordx2 s[20:21], s[4:5], 0x48
	s_load_dwordx4 s[16:19], s[4:5], 0x8
	s_load_dwordx2 s[0:1], s[4:5], 0x38
	s_waitcnt lgkmcnt(0)
	s_bitcmp1_b32 s21, 0
	s_cselect_b64 s[8:9], -1, 0
	s_xor_b64 s[2:3], s[8:9], -1
	s_and_b64 vcc, exec, s[8:9]
	v_pk_mov_b32 v[2:3], s[16:17], s[16:17] op_sel:[0,1]
	s_cbranch_vccnz .LBB48_2
; %bb.1:
	v_pk_mov_b32 v[2:3], s[16:17], s[16:17] op_sel:[0,1]
	flat_load_dwordx2 v[2:3], v[2:3]
.LBB48_2:
	s_andn2_b64 vcc, exec, s[2:3]
	v_pk_mov_b32 v[4:5], s[0:1], s[0:1] op_sel:[0,1]
	s_cbranch_vccnz .LBB48_4
; %bb.3:
	v_pk_mov_b32 v[4:5], s[0:1], s[0:1] op_sel:[0,1]
	flat_load_dwordx2 v[4:5], v[4:5]
.LBB48_4:
	s_waitcnt vmcnt(0) lgkmcnt(0)
	v_cmp_neq_f64_e32 vcc, 0, v[2:3]
	v_cmp_neq_f64_e64 s[0:1], 1.0, v[4:5]
	s_or_b64 s[0:1], vcc, s[0:1]
	s_and_saveexec_b64 s[2:3], s[0:1]
	s_cbranch_execz .LBB48_16
; %bb.5:
	s_load_dword s21, s[4:5], 0x4
	v_lshl_or_b32 v1, s6, 8, v0
	v_lshrrev_b32_e32 v6, 5, v1
	s_waitcnt lgkmcnt(0)
	v_cmp_gt_i32_e32 vcc, s21, v6
	s_and_b64 exec, exec, vcc
	s_cbranch_execz .LBB48_16
; %bb.6:
	s_load_dword s0, s[4:5], 0x50
	s_load_dwordx2 s[6:7], s[4:5], 0x40
	s_load_dwordx8 s[8:15], s[4:5], 0x18
	v_and_b32_e32 v0, 31, v0
	v_subrev_co_u32_e32 v18, vcc, s20, v0
	s_waitcnt lgkmcnt(0)
	s_lshl_b32 s24, s0, 3
	v_subb_co_u32_e64 v19, s[0:1], 0, 0, vcc
	s_ashr_i32 s1, s20, 31
	s_mov_b32 s0, s20
	s_lshl_b64 s[0:1], s[0:1], 3
	s_sub_u32 s25, s14, s0
	s_mov_b32 s4, 0
	s_subb_u32 s5, s15, s1
	v_cmp_eq_u32_e64 s[0:1], 31, v0
	s_mov_b64 s[14:15], 0
	v_cmp_neq_f64_e64 s[2:3], 0, v[4:5]
	v_mov_b32_e32 v20, s19
	v_mov_b32_e32 v21, s9
	v_mov_b32_e32 v22, s4
	v_mov_b32_e32 v23, s5
	s_branch .LBB48_9
.LBB48_7:                               ;   in Loop: Header=BB48_9 Depth=1
	s_or_b64 exec, exec, s[16:17]
	global_store_dwordx2 v[0:1], v[8:9], off
.LBB48_8:                               ;   in Loop: Header=BB48_9 Depth=1
	s_or_b64 exec, exec, s[4:5]
	v_add_u32_e32 v6, s24, v6
	v_cmp_le_i32_e32 vcc, s21, v6
	s_or_b64 s[14:15], vcc, s[14:15]
	s_andn2_b64 exec, exec, s[14:15]
	s_cbranch_execz .LBB48_16
.LBB48_9:                               ; =>This Loop Header: Depth=1
                                        ;     Child Loop BB48_11 Depth 2
	v_ashrrev_i32_e32 v7, 31, v6
	v_lshlrev_b64 v[0:1], 3, v[6:7]
	v_add_co_u32_e32 v8, vcc, s8, v0
	v_addc_co_u32_e32 v9, vcc, v21, v1, vcc
	global_load_dwordx2 v[8:9], v[8:9], off
	v_add_co_u32_e32 v10, vcc, s18, v0
	v_addc_co_u32_e32 v11, vcc, v20, v1, vcc
	global_load_dwordx2 v[10:11], v[10:11], off
	v_pk_mov_b32 v[12:13], 0, 0
	s_waitcnt vmcnt(1)
	v_subrev_co_u32_e32 v8, vcc, s20, v8
	v_subb_co_u32_e32 v9, vcc, v9, v22, vcc
	s_waitcnt vmcnt(0)
	v_add_co_u32_e32 v10, vcc, v10, v18
	v_addc_co_u32_e32 v11, vcc, v11, v19, vcc
	v_cmp_lt_i64_e32 vcc, v[10:11], v[8:9]
	s_and_saveexec_b64 s[16:17], vcc
	s_cbranch_execz .LBB48_13
; %bb.10:                               ;   in Loop: Header=BB48_9 Depth=1
	v_lshlrev_b64 v[12:13], 3, v[10:11]
	v_mov_b32_e32 v7, s13
	v_add_co_u32_e32 v14, vcc, s12, v12
	v_addc_co_u32_e32 v15, vcc, v7, v13, vcc
	v_lshlrev_b64 v[12:13], 2, v[10:11]
	v_mov_b32_e32 v7, s11
	v_add_co_u32_e32 v16, vcc, s10, v12
	v_addc_co_u32_e32 v17, vcc, v7, v13, vcc
	s_mov_b64 s[22:23], 0
	v_pk_mov_b32 v[12:13], 0, 0
.LBB48_11:                              ;   Parent Loop BB48_9 Depth=1
                                        ; =>  This Inner Loop Header: Depth=2
	global_load_dword v24, v[16:17], off
	global_load_dwordx2 v[26:27], v[14:15], off
	s_waitcnt vmcnt(1)
	v_ashrrev_i32_e32 v25, 31, v24
	v_lshlrev_b64 v[24:25], 3, v[24:25]
	v_add_co_u32_e32 v24, vcc, s25, v24
	v_addc_co_u32_e32 v25, vcc, v23, v25, vcc
	global_load_dwordx2 v[24:25], v[24:25], off
	v_add_co_u32_e32 v10, vcc, 32, v10
	v_addc_co_u32_e32 v11, vcc, 0, v11, vcc
	v_add_co_u32_e32 v14, vcc, 0x100, v14
	v_addc_co_u32_e32 v15, vcc, 0, v15, vcc
	v_add_co_u32_e32 v16, vcc, 0x80, v16
	v_cmp_ge_i64_e64 s[4:5], v[10:11], v[8:9]
	s_waitcnt vmcnt(1)
	v_mul_f64 v[26:27], v[2:3], v[26:27]
	v_addc_co_u32_e32 v17, vcc, 0, v17, vcc
	s_or_b64 s[22:23], s[4:5], s[22:23]
	s_waitcnt vmcnt(0)
	v_fmac_f64_e32 v[12:13], v[26:27], v[24:25]
	s_andn2_b64 exec, exec, s[22:23]
	s_cbranch_execnz .LBB48_11
; %bb.12:                               ;   in Loop: Header=BB48_9 Depth=1
	s_or_b64 exec, exec, s[22:23]
.LBB48_13:                              ;   in Loop: Header=BB48_9 Depth=1
	s_or_b64 exec, exec, s[16:17]
	v_mov_b32_dpp v8, v12 row_shr:1 row_mask:0xf bank_mask:0xf
	v_mov_b32_dpp v9, v13 row_shr:1 row_mask:0xf bank_mask:0xf
	v_add_f64 v[8:9], v[12:13], v[8:9]
	s_nop 1
	v_mov_b32_dpp v10, v8 row_shr:2 row_mask:0xf bank_mask:0xf
	v_mov_b32_dpp v11, v9 row_shr:2 row_mask:0xf bank_mask:0xf
	v_add_f64 v[8:9], v[8:9], v[10:11]
	s_nop 1
	;; [unrolled: 4-line block ×4, first 2 shown]
	v_mov_b32_dpp v10, v8 row_bcast:15 row_mask:0xa bank_mask:0xf
	v_mov_b32_dpp v11, v9 row_bcast:15 row_mask:0xa bank_mask:0xf
	s_and_saveexec_b64 s[4:5], s[0:1]
	s_cbranch_execz .LBB48_8
; %bb.14:                               ;   in Loop: Header=BB48_9 Depth=1
	v_mov_b32_e32 v7, s7
	v_add_co_u32_e32 v0, vcc, s6, v0
	v_add_f64 v[8:9], v[8:9], v[10:11]
	v_addc_co_u32_e32 v1, vcc, v7, v1, vcc
	s_and_saveexec_b64 s[16:17], s[2:3]
	s_cbranch_execz .LBB48_7
; %bb.15:                               ;   in Loop: Header=BB48_9 Depth=1
	global_load_dwordx2 v[10:11], v[0:1], off
	s_waitcnt vmcnt(0)
	v_fmac_f64_e32 v[8:9], v[4:5], v[10:11]
	s_branch .LBB48_7
.LBB48_16:
	s_endpgm
	.section	.rodata,"a",@progbits
	.p2align	6, 0x0
	.amdhsa_kernel _ZN9rocsparseL21csrmvn_general_kernelILj256ELj32EliddddEEvbT2_NS_24const_host_device_scalarIT6_EEPKT1_S7_PKS1_PKT3_PKT4_S4_PT5_21rocsparse_index_base_b
		.amdhsa_group_segment_fixed_size 0
		.amdhsa_private_segment_fixed_size 0
		.amdhsa_kernarg_size 336
		.amdhsa_user_sgpr_count 6
		.amdhsa_user_sgpr_private_segment_buffer 1
		.amdhsa_user_sgpr_dispatch_ptr 0
		.amdhsa_user_sgpr_queue_ptr 0
		.amdhsa_user_sgpr_kernarg_segment_ptr 1
		.amdhsa_user_sgpr_dispatch_id 0
		.amdhsa_user_sgpr_flat_scratch_init 0
		.amdhsa_user_sgpr_kernarg_preload_length 0
		.amdhsa_user_sgpr_kernarg_preload_offset 0
		.amdhsa_user_sgpr_private_segment_size 0
		.amdhsa_uses_dynamic_stack 0
		.amdhsa_system_sgpr_private_segment_wavefront_offset 0
		.amdhsa_system_sgpr_workgroup_id_x 1
		.amdhsa_system_sgpr_workgroup_id_y 0
		.amdhsa_system_sgpr_workgroup_id_z 0
		.amdhsa_system_sgpr_workgroup_info 0
		.amdhsa_system_vgpr_workitem_id 0
		.amdhsa_next_free_vgpr 28
		.amdhsa_next_free_sgpr 26
		.amdhsa_accum_offset 28
		.amdhsa_reserve_vcc 1
		.amdhsa_reserve_flat_scratch 0
		.amdhsa_float_round_mode_32 0
		.amdhsa_float_round_mode_16_64 0
		.amdhsa_float_denorm_mode_32 3
		.amdhsa_float_denorm_mode_16_64 3
		.amdhsa_dx10_clamp 1
		.amdhsa_ieee_mode 1
		.amdhsa_fp16_overflow 0
		.amdhsa_tg_split 0
		.amdhsa_exception_fp_ieee_invalid_op 0
		.amdhsa_exception_fp_denorm_src 0
		.amdhsa_exception_fp_ieee_div_zero 0
		.amdhsa_exception_fp_ieee_overflow 0
		.amdhsa_exception_fp_ieee_underflow 0
		.amdhsa_exception_fp_ieee_inexact 0
		.amdhsa_exception_int_div_zero 0
	.end_amdhsa_kernel
	.section	.text._ZN9rocsparseL21csrmvn_general_kernelILj256ELj32EliddddEEvbT2_NS_24const_host_device_scalarIT6_EEPKT1_S7_PKS1_PKT3_PKT4_S4_PT5_21rocsparse_index_base_b,"axG",@progbits,_ZN9rocsparseL21csrmvn_general_kernelILj256ELj32EliddddEEvbT2_NS_24const_host_device_scalarIT6_EEPKT1_S7_PKS1_PKT3_PKT4_S4_PT5_21rocsparse_index_base_b,comdat
.Lfunc_end48:
	.size	_ZN9rocsparseL21csrmvn_general_kernelILj256ELj32EliddddEEvbT2_NS_24const_host_device_scalarIT6_EEPKT1_S7_PKS1_PKT3_PKT4_S4_PT5_21rocsparse_index_base_b, .Lfunc_end48-_ZN9rocsparseL21csrmvn_general_kernelILj256ELj32EliddddEEvbT2_NS_24const_host_device_scalarIT6_EEPKT1_S7_PKS1_PKT3_PKT4_S4_PT5_21rocsparse_index_base_b
                                        ; -- End function
	.section	.AMDGPU.csdata,"",@progbits
; Kernel info:
; codeLenInByte = 772
; NumSgprs: 30
; NumVgprs: 28
; NumAgprs: 0
; TotalNumVgprs: 28
; ScratchSize: 0
; MemoryBound: 1
; FloatMode: 240
; IeeeMode: 1
; LDSByteSize: 0 bytes/workgroup (compile time only)
; SGPRBlocks: 3
; VGPRBlocks: 3
; NumSGPRsForWavesPerEU: 30
; NumVGPRsForWavesPerEU: 28
; AccumOffset: 28
; Occupancy: 8
; WaveLimiterHint : 1
; COMPUTE_PGM_RSRC2:SCRATCH_EN: 0
; COMPUTE_PGM_RSRC2:USER_SGPR: 6
; COMPUTE_PGM_RSRC2:TRAP_HANDLER: 0
; COMPUTE_PGM_RSRC2:TGID_X_EN: 1
; COMPUTE_PGM_RSRC2:TGID_Y_EN: 0
; COMPUTE_PGM_RSRC2:TGID_Z_EN: 0
; COMPUTE_PGM_RSRC2:TIDIG_COMP_CNT: 0
; COMPUTE_PGM_RSRC3_GFX90A:ACCUM_OFFSET: 6
; COMPUTE_PGM_RSRC3_GFX90A:TG_SPLIT: 0
	.section	.text._ZN9rocsparseL21csrmvn_general_kernelILj256ELj64EliddddEEvbT2_NS_24const_host_device_scalarIT6_EEPKT1_S7_PKS1_PKT3_PKT4_S4_PT5_21rocsparse_index_base_b,"axG",@progbits,_ZN9rocsparseL21csrmvn_general_kernelILj256ELj64EliddddEEvbT2_NS_24const_host_device_scalarIT6_EEPKT1_S7_PKS1_PKT3_PKT4_S4_PT5_21rocsparse_index_base_b,comdat
	.globl	_ZN9rocsparseL21csrmvn_general_kernelILj256ELj64EliddddEEvbT2_NS_24const_host_device_scalarIT6_EEPKT1_S7_PKS1_PKT3_PKT4_S4_PT5_21rocsparse_index_base_b ; -- Begin function _ZN9rocsparseL21csrmvn_general_kernelILj256ELj64EliddddEEvbT2_NS_24const_host_device_scalarIT6_EEPKT1_S7_PKS1_PKT3_PKT4_S4_PT5_21rocsparse_index_base_b
	.p2align	8
	.type	_ZN9rocsparseL21csrmvn_general_kernelILj256ELj64EliddddEEvbT2_NS_24const_host_device_scalarIT6_EEPKT1_S7_PKS1_PKT3_PKT4_S4_PT5_21rocsparse_index_base_b,@function
_ZN9rocsparseL21csrmvn_general_kernelILj256ELj64EliddddEEvbT2_NS_24const_host_device_scalarIT6_EEPKT1_S7_PKS1_PKT3_PKT4_S4_PT5_21rocsparse_index_base_b: ; @_ZN9rocsparseL21csrmvn_general_kernelILj256ELj64EliddddEEvbT2_NS_24const_host_device_scalarIT6_EEPKT1_S7_PKS1_PKT3_PKT4_S4_PT5_21rocsparse_index_base_b
; %bb.0:
	s_load_dwordx2 s[20:21], s[4:5], 0x48
	s_load_dwordx4 s[16:19], s[4:5], 0x8
	s_load_dwordx2 s[0:1], s[4:5], 0x38
	s_waitcnt lgkmcnt(0)
	s_bitcmp1_b32 s21, 0
	s_cselect_b64 s[8:9], -1, 0
	s_xor_b64 s[2:3], s[8:9], -1
	s_and_b64 vcc, exec, s[8:9]
	v_pk_mov_b32 v[2:3], s[16:17], s[16:17] op_sel:[0,1]
	s_cbranch_vccnz .LBB49_2
; %bb.1:
	v_pk_mov_b32 v[2:3], s[16:17], s[16:17] op_sel:[0,1]
	flat_load_dwordx2 v[2:3], v[2:3]
.LBB49_2:
	s_andn2_b64 vcc, exec, s[2:3]
	v_pk_mov_b32 v[4:5], s[0:1], s[0:1] op_sel:[0,1]
	s_cbranch_vccnz .LBB49_4
; %bb.3:
	v_pk_mov_b32 v[4:5], s[0:1], s[0:1] op_sel:[0,1]
	flat_load_dwordx2 v[4:5], v[4:5]
.LBB49_4:
	s_waitcnt vmcnt(0) lgkmcnt(0)
	v_cmp_neq_f64_e32 vcc, 0, v[2:3]
	v_cmp_neq_f64_e64 s[0:1], 1.0, v[4:5]
	s_or_b64 s[0:1], vcc, s[0:1]
	s_and_saveexec_b64 s[2:3], s[0:1]
	s_cbranch_execz .LBB49_16
; %bb.5:
	s_load_dword s21, s[4:5], 0x4
	v_lshl_or_b32 v1, s6, 8, v0
	v_lshrrev_b32_e32 v6, 6, v1
	s_waitcnt lgkmcnt(0)
	v_cmp_gt_i32_e32 vcc, s21, v6
	s_and_b64 exec, exec, vcc
	s_cbranch_execz .LBB49_16
; %bb.6:
	s_load_dword s0, s[4:5], 0x50
	s_load_dwordx2 s[6:7], s[4:5], 0x40
	s_load_dwordx8 s[8:15], s[4:5], 0x18
	v_and_b32_e32 v0, 63, v0
	v_subrev_co_u32_e32 v18, vcc, s20, v0
	s_waitcnt lgkmcnt(0)
	s_lshl_b32 s24, s0, 2
	v_subb_co_u32_e64 v19, s[0:1], 0, 0, vcc
	s_ashr_i32 s1, s20, 31
	s_mov_b32 s0, s20
	s_lshl_b64 s[0:1], s[0:1], 3
	s_sub_u32 s25, s14, s0
	s_mov_b32 s4, 0
	s_subb_u32 s5, s15, s1
	v_cmp_eq_u32_e64 s[0:1], 63, v0
	s_mov_b64 s[14:15], 0
	v_cmp_neq_f64_e64 s[2:3], 0, v[4:5]
	v_mov_b32_e32 v20, s19
	v_mov_b32_e32 v21, s9
	;; [unrolled: 1-line block ×4, first 2 shown]
	s_branch .LBB49_9
.LBB49_7:                               ;   in Loop: Header=BB49_9 Depth=1
	s_or_b64 exec, exec, s[16:17]
	global_store_dwordx2 v[0:1], v[8:9], off
.LBB49_8:                               ;   in Loop: Header=BB49_9 Depth=1
	s_or_b64 exec, exec, s[4:5]
	v_add_u32_e32 v6, s24, v6
	v_cmp_le_i32_e32 vcc, s21, v6
	s_or_b64 s[14:15], vcc, s[14:15]
	s_andn2_b64 exec, exec, s[14:15]
	s_cbranch_execz .LBB49_16
.LBB49_9:                               ; =>This Loop Header: Depth=1
                                        ;     Child Loop BB49_11 Depth 2
	v_ashrrev_i32_e32 v7, 31, v6
	v_lshlrev_b64 v[0:1], 3, v[6:7]
	v_add_co_u32_e32 v8, vcc, s8, v0
	v_addc_co_u32_e32 v9, vcc, v21, v1, vcc
	global_load_dwordx2 v[8:9], v[8:9], off
	v_add_co_u32_e32 v10, vcc, s18, v0
	v_addc_co_u32_e32 v11, vcc, v20, v1, vcc
	global_load_dwordx2 v[10:11], v[10:11], off
	v_pk_mov_b32 v[12:13], 0, 0
	s_waitcnt vmcnt(1)
	v_subrev_co_u32_e32 v8, vcc, s20, v8
	v_subb_co_u32_e32 v9, vcc, v9, v22, vcc
	s_waitcnt vmcnt(0)
	v_add_co_u32_e32 v10, vcc, v10, v18
	v_addc_co_u32_e32 v11, vcc, v11, v19, vcc
	v_cmp_lt_i64_e32 vcc, v[10:11], v[8:9]
	s_and_saveexec_b64 s[16:17], vcc
	s_cbranch_execz .LBB49_13
; %bb.10:                               ;   in Loop: Header=BB49_9 Depth=1
	v_lshlrev_b64 v[12:13], 3, v[10:11]
	v_mov_b32_e32 v7, s13
	v_add_co_u32_e32 v14, vcc, s12, v12
	v_addc_co_u32_e32 v15, vcc, v7, v13, vcc
	v_lshlrev_b64 v[12:13], 2, v[10:11]
	v_mov_b32_e32 v7, s11
	v_add_co_u32_e32 v16, vcc, s10, v12
	v_addc_co_u32_e32 v17, vcc, v7, v13, vcc
	s_mov_b64 s[22:23], 0
	v_pk_mov_b32 v[12:13], 0, 0
.LBB49_11:                              ;   Parent Loop BB49_9 Depth=1
                                        ; =>  This Inner Loop Header: Depth=2
	global_load_dword v24, v[16:17], off
	global_load_dwordx2 v[26:27], v[14:15], off
	s_waitcnt vmcnt(1)
	v_ashrrev_i32_e32 v25, 31, v24
	v_lshlrev_b64 v[24:25], 3, v[24:25]
	v_add_co_u32_e32 v24, vcc, s25, v24
	v_addc_co_u32_e32 v25, vcc, v23, v25, vcc
	global_load_dwordx2 v[24:25], v[24:25], off
	v_add_co_u32_e32 v10, vcc, 64, v10
	v_addc_co_u32_e32 v11, vcc, 0, v11, vcc
	v_add_co_u32_e32 v14, vcc, 0x200, v14
	v_addc_co_u32_e32 v15, vcc, 0, v15, vcc
	v_add_co_u32_e32 v16, vcc, 0x100, v16
	v_cmp_ge_i64_e64 s[4:5], v[10:11], v[8:9]
	s_waitcnt vmcnt(1)
	v_mul_f64 v[26:27], v[2:3], v[26:27]
	v_addc_co_u32_e32 v17, vcc, 0, v17, vcc
	s_or_b64 s[22:23], s[4:5], s[22:23]
	s_waitcnt vmcnt(0)
	v_fmac_f64_e32 v[12:13], v[26:27], v[24:25]
	s_andn2_b64 exec, exec, s[22:23]
	s_cbranch_execnz .LBB49_11
; %bb.12:                               ;   in Loop: Header=BB49_9 Depth=1
	s_or_b64 exec, exec, s[22:23]
.LBB49_13:                              ;   in Loop: Header=BB49_9 Depth=1
	s_or_b64 exec, exec, s[16:17]
	v_mov_b32_dpp v8, v12 row_shr:1 row_mask:0xf bank_mask:0xf
	v_mov_b32_dpp v9, v13 row_shr:1 row_mask:0xf bank_mask:0xf
	v_add_f64 v[8:9], v[12:13], v[8:9]
	s_nop 1
	v_mov_b32_dpp v10, v8 row_shr:2 row_mask:0xf bank_mask:0xf
	v_mov_b32_dpp v11, v9 row_shr:2 row_mask:0xf bank_mask:0xf
	v_add_f64 v[8:9], v[8:9], v[10:11]
	s_nop 1
	;; [unrolled: 4-line block ×4, first 2 shown]
	v_mov_b32_dpp v10, v8 row_bcast:15 row_mask:0xa bank_mask:0xf
	v_mov_b32_dpp v11, v9 row_bcast:15 row_mask:0xa bank_mask:0xf
	v_add_f64 v[8:9], v[8:9], v[10:11]
	s_nop 1
	v_mov_b32_dpp v10, v8 row_bcast:31 row_mask:0xc bank_mask:0xf
	v_mov_b32_dpp v11, v9 row_bcast:31 row_mask:0xc bank_mask:0xf
	s_and_saveexec_b64 s[4:5], s[0:1]
	s_cbranch_execz .LBB49_8
; %bb.14:                               ;   in Loop: Header=BB49_9 Depth=1
	v_mov_b32_e32 v7, s7
	v_add_co_u32_e32 v0, vcc, s6, v0
	v_add_f64 v[8:9], v[8:9], v[10:11]
	v_addc_co_u32_e32 v1, vcc, v7, v1, vcc
	s_and_saveexec_b64 s[16:17], s[2:3]
	s_cbranch_execz .LBB49_7
; %bb.15:                               ;   in Loop: Header=BB49_9 Depth=1
	global_load_dwordx2 v[10:11], v[0:1], off
	s_waitcnt vmcnt(0)
	v_fmac_f64_e32 v[8:9], v[4:5], v[10:11]
	s_branch .LBB49_7
.LBB49_16:
	s_endpgm
	.section	.rodata,"a",@progbits
	.p2align	6, 0x0
	.amdhsa_kernel _ZN9rocsparseL21csrmvn_general_kernelILj256ELj64EliddddEEvbT2_NS_24const_host_device_scalarIT6_EEPKT1_S7_PKS1_PKT3_PKT4_S4_PT5_21rocsparse_index_base_b
		.amdhsa_group_segment_fixed_size 0
		.amdhsa_private_segment_fixed_size 0
		.amdhsa_kernarg_size 336
		.amdhsa_user_sgpr_count 6
		.amdhsa_user_sgpr_private_segment_buffer 1
		.amdhsa_user_sgpr_dispatch_ptr 0
		.amdhsa_user_sgpr_queue_ptr 0
		.amdhsa_user_sgpr_kernarg_segment_ptr 1
		.amdhsa_user_sgpr_dispatch_id 0
		.amdhsa_user_sgpr_flat_scratch_init 0
		.amdhsa_user_sgpr_kernarg_preload_length 0
		.amdhsa_user_sgpr_kernarg_preload_offset 0
		.amdhsa_user_sgpr_private_segment_size 0
		.amdhsa_uses_dynamic_stack 0
		.amdhsa_system_sgpr_private_segment_wavefront_offset 0
		.amdhsa_system_sgpr_workgroup_id_x 1
		.amdhsa_system_sgpr_workgroup_id_y 0
		.amdhsa_system_sgpr_workgroup_id_z 0
		.amdhsa_system_sgpr_workgroup_info 0
		.amdhsa_system_vgpr_workitem_id 0
		.amdhsa_next_free_vgpr 28
		.amdhsa_next_free_sgpr 26
		.amdhsa_accum_offset 28
		.amdhsa_reserve_vcc 1
		.amdhsa_reserve_flat_scratch 0
		.amdhsa_float_round_mode_32 0
		.amdhsa_float_round_mode_16_64 0
		.amdhsa_float_denorm_mode_32 3
		.amdhsa_float_denorm_mode_16_64 3
		.amdhsa_dx10_clamp 1
		.amdhsa_ieee_mode 1
		.amdhsa_fp16_overflow 0
		.amdhsa_tg_split 0
		.amdhsa_exception_fp_ieee_invalid_op 0
		.amdhsa_exception_fp_denorm_src 0
		.amdhsa_exception_fp_ieee_div_zero 0
		.amdhsa_exception_fp_ieee_overflow 0
		.amdhsa_exception_fp_ieee_underflow 0
		.amdhsa_exception_fp_ieee_inexact 0
		.amdhsa_exception_int_div_zero 0
	.end_amdhsa_kernel
	.section	.text._ZN9rocsparseL21csrmvn_general_kernelILj256ELj64EliddddEEvbT2_NS_24const_host_device_scalarIT6_EEPKT1_S7_PKS1_PKT3_PKT4_S4_PT5_21rocsparse_index_base_b,"axG",@progbits,_ZN9rocsparseL21csrmvn_general_kernelILj256ELj64EliddddEEvbT2_NS_24const_host_device_scalarIT6_EEPKT1_S7_PKS1_PKT3_PKT4_S4_PT5_21rocsparse_index_base_b,comdat
.Lfunc_end49:
	.size	_ZN9rocsparseL21csrmvn_general_kernelILj256ELj64EliddddEEvbT2_NS_24const_host_device_scalarIT6_EEPKT1_S7_PKS1_PKT3_PKT4_S4_PT5_21rocsparse_index_base_b, .Lfunc_end49-_ZN9rocsparseL21csrmvn_general_kernelILj256ELj64EliddddEEvbT2_NS_24const_host_device_scalarIT6_EEPKT1_S7_PKS1_PKT3_PKT4_S4_PT5_21rocsparse_index_base_b
                                        ; -- End function
	.section	.AMDGPU.csdata,"",@progbits
; Kernel info:
; codeLenInByte = 800
; NumSgprs: 30
; NumVgprs: 28
; NumAgprs: 0
; TotalNumVgprs: 28
; ScratchSize: 0
; MemoryBound: 1
; FloatMode: 240
; IeeeMode: 1
; LDSByteSize: 0 bytes/workgroup (compile time only)
; SGPRBlocks: 3
; VGPRBlocks: 3
; NumSGPRsForWavesPerEU: 30
; NumVGPRsForWavesPerEU: 28
; AccumOffset: 28
; Occupancy: 8
; WaveLimiterHint : 1
; COMPUTE_PGM_RSRC2:SCRATCH_EN: 0
; COMPUTE_PGM_RSRC2:USER_SGPR: 6
; COMPUTE_PGM_RSRC2:TRAP_HANDLER: 0
; COMPUTE_PGM_RSRC2:TGID_X_EN: 1
; COMPUTE_PGM_RSRC2:TGID_Y_EN: 0
; COMPUTE_PGM_RSRC2:TGID_Z_EN: 0
; COMPUTE_PGM_RSRC2:TIDIG_COMP_CNT: 0
; COMPUTE_PGM_RSRC3_GFX90A:ACCUM_OFFSET: 6
; COMPUTE_PGM_RSRC3_GFX90A:TG_SPLIT: 0
	.section	.text._ZN9rocsparseL21csrmvt_general_kernelILj256ELj4EliddddEEvbbT2_NS_24const_host_device_scalarIT6_EEPKT1_S7_PKS1_PKT3_PKT4_PT5_21rocsparse_index_base_b,"axG",@progbits,_ZN9rocsparseL21csrmvt_general_kernelILj256ELj4EliddddEEvbbT2_NS_24const_host_device_scalarIT6_EEPKT1_S7_PKS1_PKT3_PKT4_PT5_21rocsparse_index_base_b,comdat
	.globl	_ZN9rocsparseL21csrmvt_general_kernelILj256ELj4EliddddEEvbbT2_NS_24const_host_device_scalarIT6_EEPKT1_S7_PKS1_PKT3_PKT4_PT5_21rocsparse_index_base_b ; -- Begin function _ZN9rocsparseL21csrmvt_general_kernelILj256ELj4EliddddEEvbbT2_NS_24const_host_device_scalarIT6_EEPKT1_S7_PKS1_PKT3_PKT4_PT5_21rocsparse_index_base_b
	.p2align	8
	.type	_ZN9rocsparseL21csrmvt_general_kernelILj256ELj4EliddddEEvbbT2_NS_24const_host_device_scalarIT6_EEPKT1_S7_PKS1_PKT3_PKT4_PT5_21rocsparse_index_base_b,@function
_ZN9rocsparseL21csrmvt_general_kernelILj256ELj4EliddddEEvbbT2_NS_24const_host_device_scalarIT6_EEPKT1_S7_PKS1_PKT3_PKT4_PT5_21rocsparse_index_base_b: ; @_ZN9rocsparseL21csrmvt_general_kernelILj256ELj4EliddddEEvbbT2_NS_24const_host_device_scalarIT6_EEPKT1_S7_PKS1_PKT3_PKT4_PT5_21rocsparse_index_base_b
; %bb.0:
	s_load_dwordx2 s[16:17], s[4:5], 0x40
	s_load_dwordx4 s[0:3], s[4:5], 0x8
	s_waitcnt lgkmcnt(0)
	s_bitcmp1_b32 s17, 0
	s_cselect_b64 s[8:9], -1, 0
	s_and_b64 vcc, exec, s[8:9]
	v_pk_mov_b32 v[4:5], s[0:1], s[0:1] op_sel:[0,1]
	s_cbranch_vccnz .LBB50_2
; %bb.1:
	v_pk_mov_b32 v[2:3], s[0:1], s[0:1] op_sel:[0,1]
	flat_load_dwordx2 v[4:5], v[2:3]
.LBB50_2:
	s_waitcnt vmcnt(0) lgkmcnt(0)
	v_cmp_neq_f64_e32 vcc, 0, v[4:5]
	s_and_saveexec_b64 s[0:1], vcc
	s_cbranch_execz .LBB50_23
; %bb.3:
	s_load_dwordx2 s[18:19], s[4:5], 0x0
	s_load_dword s0, s[4:5], 0x48
	s_load_dwordx2 s[20:21], s[4:5], 0x38
	s_load_dwordx8 s[8:15], s[4:5], 0x18
	v_and_b32_e32 v7, 3, v0
	v_lshl_or_b32 v0, s6, 8, v0
	s_waitcnt lgkmcnt(0)
	s_and_b32 s1, s18, 1
	s_lshl_b32 s17, s0, 6
	v_lshrrev_b32_e32 v6, 2, v0
	s_cmp_eq_u32 s1, 0
	v_cmp_gt_i32_e64 s[0:1], s19, v6
	s_mov_b64 s[4:5], -1
	s_cbranch_scc0 .LBB50_13
; %bb.4:
	s_and_saveexec_b64 s[4:5], s[0:1]
	s_cbranch_execz .LBB50_12
; %bb.5:
	v_subrev_co_u32_e32 v20, vcc, s16, v7
	s_mov_b32 s18, 0
	v_subb_co_u32_e64 v21, s[6:7], 0, 0, vcc
	s_mov_b64 s[6:7], 0
	v_mov_b32_e32 v22, s3
	v_mov_b32_e32 v23, s9
	;; [unrolled: 1-line block ×4, first 2 shown]
	s_branch .LBB50_7
.LBB50_6:                               ;   in Loop: Header=BB50_7 Depth=1
	s_or_b64 exec, exec, s[22:23]
	v_add_u32_e32 v8, s17, v8
	v_cmp_le_i32_e32 vcc, s19, v8
	s_or_b64 s[6:7], vcc, s[6:7]
	s_andn2_b64 exec, exec, s[6:7]
	s_cbranch_execz .LBB50_12
.LBB50_7:                               ; =>This Loop Header: Depth=1
                                        ;     Child Loop BB50_9 Depth 2
                                        ;       Child Loop BB50_10 Depth 3
	v_ashrrev_i32_e32 v9, 31, v8
	v_lshlrev_b64 v[0:1], 3, v[8:9]
	v_add_co_u32_e32 v2, vcc, s8, v0
	v_addc_co_u32_e32 v3, vcc, v23, v1, vcc
	global_load_dwordx2 v[2:3], v[2:3], off
	v_add_co_u32_e32 v10, vcc, s2, v0
	v_addc_co_u32_e32 v11, vcc, v22, v1, vcc
	global_load_dwordx2 v[12:13], v[10:11], off
	s_waitcnt vmcnt(1)
	v_subrev_co_u32_e32 v10, vcc, s16, v2
	v_subb_co_u32_e32 v11, vcc, v3, v24, vcc
	s_waitcnt vmcnt(0)
	v_add_co_u32_e32 v12, vcc, v12, v20
	v_addc_co_u32_e32 v13, vcc, v13, v21, vcc
	v_cmp_lt_i64_e32 vcc, v[12:13], v[10:11]
	s_and_saveexec_b64 s[22:23], vcc
	s_cbranch_execz .LBB50_6
; %bb.8:                                ;   in Loop: Header=BB50_7 Depth=1
	v_mov_b32_e32 v2, s15
	v_add_co_u32_e32 v0, vcc, s14, v0
	v_addc_co_u32_e32 v1, vcc, v2, v1, vcc
	global_load_dwordx2 v[0:1], v[0:1], off
	s_mov_b64 s[24:25], 0
	s_waitcnt vmcnt(0)
	v_mul_f64 v[14:15], v[4:5], v[0:1]
.LBB50_9:                               ;   Parent Loop BB50_7 Depth=1
                                        ; =>  This Loop Header: Depth=2
                                        ;       Child Loop BB50_10 Depth 3
	v_lshlrev_b64 v[0:1], 2, v[12:13]
	v_mov_b32_e32 v2, s11
	v_add_co_u32_e32 v0, vcc, s10, v0
	v_addc_co_u32_e32 v1, vcc, v2, v1, vcc
	global_load_dword v2, v[0:1], off
	v_lshlrev_b64 v[0:1], 3, v[12:13]
	v_mov_b32_e32 v3, s13
	v_add_co_u32_e32 v0, vcc, s12, v0
	v_addc_co_u32_e32 v1, vcc, v3, v1, vcc
	v_mov_b32_e32 v9, s21
	global_load_dwordx2 v[0:1], v[0:1], off
	s_mov_b64 s[26:27], 0
	s_waitcnt vmcnt(1)
	v_subrev_u32_e32 v2, s16, v2
	v_ashrrev_i32_e32 v3, 31, v2
	v_lshlrev_b64 v[2:3], 3, v[2:3]
	v_add_co_u32_e32 v16, vcc, s20, v2
	v_addc_co_u32_e32 v17, vcc, v9, v3, vcc
	global_load_dwordx2 v[2:3], v[16:17], off
	s_waitcnt vmcnt(1)
	v_mul_f64 v[18:19], v[14:15], v[0:1]
.LBB50_10:                              ;   Parent Loop BB50_7 Depth=1
                                        ;     Parent Loop BB50_9 Depth=2
                                        ; =>    This Inner Loop Header: Depth=3
	s_waitcnt vmcnt(0)
	v_add_f64 v[0:1], v[2:3], v[18:19]
	global_atomic_cmpswap_x2 v[0:1], v[16:17], v[0:3], off glc
	s_waitcnt vmcnt(0)
	v_cmp_eq_u64_e32 vcc, v[0:1], v[2:3]
	s_or_b64 s[26:27], vcc, s[26:27]
	v_pk_mov_b32 v[2:3], v[0:1], v[0:1] op_sel:[0,1]
	s_andn2_b64 exec, exec, s[26:27]
	s_cbranch_execnz .LBB50_10
; %bb.11:                               ;   in Loop: Header=BB50_9 Depth=2
	s_or_b64 exec, exec, s[26:27]
	v_add_co_u32_e32 v12, vcc, 4, v12
	v_addc_co_u32_e32 v13, vcc, 0, v13, vcc
	v_cmp_ge_i64_e32 vcc, v[12:13], v[10:11]
	s_or_b64 s[24:25], vcc, s[24:25]
	s_andn2_b64 exec, exec, s[24:25]
	s_cbranch_execnz .LBB50_9
	s_branch .LBB50_6
.LBB50_12:
	s_or_b64 exec, exec, s[4:5]
	s_mov_b64 s[4:5], 0
.LBB50_13:
	s_andn2_b64 vcc, exec, s[4:5]
	s_cbranch_vccnz .LBB50_23
; %bb.14:
	s_and_b64 exec, exec, s[0:1]
	s_cbranch_execz .LBB50_23
; %bb.15:
	v_subrev_co_u32_e32 v18, vcc, s16, v7
	s_mov_b32 s4, 0
	v_subb_co_u32_e64 v19, s[0:1], 0, 0, vcc
	s_mov_b64 s[0:1], 0
	v_mov_b32_e32 v20, s3
	v_mov_b32_e32 v21, s9
	;; [unrolled: 1-line block ×3, first 2 shown]
	s_branch .LBB50_17
.LBB50_16:                              ;   in Loop: Header=BB50_17 Depth=1
	s_or_b64 exec, exec, s[4:5]
	v_add_u32_e32 v6, s17, v6
	v_cmp_le_i32_e32 vcc, s19, v6
	s_or_b64 s[0:1], vcc, s[0:1]
	s_andn2_b64 exec, exec, s[0:1]
	s_cbranch_execz .LBB50_23
.LBB50_17:                              ; =>This Loop Header: Depth=1
                                        ;     Child Loop BB50_20 Depth 2
                                        ;       Child Loop BB50_22 Depth 3
	v_ashrrev_i32_e32 v7, 31, v6
	v_lshlrev_b64 v[0:1], 3, v[6:7]
	v_add_co_u32_e32 v2, vcc, s8, v0
	v_addc_co_u32_e32 v3, vcc, v21, v1, vcc
	global_load_dwordx2 v[2:3], v[2:3], off
	v_add_co_u32_e32 v8, vcc, s2, v0
	v_addc_co_u32_e32 v9, vcc, v20, v1, vcc
	global_load_dwordx2 v[10:11], v[8:9], off
	s_waitcnt vmcnt(1)
	v_subrev_co_u32_e32 v8, vcc, s16, v2
	v_subb_co_u32_e32 v9, vcc, v3, v22, vcc
	s_waitcnt vmcnt(0)
	v_add_co_u32_e32 v10, vcc, v10, v18
	v_addc_co_u32_e32 v11, vcc, v11, v19, vcc
	v_cmp_lt_i64_e32 vcc, v[10:11], v[8:9]
	s_and_saveexec_b64 s[4:5], vcc
	s_cbranch_execz .LBB50_16
; %bb.18:                               ;   in Loop: Header=BB50_17 Depth=1
	v_mov_b32_e32 v2, s15
	v_add_co_u32_e32 v0, vcc, s14, v0
	v_addc_co_u32_e32 v1, vcc, v2, v1, vcc
	global_load_dwordx2 v[0:1], v[0:1], off
	s_mov_b64 s[6:7], 0
	s_waitcnt vmcnt(0)
	v_mul_f64 v[12:13], v[4:5], v[0:1]
	s_branch .LBB50_20
.LBB50_19:                              ;   in Loop: Header=BB50_20 Depth=2
	s_or_b64 exec, exec, s[22:23]
	v_add_co_u32_e32 v10, vcc, 4, v10
	v_addc_co_u32_e32 v11, vcc, 0, v11, vcc
	v_cmp_ge_i64_e32 vcc, v[10:11], v[8:9]
	s_or_b64 s[6:7], vcc, s[6:7]
	s_andn2_b64 exec, exec, s[6:7]
	s_cbranch_execz .LBB50_16
.LBB50_20:                              ;   Parent Loop BB50_17 Depth=1
                                        ; =>  This Loop Header: Depth=2
                                        ;       Child Loop BB50_22 Depth 3
	v_lshlrev_b64 v[0:1], 2, v[10:11]
	v_mov_b32_e32 v2, s11
	v_add_co_u32_e32 v0, vcc, s10, v0
	v_addc_co_u32_e32 v1, vcc, v2, v1, vcc
	global_load_dword v0, v[0:1], off
	s_waitcnt vmcnt(0)
	v_subrev_u32_e32 v0, s16, v0
	v_cmp_ne_u32_e32 vcc, v0, v6
	s_and_saveexec_b64 s[22:23], vcc
	s_cbranch_execz .LBB50_19
; %bb.21:                               ;   in Loop: Header=BB50_20 Depth=2
	v_lshlrev_b64 v[2:3], 3, v[10:11]
	v_mov_b32_e32 v1, s13
	v_add_co_u32_e32 v2, vcc, s12, v2
	v_addc_co_u32_e32 v3, vcc, v1, v3, vcc
	v_ashrrev_i32_e32 v1, 31, v0
	v_lshlrev_b64 v[0:1], 3, v[0:1]
	v_mov_b32_e32 v7, s21
	v_add_co_u32_e32 v14, vcc, s20, v0
	global_load_dwordx2 v[16:17], v[2:3], off
	v_addc_co_u32_e32 v15, vcc, v7, v1, vcc
	global_load_dwordx2 v[2:3], v[14:15], off
	s_mov_b64 s[24:25], 0
	s_waitcnt vmcnt(1)
	v_mul_f64 v[16:17], v[12:13], v[16:17]
.LBB50_22:                              ;   Parent Loop BB50_17 Depth=1
                                        ;     Parent Loop BB50_20 Depth=2
                                        ; =>    This Inner Loop Header: Depth=3
	s_waitcnt vmcnt(0)
	v_add_f64 v[0:1], v[2:3], v[16:17]
	global_atomic_cmpswap_x2 v[0:1], v[14:15], v[0:3], off glc
	s_waitcnt vmcnt(0)
	v_cmp_eq_u64_e32 vcc, v[0:1], v[2:3]
	s_or_b64 s[24:25], vcc, s[24:25]
	v_pk_mov_b32 v[2:3], v[0:1], v[0:1] op_sel:[0,1]
	s_andn2_b64 exec, exec, s[24:25]
	s_cbranch_execnz .LBB50_22
	s_branch .LBB50_19
.LBB50_23:
	s_endpgm
	.section	.rodata,"a",@progbits
	.p2align	6, 0x0
	.amdhsa_kernel _ZN9rocsparseL21csrmvt_general_kernelILj256ELj4EliddddEEvbbT2_NS_24const_host_device_scalarIT6_EEPKT1_S7_PKS1_PKT3_PKT4_PT5_21rocsparse_index_base_b
		.amdhsa_group_segment_fixed_size 0
		.amdhsa_private_segment_fixed_size 0
		.amdhsa_kernarg_size 328
		.amdhsa_user_sgpr_count 6
		.amdhsa_user_sgpr_private_segment_buffer 1
		.amdhsa_user_sgpr_dispatch_ptr 0
		.amdhsa_user_sgpr_queue_ptr 0
		.amdhsa_user_sgpr_kernarg_segment_ptr 1
		.amdhsa_user_sgpr_dispatch_id 0
		.amdhsa_user_sgpr_flat_scratch_init 0
		.amdhsa_user_sgpr_kernarg_preload_length 0
		.amdhsa_user_sgpr_kernarg_preload_offset 0
		.amdhsa_user_sgpr_private_segment_size 0
		.amdhsa_uses_dynamic_stack 0
		.amdhsa_system_sgpr_private_segment_wavefront_offset 0
		.amdhsa_system_sgpr_workgroup_id_x 1
		.amdhsa_system_sgpr_workgroup_id_y 0
		.amdhsa_system_sgpr_workgroup_id_z 0
		.amdhsa_system_sgpr_workgroup_info 0
		.amdhsa_system_vgpr_workitem_id 0
		.amdhsa_next_free_vgpr 25
		.amdhsa_next_free_sgpr 28
		.amdhsa_accum_offset 28
		.amdhsa_reserve_vcc 1
		.amdhsa_reserve_flat_scratch 0
		.amdhsa_float_round_mode_32 0
		.amdhsa_float_round_mode_16_64 0
		.amdhsa_float_denorm_mode_32 3
		.amdhsa_float_denorm_mode_16_64 3
		.amdhsa_dx10_clamp 1
		.amdhsa_ieee_mode 1
		.amdhsa_fp16_overflow 0
		.amdhsa_tg_split 0
		.amdhsa_exception_fp_ieee_invalid_op 0
		.amdhsa_exception_fp_denorm_src 0
		.amdhsa_exception_fp_ieee_div_zero 0
		.amdhsa_exception_fp_ieee_overflow 0
		.amdhsa_exception_fp_ieee_underflow 0
		.amdhsa_exception_fp_ieee_inexact 0
		.amdhsa_exception_int_div_zero 0
	.end_amdhsa_kernel
	.section	.text._ZN9rocsparseL21csrmvt_general_kernelILj256ELj4EliddddEEvbbT2_NS_24const_host_device_scalarIT6_EEPKT1_S7_PKS1_PKT3_PKT4_PT5_21rocsparse_index_base_b,"axG",@progbits,_ZN9rocsparseL21csrmvt_general_kernelILj256ELj4EliddddEEvbbT2_NS_24const_host_device_scalarIT6_EEPKT1_S7_PKS1_PKT3_PKT4_PT5_21rocsparse_index_base_b,comdat
.Lfunc_end50:
	.size	_ZN9rocsparseL21csrmvt_general_kernelILj256ELj4EliddddEEvbbT2_NS_24const_host_device_scalarIT6_EEPKT1_S7_PKS1_PKT3_PKT4_PT5_21rocsparse_index_base_b, .Lfunc_end50-_ZN9rocsparseL21csrmvt_general_kernelILj256ELj4EliddddEEvbbT2_NS_24const_host_device_scalarIT6_EEPKT1_S7_PKS1_PKT3_PKT4_PT5_21rocsparse_index_base_b
                                        ; -- End function
	.section	.AMDGPU.csdata,"",@progbits
; Kernel info:
; codeLenInByte = 948
; NumSgprs: 32
; NumVgprs: 25
; NumAgprs: 0
; TotalNumVgprs: 25
; ScratchSize: 0
; MemoryBound: 0
; FloatMode: 240
; IeeeMode: 1
; LDSByteSize: 0 bytes/workgroup (compile time only)
; SGPRBlocks: 3
; VGPRBlocks: 3
; NumSGPRsForWavesPerEU: 32
; NumVGPRsForWavesPerEU: 25
; AccumOffset: 28
; Occupancy: 8
; WaveLimiterHint : 1
; COMPUTE_PGM_RSRC2:SCRATCH_EN: 0
; COMPUTE_PGM_RSRC2:USER_SGPR: 6
; COMPUTE_PGM_RSRC2:TRAP_HANDLER: 0
; COMPUTE_PGM_RSRC2:TGID_X_EN: 1
; COMPUTE_PGM_RSRC2:TGID_Y_EN: 0
; COMPUTE_PGM_RSRC2:TGID_Z_EN: 0
; COMPUTE_PGM_RSRC2:TIDIG_COMP_CNT: 0
; COMPUTE_PGM_RSRC3_GFX90A:ACCUM_OFFSET: 6
; COMPUTE_PGM_RSRC3_GFX90A:TG_SPLIT: 0
	.section	.text._ZN9rocsparseL21csrmvt_general_kernelILj256ELj8EliddddEEvbbT2_NS_24const_host_device_scalarIT6_EEPKT1_S7_PKS1_PKT3_PKT4_PT5_21rocsparse_index_base_b,"axG",@progbits,_ZN9rocsparseL21csrmvt_general_kernelILj256ELj8EliddddEEvbbT2_NS_24const_host_device_scalarIT6_EEPKT1_S7_PKS1_PKT3_PKT4_PT5_21rocsparse_index_base_b,comdat
	.globl	_ZN9rocsparseL21csrmvt_general_kernelILj256ELj8EliddddEEvbbT2_NS_24const_host_device_scalarIT6_EEPKT1_S7_PKS1_PKT3_PKT4_PT5_21rocsparse_index_base_b ; -- Begin function _ZN9rocsparseL21csrmvt_general_kernelILj256ELj8EliddddEEvbbT2_NS_24const_host_device_scalarIT6_EEPKT1_S7_PKS1_PKT3_PKT4_PT5_21rocsparse_index_base_b
	.p2align	8
	.type	_ZN9rocsparseL21csrmvt_general_kernelILj256ELj8EliddddEEvbbT2_NS_24const_host_device_scalarIT6_EEPKT1_S7_PKS1_PKT3_PKT4_PT5_21rocsparse_index_base_b,@function
_ZN9rocsparseL21csrmvt_general_kernelILj256ELj8EliddddEEvbbT2_NS_24const_host_device_scalarIT6_EEPKT1_S7_PKS1_PKT3_PKT4_PT5_21rocsparse_index_base_b: ; @_ZN9rocsparseL21csrmvt_general_kernelILj256ELj8EliddddEEvbbT2_NS_24const_host_device_scalarIT6_EEPKT1_S7_PKS1_PKT3_PKT4_PT5_21rocsparse_index_base_b
; %bb.0:
	s_load_dwordx2 s[16:17], s[4:5], 0x40
	s_load_dwordx4 s[0:3], s[4:5], 0x8
	s_waitcnt lgkmcnt(0)
	s_bitcmp1_b32 s17, 0
	s_cselect_b64 s[8:9], -1, 0
	s_and_b64 vcc, exec, s[8:9]
	v_pk_mov_b32 v[4:5], s[0:1], s[0:1] op_sel:[0,1]
	s_cbranch_vccnz .LBB51_2
; %bb.1:
	v_pk_mov_b32 v[2:3], s[0:1], s[0:1] op_sel:[0,1]
	flat_load_dwordx2 v[4:5], v[2:3]
.LBB51_2:
	s_waitcnt vmcnt(0) lgkmcnt(0)
	v_cmp_neq_f64_e32 vcc, 0, v[4:5]
	s_and_saveexec_b64 s[0:1], vcc
	s_cbranch_execz .LBB51_23
; %bb.3:
	s_load_dwordx2 s[18:19], s[4:5], 0x0
	s_load_dword s0, s[4:5], 0x48
	s_load_dwordx2 s[20:21], s[4:5], 0x38
	s_load_dwordx8 s[8:15], s[4:5], 0x18
	v_and_b32_e32 v7, 7, v0
	v_lshl_or_b32 v0, s6, 8, v0
	s_waitcnt lgkmcnt(0)
	s_and_b32 s1, s18, 1
	s_lshl_b32 s17, s0, 5
	v_lshrrev_b32_e32 v6, 3, v0
	s_cmp_eq_u32 s1, 0
	v_cmp_gt_i32_e64 s[0:1], s19, v6
	s_mov_b64 s[4:5], -1
	s_cbranch_scc0 .LBB51_13
; %bb.4:
	s_and_saveexec_b64 s[4:5], s[0:1]
	s_cbranch_execz .LBB51_12
; %bb.5:
	v_subrev_co_u32_e32 v20, vcc, s16, v7
	s_mov_b32 s18, 0
	v_subb_co_u32_e64 v21, s[6:7], 0, 0, vcc
	s_mov_b64 s[6:7], 0
	v_mov_b32_e32 v22, s3
	v_mov_b32_e32 v23, s9
	;; [unrolled: 1-line block ×4, first 2 shown]
	s_branch .LBB51_7
.LBB51_6:                               ;   in Loop: Header=BB51_7 Depth=1
	s_or_b64 exec, exec, s[22:23]
	v_add_u32_e32 v8, s17, v8
	v_cmp_le_i32_e32 vcc, s19, v8
	s_or_b64 s[6:7], vcc, s[6:7]
	s_andn2_b64 exec, exec, s[6:7]
	s_cbranch_execz .LBB51_12
.LBB51_7:                               ; =>This Loop Header: Depth=1
                                        ;     Child Loop BB51_9 Depth 2
                                        ;       Child Loop BB51_10 Depth 3
	v_ashrrev_i32_e32 v9, 31, v8
	v_lshlrev_b64 v[0:1], 3, v[8:9]
	v_add_co_u32_e32 v2, vcc, s8, v0
	v_addc_co_u32_e32 v3, vcc, v23, v1, vcc
	global_load_dwordx2 v[2:3], v[2:3], off
	v_add_co_u32_e32 v10, vcc, s2, v0
	v_addc_co_u32_e32 v11, vcc, v22, v1, vcc
	global_load_dwordx2 v[12:13], v[10:11], off
	s_waitcnt vmcnt(1)
	v_subrev_co_u32_e32 v10, vcc, s16, v2
	v_subb_co_u32_e32 v11, vcc, v3, v24, vcc
	s_waitcnt vmcnt(0)
	v_add_co_u32_e32 v12, vcc, v12, v20
	v_addc_co_u32_e32 v13, vcc, v13, v21, vcc
	v_cmp_lt_i64_e32 vcc, v[12:13], v[10:11]
	s_and_saveexec_b64 s[22:23], vcc
	s_cbranch_execz .LBB51_6
; %bb.8:                                ;   in Loop: Header=BB51_7 Depth=1
	v_mov_b32_e32 v2, s15
	v_add_co_u32_e32 v0, vcc, s14, v0
	v_addc_co_u32_e32 v1, vcc, v2, v1, vcc
	global_load_dwordx2 v[0:1], v[0:1], off
	s_mov_b64 s[24:25], 0
	s_waitcnt vmcnt(0)
	v_mul_f64 v[14:15], v[4:5], v[0:1]
.LBB51_9:                               ;   Parent Loop BB51_7 Depth=1
                                        ; =>  This Loop Header: Depth=2
                                        ;       Child Loop BB51_10 Depth 3
	v_lshlrev_b64 v[0:1], 2, v[12:13]
	v_mov_b32_e32 v2, s11
	v_add_co_u32_e32 v0, vcc, s10, v0
	v_addc_co_u32_e32 v1, vcc, v2, v1, vcc
	global_load_dword v2, v[0:1], off
	v_lshlrev_b64 v[0:1], 3, v[12:13]
	v_mov_b32_e32 v3, s13
	v_add_co_u32_e32 v0, vcc, s12, v0
	v_addc_co_u32_e32 v1, vcc, v3, v1, vcc
	v_mov_b32_e32 v9, s21
	global_load_dwordx2 v[0:1], v[0:1], off
	s_mov_b64 s[26:27], 0
	s_waitcnt vmcnt(1)
	v_subrev_u32_e32 v2, s16, v2
	v_ashrrev_i32_e32 v3, 31, v2
	v_lshlrev_b64 v[2:3], 3, v[2:3]
	v_add_co_u32_e32 v16, vcc, s20, v2
	v_addc_co_u32_e32 v17, vcc, v9, v3, vcc
	global_load_dwordx2 v[2:3], v[16:17], off
	s_waitcnt vmcnt(1)
	v_mul_f64 v[18:19], v[14:15], v[0:1]
.LBB51_10:                              ;   Parent Loop BB51_7 Depth=1
                                        ;     Parent Loop BB51_9 Depth=2
                                        ; =>    This Inner Loop Header: Depth=3
	s_waitcnt vmcnt(0)
	v_add_f64 v[0:1], v[2:3], v[18:19]
	global_atomic_cmpswap_x2 v[0:1], v[16:17], v[0:3], off glc
	s_waitcnt vmcnt(0)
	v_cmp_eq_u64_e32 vcc, v[0:1], v[2:3]
	s_or_b64 s[26:27], vcc, s[26:27]
	v_pk_mov_b32 v[2:3], v[0:1], v[0:1] op_sel:[0,1]
	s_andn2_b64 exec, exec, s[26:27]
	s_cbranch_execnz .LBB51_10
; %bb.11:                               ;   in Loop: Header=BB51_9 Depth=2
	s_or_b64 exec, exec, s[26:27]
	v_add_co_u32_e32 v12, vcc, 8, v12
	v_addc_co_u32_e32 v13, vcc, 0, v13, vcc
	v_cmp_ge_i64_e32 vcc, v[12:13], v[10:11]
	s_or_b64 s[24:25], vcc, s[24:25]
	s_andn2_b64 exec, exec, s[24:25]
	s_cbranch_execnz .LBB51_9
	s_branch .LBB51_6
.LBB51_12:
	s_or_b64 exec, exec, s[4:5]
	s_mov_b64 s[4:5], 0
.LBB51_13:
	s_andn2_b64 vcc, exec, s[4:5]
	s_cbranch_vccnz .LBB51_23
; %bb.14:
	s_and_b64 exec, exec, s[0:1]
	s_cbranch_execz .LBB51_23
; %bb.15:
	v_subrev_co_u32_e32 v18, vcc, s16, v7
	s_mov_b32 s4, 0
	v_subb_co_u32_e64 v19, s[0:1], 0, 0, vcc
	s_mov_b64 s[0:1], 0
	v_mov_b32_e32 v20, s3
	v_mov_b32_e32 v21, s9
	;; [unrolled: 1-line block ×3, first 2 shown]
	s_branch .LBB51_17
.LBB51_16:                              ;   in Loop: Header=BB51_17 Depth=1
	s_or_b64 exec, exec, s[4:5]
	v_add_u32_e32 v6, s17, v6
	v_cmp_le_i32_e32 vcc, s19, v6
	s_or_b64 s[0:1], vcc, s[0:1]
	s_andn2_b64 exec, exec, s[0:1]
	s_cbranch_execz .LBB51_23
.LBB51_17:                              ; =>This Loop Header: Depth=1
                                        ;     Child Loop BB51_20 Depth 2
                                        ;       Child Loop BB51_22 Depth 3
	v_ashrrev_i32_e32 v7, 31, v6
	v_lshlrev_b64 v[0:1], 3, v[6:7]
	v_add_co_u32_e32 v2, vcc, s8, v0
	v_addc_co_u32_e32 v3, vcc, v21, v1, vcc
	global_load_dwordx2 v[2:3], v[2:3], off
	v_add_co_u32_e32 v8, vcc, s2, v0
	v_addc_co_u32_e32 v9, vcc, v20, v1, vcc
	global_load_dwordx2 v[10:11], v[8:9], off
	s_waitcnt vmcnt(1)
	v_subrev_co_u32_e32 v8, vcc, s16, v2
	v_subb_co_u32_e32 v9, vcc, v3, v22, vcc
	s_waitcnt vmcnt(0)
	v_add_co_u32_e32 v10, vcc, v10, v18
	v_addc_co_u32_e32 v11, vcc, v11, v19, vcc
	v_cmp_lt_i64_e32 vcc, v[10:11], v[8:9]
	s_and_saveexec_b64 s[4:5], vcc
	s_cbranch_execz .LBB51_16
; %bb.18:                               ;   in Loop: Header=BB51_17 Depth=1
	v_mov_b32_e32 v2, s15
	v_add_co_u32_e32 v0, vcc, s14, v0
	v_addc_co_u32_e32 v1, vcc, v2, v1, vcc
	global_load_dwordx2 v[0:1], v[0:1], off
	s_mov_b64 s[6:7], 0
	s_waitcnt vmcnt(0)
	v_mul_f64 v[12:13], v[4:5], v[0:1]
	s_branch .LBB51_20
.LBB51_19:                              ;   in Loop: Header=BB51_20 Depth=2
	s_or_b64 exec, exec, s[22:23]
	v_add_co_u32_e32 v10, vcc, 8, v10
	v_addc_co_u32_e32 v11, vcc, 0, v11, vcc
	v_cmp_ge_i64_e32 vcc, v[10:11], v[8:9]
	s_or_b64 s[6:7], vcc, s[6:7]
	s_andn2_b64 exec, exec, s[6:7]
	s_cbranch_execz .LBB51_16
.LBB51_20:                              ;   Parent Loop BB51_17 Depth=1
                                        ; =>  This Loop Header: Depth=2
                                        ;       Child Loop BB51_22 Depth 3
	v_lshlrev_b64 v[0:1], 2, v[10:11]
	v_mov_b32_e32 v2, s11
	v_add_co_u32_e32 v0, vcc, s10, v0
	v_addc_co_u32_e32 v1, vcc, v2, v1, vcc
	global_load_dword v0, v[0:1], off
	s_waitcnt vmcnt(0)
	v_subrev_u32_e32 v0, s16, v0
	v_cmp_ne_u32_e32 vcc, v0, v6
	s_and_saveexec_b64 s[22:23], vcc
	s_cbranch_execz .LBB51_19
; %bb.21:                               ;   in Loop: Header=BB51_20 Depth=2
	v_lshlrev_b64 v[2:3], 3, v[10:11]
	v_mov_b32_e32 v1, s13
	v_add_co_u32_e32 v2, vcc, s12, v2
	v_addc_co_u32_e32 v3, vcc, v1, v3, vcc
	v_ashrrev_i32_e32 v1, 31, v0
	v_lshlrev_b64 v[0:1], 3, v[0:1]
	v_mov_b32_e32 v7, s21
	v_add_co_u32_e32 v14, vcc, s20, v0
	global_load_dwordx2 v[16:17], v[2:3], off
	v_addc_co_u32_e32 v15, vcc, v7, v1, vcc
	global_load_dwordx2 v[2:3], v[14:15], off
	s_mov_b64 s[24:25], 0
	s_waitcnt vmcnt(1)
	v_mul_f64 v[16:17], v[12:13], v[16:17]
.LBB51_22:                              ;   Parent Loop BB51_17 Depth=1
                                        ;     Parent Loop BB51_20 Depth=2
                                        ; =>    This Inner Loop Header: Depth=3
	s_waitcnt vmcnt(0)
	v_add_f64 v[0:1], v[2:3], v[16:17]
	global_atomic_cmpswap_x2 v[0:1], v[14:15], v[0:3], off glc
	s_waitcnt vmcnt(0)
	v_cmp_eq_u64_e32 vcc, v[0:1], v[2:3]
	s_or_b64 s[24:25], vcc, s[24:25]
	v_pk_mov_b32 v[2:3], v[0:1], v[0:1] op_sel:[0,1]
	s_andn2_b64 exec, exec, s[24:25]
	s_cbranch_execnz .LBB51_22
	s_branch .LBB51_19
.LBB51_23:
	s_endpgm
	.section	.rodata,"a",@progbits
	.p2align	6, 0x0
	.amdhsa_kernel _ZN9rocsparseL21csrmvt_general_kernelILj256ELj8EliddddEEvbbT2_NS_24const_host_device_scalarIT6_EEPKT1_S7_PKS1_PKT3_PKT4_PT5_21rocsparse_index_base_b
		.amdhsa_group_segment_fixed_size 0
		.amdhsa_private_segment_fixed_size 0
		.amdhsa_kernarg_size 328
		.amdhsa_user_sgpr_count 6
		.amdhsa_user_sgpr_private_segment_buffer 1
		.amdhsa_user_sgpr_dispatch_ptr 0
		.amdhsa_user_sgpr_queue_ptr 0
		.amdhsa_user_sgpr_kernarg_segment_ptr 1
		.amdhsa_user_sgpr_dispatch_id 0
		.amdhsa_user_sgpr_flat_scratch_init 0
		.amdhsa_user_sgpr_kernarg_preload_length 0
		.amdhsa_user_sgpr_kernarg_preload_offset 0
		.amdhsa_user_sgpr_private_segment_size 0
		.amdhsa_uses_dynamic_stack 0
		.amdhsa_system_sgpr_private_segment_wavefront_offset 0
		.amdhsa_system_sgpr_workgroup_id_x 1
		.amdhsa_system_sgpr_workgroup_id_y 0
		.amdhsa_system_sgpr_workgroup_id_z 0
		.amdhsa_system_sgpr_workgroup_info 0
		.amdhsa_system_vgpr_workitem_id 0
		.amdhsa_next_free_vgpr 25
		.amdhsa_next_free_sgpr 28
		.amdhsa_accum_offset 28
		.amdhsa_reserve_vcc 1
		.amdhsa_reserve_flat_scratch 0
		.amdhsa_float_round_mode_32 0
		.amdhsa_float_round_mode_16_64 0
		.amdhsa_float_denorm_mode_32 3
		.amdhsa_float_denorm_mode_16_64 3
		.amdhsa_dx10_clamp 1
		.amdhsa_ieee_mode 1
		.amdhsa_fp16_overflow 0
		.amdhsa_tg_split 0
		.amdhsa_exception_fp_ieee_invalid_op 0
		.amdhsa_exception_fp_denorm_src 0
		.amdhsa_exception_fp_ieee_div_zero 0
		.amdhsa_exception_fp_ieee_overflow 0
		.amdhsa_exception_fp_ieee_underflow 0
		.amdhsa_exception_fp_ieee_inexact 0
		.amdhsa_exception_int_div_zero 0
	.end_amdhsa_kernel
	.section	.text._ZN9rocsparseL21csrmvt_general_kernelILj256ELj8EliddddEEvbbT2_NS_24const_host_device_scalarIT6_EEPKT1_S7_PKS1_PKT3_PKT4_PT5_21rocsparse_index_base_b,"axG",@progbits,_ZN9rocsparseL21csrmvt_general_kernelILj256ELj8EliddddEEvbbT2_NS_24const_host_device_scalarIT6_EEPKT1_S7_PKS1_PKT3_PKT4_PT5_21rocsparse_index_base_b,comdat
.Lfunc_end51:
	.size	_ZN9rocsparseL21csrmvt_general_kernelILj256ELj8EliddddEEvbbT2_NS_24const_host_device_scalarIT6_EEPKT1_S7_PKS1_PKT3_PKT4_PT5_21rocsparse_index_base_b, .Lfunc_end51-_ZN9rocsparseL21csrmvt_general_kernelILj256ELj8EliddddEEvbbT2_NS_24const_host_device_scalarIT6_EEPKT1_S7_PKS1_PKT3_PKT4_PT5_21rocsparse_index_base_b
                                        ; -- End function
	.section	.AMDGPU.csdata,"",@progbits
; Kernel info:
; codeLenInByte = 948
; NumSgprs: 32
; NumVgprs: 25
; NumAgprs: 0
; TotalNumVgprs: 25
; ScratchSize: 0
; MemoryBound: 0
; FloatMode: 240
; IeeeMode: 1
; LDSByteSize: 0 bytes/workgroup (compile time only)
; SGPRBlocks: 3
; VGPRBlocks: 3
; NumSGPRsForWavesPerEU: 32
; NumVGPRsForWavesPerEU: 25
; AccumOffset: 28
; Occupancy: 8
; WaveLimiterHint : 1
; COMPUTE_PGM_RSRC2:SCRATCH_EN: 0
; COMPUTE_PGM_RSRC2:USER_SGPR: 6
; COMPUTE_PGM_RSRC2:TRAP_HANDLER: 0
; COMPUTE_PGM_RSRC2:TGID_X_EN: 1
; COMPUTE_PGM_RSRC2:TGID_Y_EN: 0
; COMPUTE_PGM_RSRC2:TGID_Z_EN: 0
; COMPUTE_PGM_RSRC2:TIDIG_COMP_CNT: 0
; COMPUTE_PGM_RSRC3_GFX90A:ACCUM_OFFSET: 6
; COMPUTE_PGM_RSRC3_GFX90A:TG_SPLIT: 0
	.section	.text._ZN9rocsparseL21csrmvt_general_kernelILj256ELj16EliddddEEvbbT2_NS_24const_host_device_scalarIT6_EEPKT1_S7_PKS1_PKT3_PKT4_PT5_21rocsparse_index_base_b,"axG",@progbits,_ZN9rocsparseL21csrmvt_general_kernelILj256ELj16EliddddEEvbbT2_NS_24const_host_device_scalarIT6_EEPKT1_S7_PKS1_PKT3_PKT4_PT5_21rocsparse_index_base_b,comdat
	.globl	_ZN9rocsparseL21csrmvt_general_kernelILj256ELj16EliddddEEvbbT2_NS_24const_host_device_scalarIT6_EEPKT1_S7_PKS1_PKT3_PKT4_PT5_21rocsparse_index_base_b ; -- Begin function _ZN9rocsparseL21csrmvt_general_kernelILj256ELj16EliddddEEvbbT2_NS_24const_host_device_scalarIT6_EEPKT1_S7_PKS1_PKT3_PKT4_PT5_21rocsparse_index_base_b
	.p2align	8
	.type	_ZN9rocsparseL21csrmvt_general_kernelILj256ELj16EliddddEEvbbT2_NS_24const_host_device_scalarIT6_EEPKT1_S7_PKS1_PKT3_PKT4_PT5_21rocsparse_index_base_b,@function
_ZN9rocsparseL21csrmvt_general_kernelILj256ELj16EliddddEEvbbT2_NS_24const_host_device_scalarIT6_EEPKT1_S7_PKS1_PKT3_PKT4_PT5_21rocsparse_index_base_b: ; @_ZN9rocsparseL21csrmvt_general_kernelILj256ELj16EliddddEEvbbT2_NS_24const_host_device_scalarIT6_EEPKT1_S7_PKS1_PKT3_PKT4_PT5_21rocsparse_index_base_b
; %bb.0:
	s_load_dwordx2 s[16:17], s[4:5], 0x40
	s_load_dwordx4 s[0:3], s[4:5], 0x8
	s_waitcnt lgkmcnt(0)
	s_bitcmp1_b32 s17, 0
	s_cselect_b64 s[8:9], -1, 0
	s_and_b64 vcc, exec, s[8:9]
	v_pk_mov_b32 v[4:5], s[0:1], s[0:1] op_sel:[0,1]
	s_cbranch_vccnz .LBB52_2
; %bb.1:
	v_pk_mov_b32 v[2:3], s[0:1], s[0:1] op_sel:[0,1]
	flat_load_dwordx2 v[4:5], v[2:3]
.LBB52_2:
	s_waitcnt vmcnt(0) lgkmcnt(0)
	v_cmp_neq_f64_e32 vcc, 0, v[4:5]
	s_and_saveexec_b64 s[0:1], vcc
	s_cbranch_execz .LBB52_23
; %bb.3:
	s_load_dwordx2 s[18:19], s[4:5], 0x0
	s_load_dword s0, s[4:5], 0x48
	s_load_dwordx2 s[20:21], s[4:5], 0x38
	s_load_dwordx8 s[8:15], s[4:5], 0x18
	v_and_b32_e32 v7, 15, v0
	v_lshl_or_b32 v0, s6, 8, v0
	s_waitcnt lgkmcnt(0)
	s_and_b32 s1, s18, 1
	s_lshl_b32 s17, s0, 4
	v_lshrrev_b32_e32 v6, 4, v0
	s_cmp_eq_u32 s1, 0
	v_cmp_gt_i32_e64 s[0:1], s19, v6
	s_mov_b64 s[4:5], -1
	s_cbranch_scc0 .LBB52_13
; %bb.4:
	s_and_saveexec_b64 s[4:5], s[0:1]
	s_cbranch_execz .LBB52_12
; %bb.5:
	v_subrev_co_u32_e32 v20, vcc, s16, v7
	s_mov_b32 s18, 0
	v_subb_co_u32_e64 v21, s[6:7], 0, 0, vcc
	s_mov_b64 s[6:7], 0
	v_mov_b32_e32 v22, s3
	v_mov_b32_e32 v23, s9
	;; [unrolled: 1-line block ×4, first 2 shown]
	s_branch .LBB52_7
.LBB52_6:                               ;   in Loop: Header=BB52_7 Depth=1
	s_or_b64 exec, exec, s[22:23]
	v_add_u32_e32 v8, s17, v8
	v_cmp_le_i32_e32 vcc, s19, v8
	s_or_b64 s[6:7], vcc, s[6:7]
	s_andn2_b64 exec, exec, s[6:7]
	s_cbranch_execz .LBB52_12
.LBB52_7:                               ; =>This Loop Header: Depth=1
                                        ;     Child Loop BB52_9 Depth 2
                                        ;       Child Loop BB52_10 Depth 3
	v_ashrrev_i32_e32 v9, 31, v8
	v_lshlrev_b64 v[0:1], 3, v[8:9]
	v_add_co_u32_e32 v2, vcc, s8, v0
	v_addc_co_u32_e32 v3, vcc, v23, v1, vcc
	global_load_dwordx2 v[2:3], v[2:3], off
	v_add_co_u32_e32 v10, vcc, s2, v0
	v_addc_co_u32_e32 v11, vcc, v22, v1, vcc
	global_load_dwordx2 v[12:13], v[10:11], off
	s_waitcnt vmcnt(1)
	v_subrev_co_u32_e32 v10, vcc, s16, v2
	v_subb_co_u32_e32 v11, vcc, v3, v24, vcc
	s_waitcnt vmcnt(0)
	v_add_co_u32_e32 v12, vcc, v12, v20
	v_addc_co_u32_e32 v13, vcc, v13, v21, vcc
	v_cmp_lt_i64_e32 vcc, v[12:13], v[10:11]
	s_and_saveexec_b64 s[22:23], vcc
	s_cbranch_execz .LBB52_6
; %bb.8:                                ;   in Loop: Header=BB52_7 Depth=1
	v_mov_b32_e32 v2, s15
	v_add_co_u32_e32 v0, vcc, s14, v0
	v_addc_co_u32_e32 v1, vcc, v2, v1, vcc
	global_load_dwordx2 v[0:1], v[0:1], off
	s_mov_b64 s[24:25], 0
	s_waitcnt vmcnt(0)
	v_mul_f64 v[14:15], v[4:5], v[0:1]
.LBB52_9:                               ;   Parent Loop BB52_7 Depth=1
                                        ; =>  This Loop Header: Depth=2
                                        ;       Child Loop BB52_10 Depth 3
	v_lshlrev_b64 v[0:1], 2, v[12:13]
	v_mov_b32_e32 v2, s11
	v_add_co_u32_e32 v0, vcc, s10, v0
	v_addc_co_u32_e32 v1, vcc, v2, v1, vcc
	global_load_dword v2, v[0:1], off
	v_lshlrev_b64 v[0:1], 3, v[12:13]
	v_mov_b32_e32 v3, s13
	v_add_co_u32_e32 v0, vcc, s12, v0
	v_addc_co_u32_e32 v1, vcc, v3, v1, vcc
	v_mov_b32_e32 v9, s21
	global_load_dwordx2 v[0:1], v[0:1], off
	s_mov_b64 s[26:27], 0
	s_waitcnt vmcnt(1)
	v_subrev_u32_e32 v2, s16, v2
	v_ashrrev_i32_e32 v3, 31, v2
	v_lshlrev_b64 v[2:3], 3, v[2:3]
	v_add_co_u32_e32 v16, vcc, s20, v2
	v_addc_co_u32_e32 v17, vcc, v9, v3, vcc
	global_load_dwordx2 v[2:3], v[16:17], off
	s_waitcnt vmcnt(1)
	v_mul_f64 v[18:19], v[14:15], v[0:1]
.LBB52_10:                              ;   Parent Loop BB52_7 Depth=1
                                        ;     Parent Loop BB52_9 Depth=2
                                        ; =>    This Inner Loop Header: Depth=3
	s_waitcnt vmcnt(0)
	v_add_f64 v[0:1], v[2:3], v[18:19]
	global_atomic_cmpswap_x2 v[0:1], v[16:17], v[0:3], off glc
	s_waitcnt vmcnt(0)
	v_cmp_eq_u64_e32 vcc, v[0:1], v[2:3]
	s_or_b64 s[26:27], vcc, s[26:27]
	v_pk_mov_b32 v[2:3], v[0:1], v[0:1] op_sel:[0,1]
	s_andn2_b64 exec, exec, s[26:27]
	s_cbranch_execnz .LBB52_10
; %bb.11:                               ;   in Loop: Header=BB52_9 Depth=2
	s_or_b64 exec, exec, s[26:27]
	v_add_co_u32_e32 v12, vcc, 16, v12
	v_addc_co_u32_e32 v13, vcc, 0, v13, vcc
	v_cmp_ge_i64_e32 vcc, v[12:13], v[10:11]
	s_or_b64 s[24:25], vcc, s[24:25]
	s_andn2_b64 exec, exec, s[24:25]
	s_cbranch_execnz .LBB52_9
	s_branch .LBB52_6
.LBB52_12:
	s_or_b64 exec, exec, s[4:5]
	s_mov_b64 s[4:5], 0
.LBB52_13:
	s_andn2_b64 vcc, exec, s[4:5]
	s_cbranch_vccnz .LBB52_23
; %bb.14:
	s_and_b64 exec, exec, s[0:1]
	s_cbranch_execz .LBB52_23
; %bb.15:
	v_subrev_co_u32_e32 v18, vcc, s16, v7
	s_mov_b32 s4, 0
	v_subb_co_u32_e64 v19, s[0:1], 0, 0, vcc
	s_mov_b64 s[0:1], 0
	v_mov_b32_e32 v20, s3
	v_mov_b32_e32 v21, s9
	;; [unrolled: 1-line block ×3, first 2 shown]
	s_branch .LBB52_17
.LBB52_16:                              ;   in Loop: Header=BB52_17 Depth=1
	s_or_b64 exec, exec, s[4:5]
	v_add_u32_e32 v6, s17, v6
	v_cmp_le_i32_e32 vcc, s19, v6
	s_or_b64 s[0:1], vcc, s[0:1]
	s_andn2_b64 exec, exec, s[0:1]
	s_cbranch_execz .LBB52_23
.LBB52_17:                              ; =>This Loop Header: Depth=1
                                        ;     Child Loop BB52_20 Depth 2
                                        ;       Child Loop BB52_22 Depth 3
	v_ashrrev_i32_e32 v7, 31, v6
	v_lshlrev_b64 v[0:1], 3, v[6:7]
	v_add_co_u32_e32 v2, vcc, s8, v0
	v_addc_co_u32_e32 v3, vcc, v21, v1, vcc
	global_load_dwordx2 v[2:3], v[2:3], off
	v_add_co_u32_e32 v8, vcc, s2, v0
	v_addc_co_u32_e32 v9, vcc, v20, v1, vcc
	global_load_dwordx2 v[10:11], v[8:9], off
	s_waitcnt vmcnt(1)
	v_subrev_co_u32_e32 v8, vcc, s16, v2
	v_subb_co_u32_e32 v9, vcc, v3, v22, vcc
	s_waitcnt vmcnt(0)
	v_add_co_u32_e32 v10, vcc, v10, v18
	v_addc_co_u32_e32 v11, vcc, v11, v19, vcc
	v_cmp_lt_i64_e32 vcc, v[10:11], v[8:9]
	s_and_saveexec_b64 s[4:5], vcc
	s_cbranch_execz .LBB52_16
; %bb.18:                               ;   in Loop: Header=BB52_17 Depth=1
	v_mov_b32_e32 v2, s15
	v_add_co_u32_e32 v0, vcc, s14, v0
	v_addc_co_u32_e32 v1, vcc, v2, v1, vcc
	global_load_dwordx2 v[0:1], v[0:1], off
	s_mov_b64 s[6:7], 0
	s_waitcnt vmcnt(0)
	v_mul_f64 v[12:13], v[4:5], v[0:1]
	s_branch .LBB52_20
.LBB52_19:                              ;   in Loop: Header=BB52_20 Depth=2
	s_or_b64 exec, exec, s[22:23]
	v_add_co_u32_e32 v10, vcc, 16, v10
	v_addc_co_u32_e32 v11, vcc, 0, v11, vcc
	v_cmp_ge_i64_e32 vcc, v[10:11], v[8:9]
	s_or_b64 s[6:7], vcc, s[6:7]
	s_andn2_b64 exec, exec, s[6:7]
	s_cbranch_execz .LBB52_16
.LBB52_20:                              ;   Parent Loop BB52_17 Depth=1
                                        ; =>  This Loop Header: Depth=2
                                        ;       Child Loop BB52_22 Depth 3
	v_lshlrev_b64 v[0:1], 2, v[10:11]
	v_mov_b32_e32 v2, s11
	v_add_co_u32_e32 v0, vcc, s10, v0
	v_addc_co_u32_e32 v1, vcc, v2, v1, vcc
	global_load_dword v0, v[0:1], off
	s_waitcnt vmcnt(0)
	v_subrev_u32_e32 v0, s16, v0
	v_cmp_ne_u32_e32 vcc, v0, v6
	s_and_saveexec_b64 s[22:23], vcc
	s_cbranch_execz .LBB52_19
; %bb.21:                               ;   in Loop: Header=BB52_20 Depth=2
	v_lshlrev_b64 v[2:3], 3, v[10:11]
	v_mov_b32_e32 v1, s13
	v_add_co_u32_e32 v2, vcc, s12, v2
	v_addc_co_u32_e32 v3, vcc, v1, v3, vcc
	v_ashrrev_i32_e32 v1, 31, v0
	v_lshlrev_b64 v[0:1], 3, v[0:1]
	v_mov_b32_e32 v7, s21
	v_add_co_u32_e32 v14, vcc, s20, v0
	global_load_dwordx2 v[16:17], v[2:3], off
	v_addc_co_u32_e32 v15, vcc, v7, v1, vcc
	global_load_dwordx2 v[2:3], v[14:15], off
	s_mov_b64 s[24:25], 0
	s_waitcnt vmcnt(1)
	v_mul_f64 v[16:17], v[12:13], v[16:17]
.LBB52_22:                              ;   Parent Loop BB52_17 Depth=1
                                        ;     Parent Loop BB52_20 Depth=2
                                        ; =>    This Inner Loop Header: Depth=3
	s_waitcnt vmcnt(0)
	v_add_f64 v[0:1], v[2:3], v[16:17]
	global_atomic_cmpswap_x2 v[0:1], v[14:15], v[0:3], off glc
	s_waitcnt vmcnt(0)
	v_cmp_eq_u64_e32 vcc, v[0:1], v[2:3]
	s_or_b64 s[24:25], vcc, s[24:25]
	v_pk_mov_b32 v[2:3], v[0:1], v[0:1] op_sel:[0,1]
	s_andn2_b64 exec, exec, s[24:25]
	s_cbranch_execnz .LBB52_22
	s_branch .LBB52_19
.LBB52_23:
	s_endpgm
	.section	.rodata,"a",@progbits
	.p2align	6, 0x0
	.amdhsa_kernel _ZN9rocsparseL21csrmvt_general_kernelILj256ELj16EliddddEEvbbT2_NS_24const_host_device_scalarIT6_EEPKT1_S7_PKS1_PKT3_PKT4_PT5_21rocsparse_index_base_b
		.amdhsa_group_segment_fixed_size 0
		.amdhsa_private_segment_fixed_size 0
		.amdhsa_kernarg_size 328
		.amdhsa_user_sgpr_count 6
		.amdhsa_user_sgpr_private_segment_buffer 1
		.amdhsa_user_sgpr_dispatch_ptr 0
		.amdhsa_user_sgpr_queue_ptr 0
		.amdhsa_user_sgpr_kernarg_segment_ptr 1
		.amdhsa_user_sgpr_dispatch_id 0
		.amdhsa_user_sgpr_flat_scratch_init 0
		.amdhsa_user_sgpr_kernarg_preload_length 0
		.amdhsa_user_sgpr_kernarg_preload_offset 0
		.amdhsa_user_sgpr_private_segment_size 0
		.amdhsa_uses_dynamic_stack 0
		.amdhsa_system_sgpr_private_segment_wavefront_offset 0
		.amdhsa_system_sgpr_workgroup_id_x 1
		.amdhsa_system_sgpr_workgroup_id_y 0
		.amdhsa_system_sgpr_workgroup_id_z 0
		.amdhsa_system_sgpr_workgroup_info 0
		.amdhsa_system_vgpr_workitem_id 0
		.amdhsa_next_free_vgpr 25
		.amdhsa_next_free_sgpr 28
		.amdhsa_accum_offset 28
		.amdhsa_reserve_vcc 1
		.amdhsa_reserve_flat_scratch 0
		.amdhsa_float_round_mode_32 0
		.amdhsa_float_round_mode_16_64 0
		.amdhsa_float_denorm_mode_32 3
		.amdhsa_float_denorm_mode_16_64 3
		.amdhsa_dx10_clamp 1
		.amdhsa_ieee_mode 1
		.amdhsa_fp16_overflow 0
		.amdhsa_tg_split 0
		.amdhsa_exception_fp_ieee_invalid_op 0
		.amdhsa_exception_fp_denorm_src 0
		.amdhsa_exception_fp_ieee_div_zero 0
		.amdhsa_exception_fp_ieee_overflow 0
		.amdhsa_exception_fp_ieee_underflow 0
		.amdhsa_exception_fp_ieee_inexact 0
		.amdhsa_exception_int_div_zero 0
	.end_amdhsa_kernel
	.section	.text._ZN9rocsparseL21csrmvt_general_kernelILj256ELj16EliddddEEvbbT2_NS_24const_host_device_scalarIT6_EEPKT1_S7_PKS1_PKT3_PKT4_PT5_21rocsparse_index_base_b,"axG",@progbits,_ZN9rocsparseL21csrmvt_general_kernelILj256ELj16EliddddEEvbbT2_NS_24const_host_device_scalarIT6_EEPKT1_S7_PKS1_PKT3_PKT4_PT5_21rocsparse_index_base_b,comdat
.Lfunc_end52:
	.size	_ZN9rocsparseL21csrmvt_general_kernelILj256ELj16EliddddEEvbbT2_NS_24const_host_device_scalarIT6_EEPKT1_S7_PKS1_PKT3_PKT4_PT5_21rocsparse_index_base_b, .Lfunc_end52-_ZN9rocsparseL21csrmvt_general_kernelILj256ELj16EliddddEEvbbT2_NS_24const_host_device_scalarIT6_EEPKT1_S7_PKS1_PKT3_PKT4_PT5_21rocsparse_index_base_b
                                        ; -- End function
	.section	.AMDGPU.csdata,"",@progbits
; Kernel info:
; codeLenInByte = 948
; NumSgprs: 32
; NumVgprs: 25
; NumAgprs: 0
; TotalNumVgprs: 25
; ScratchSize: 0
; MemoryBound: 0
; FloatMode: 240
; IeeeMode: 1
; LDSByteSize: 0 bytes/workgroup (compile time only)
; SGPRBlocks: 3
; VGPRBlocks: 3
; NumSGPRsForWavesPerEU: 32
; NumVGPRsForWavesPerEU: 25
; AccumOffset: 28
; Occupancy: 8
; WaveLimiterHint : 1
; COMPUTE_PGM_RSRC2:SCRATCH_EN: 0
; COMPUTE_PGM_RSRC2:USER_SGPR: 6
; COMPUTE_PGM_RSRC2:TRAP_HANDLER: 0
; COMPUTE_PGM_RSRC2:TGID_X_EN: 1
; COMPUTE_PGM_RSRC2:TGID_Y_EN: 0
; COMPUTE_PGM_RSRC2:TGID_Z_EN: 0
; COMPUTE_PGM_RSRC2:TIDIG_COMP_CNT: 0
; COMPUTE_PGM_RSRC3_GFX90A:ACCUM_OFFSET: 6
; COMPUTE_PGM_RSRC3_GFX90A:TG_SPLIT: 0
	.section	.text._ZN9rocsparseL21csrmvt_general_kernelILj256ELj32EliddddEEvbbT2_NS_24const_host_device_scalarIT6_EEPKT1_S7_PKS1_PKT3_PKT4_PT5_21rocsparse_index_base_b,"axG",@progbits,_ZN9rocsparseL21csrmvt_general_kernelILj256ELj32EliddddEEvbbT2_NS_24const_host_device_scalarIT6_EEPKT1_S7_PKS1_PKT3_PKT4_PT5_21rocsparse_index_base_b,comdat
	.globl	_ZN9rocsparseL21csrmvt_general_kernelILj256ELj32EliddddEEvbbT2_NS_24const_host_device_scalarIT6_EEPKT1_S7_PKS1_PKT3_PKT4_PT5_21rocsparse_index_base_b ; -- Begin function _ZN9rocsparseL21csrmvt_general_kernelILj256ELj32EliddddEEvbbT2_NS_24const_host_device_scalarIT6_EEPKT1_S7_PKS1_PKT3_PKT4_PT5_21rocsparse_index_base_b
	.p2align	8
	.type	_ZN9rocsparseL21csrmvt_general_kernelILj256ELj32EliddddEEvbbT2_NS_24const_host_device_scalarIT6_EEPKT1_S7_PKS1_PKT3_PKT4_PT5_21rocsparse_index_base_b,@function
_ZN9rocsparseL21csrmvt_general_kernelILj256ELj32EliddddEEvbbT2_NS_24const_host_device_scalarIT6_EEPKT1_S7_PKS1_PKT3_PKT4_PT5_21rocsparse_index_base_b: ; @_ZN9rocsparseL21csrmvt_general_kernelILj256ELj32EliddddEEvbbT2_NS_24const_host_device_scalarIT6_EEPKT1_S7_PKS1_PKT3_PKT4_PT5_21rocsparse_index_base_b
; %bb.0:
	s_load_dwordx2 s[16:17], s[4:5], 0x40
	s_load_dwordx4 s[0:3], s[4:5], 0x8
	s_waitcnt lgkmcnt(0)
	s_bitcmp1_b32 s17, 0
	s_cselect_b64 s[8:9], -1, 0
	s_and_b64 vcc, exec, s[8:9]
	v_pk_mov_b32 v[4:5], s[0:1], s[0:1] op_sel:[0,1]
	s_cbranch_vccnz .LBB53_2
; %bb.1:
	v_pk_mov_b32 v[2:3], s[0:1], s[0:1] op_sel:[0,1]
	flat_load_dwordx2 v[4:5], v[2:3]
.LBB53_2:
	s_waitcnt vmcnt(0) lgkmcnt(0)
	v_cmp_neq_f64_e32 vcc, 0, v[4:5]
	s_and_saveexec_b64 s[0:1], vcc
	s_cbranch_execz .LBB53_23
; %bb.3:
	s_load_dwordx2 s[18:19], s[4:5], 0x0
	s_load_dword s0, s[4:5], 0x48
	s_load_dwordx2 s[20:21], s[4:5], 0x38
	s_load_dwordx8 s[8:15], s[4:5], 0x18
	v_and_b32_e32 v7, 31, v0
	v_lshl_or_b32 v0, s6, 8, v0
	s_waitcnt lgkmcnt(0)
	s_and_b32 s1, s18, 1
	s_lshl_b32 s17, s0, 3
	v_lshrrev_b32_e32 v6, 5, v0
	s_cmp_eq_u32 s1, 0
	v_cmp_gt_i32_e64 s[0:1], s19, v6
	s_mov_b64 s[4:5], -1
	s_cbranch_scc0 .LBB53_13
; %bb.4:
	s_and_saveexec_b64 s[4:5], s[0:1]
	s_cbranch_execz .LBB53_12
; %bb.5:
	v_subrev_co_u32_e32 v20, vcc, s16, v7
	s_mov_b32 s18, 0
	v_subb_co_u32_e64 v21, s[6:7], 0, 0, vcc
	s_mov_b64 s[6:7], 0
	v_mov_b32_e32 v22, s3
	v_mov_b32_e32 v23, s9
	v_mov_b32_e32 v24, s18
	v_mov_b32_e32 v8, v6
	s_branch .LBB53_7
.LBB53_6:                               ;   in Loop: Header=BB53_7 Depth=1
	s_or_b64 exec, exec, s[22:23]
	v_add_u32_e32 v8, s17, v8
	v_cmp_le_i32_e32 vcc, s19, v8
	s_or_b64 s[6:7], vcc, s[6:7]
	s_andn2_b64 exec, exec, s[6:7]
	s_cbranch_execz .LBB53_12
.LBB53_7:                               ; =>This Loop Header: Depth=1
                                        ;     Child Loop BB53_9 Depth 2
                                        ;       Child Loop BB53_10 Depth 3
	v_ashrrev_i32_e32 v9, 31, v8
	v_lshlrev_b64 v[0:1], 3, v[8:9]
	v_add_co_u32_e32 v2, vcc, s8, v0
	v_addc_co_u32_e32 v3, vcc, v23, v1, vcc
	global_load_dwordx2 v[2:3], v[2:3], off
	v_add_co_u32_e32 v10, vcc, s2, v0
	v_addc_co_u32_e32 v11, vcc, v22, v1, vcc
	global_load_dwordx2 v[12:13], v[10:11], off
	s_waitcnt vmcnt(1)
	v_subrev_co_u32_e32 v10, vcc, s16, v2
	v_subb_co_u32_e32 v11, vcc, v3, v24, vcc
	s_waitcnt vmcnt(0)
	v_add_co_u32_e32 v12, vcc, v12, v20
	v_addc_co_u32_e32 v13, vcc, v13, v21, vcc
	v_cmp_lt_i64_e32 vcc, v[12:13], v[10:11]
	s_and_saveexec_b64 s[22:23], vcc
	s_cbranch_execz .LBB53_6
; %bb.8:                                ;   in Loop: Header=BB53_7 Depth=1
	v_mov_b32_e32 v2, s15
	v_add_co_u32_e32 v0, vcc, s14, v0
	v_addc_co_u32_e32 v1, vcc, v2, v1, vcc
	global_load_dwordx2 v[0:1], v[0:1], off
	s_mov_b64 s[24:25], 0
	s_waitcnt vmcnt(0)
	v_mul_f64 v[14:15], v[4:5], v[0:1]
.LBB53_9:                               ;   Parent Loop BB53_7 Depth=1
                                        ; =>  This Loop Header: Depth=2
                                        ;       Child Loop BB53_10 Depth 3
	v_lshlrev_b64 v[0:1], 2, v[12:13]
	v_mov_b32_e32 v2, s11
	v_add_co_u32_e32 v0, vcc, s10, v0
	v_addc_co_u32_e32 v1, vcc, v2, v1, vcc
	global_load_dword v2, v[0:1], off
	v_lshlrev_b64 v[0:1], 3, v[12:13]
	v_mov_b32_e32 v3, s13
	v_add_co_u32_e32 v0, vcc, s12, v0
	v_addc_co_u32_e32 v1, vcc, v3, v1, vcc
	v_mov_b32_e32 v9, s21
	global_load_dwordx2 v[0:1], v[0:1], off
	s_mov_b64 s[26:27], 0
	s_waitcnt vmcnt(1)
	v_subrev_u32_e32 v2, s16, v2
	v_ashrrev_i32_e32 v3, 31, v2
	v_lshlrev_b64 v[2:3], 3, v[2:3]
	v_add_co_u32_e32 v16, vcc, s20, v2
	v_addc_co_u32_e32 v17, vcc, v9, v3, vcc
	global_load_dwordx2 v[2:3], v[16:17], off
	s_waitcnt vmcnt(1)
	v_mul_f64 v[18:19], v[14:15], v[0:1]
.LBB53_10:                              ;   Parent Loop BB53_7 Depth=1
                                        ;     Parent Loop BB53_9 Depth=2
                                        ; =>    This Inner Loop Header: Depth=3
	s_waitcnt vmcnt(0)
	v_add_f64 v[0:1], v[2:3], v[18:19]
	global_atomic_cmpswap_x2 v[0:1], v[16:17], v[0:3], off glc
	s_waitcnt vmcnt(0)
	v_cmp_eq_u64_e32 vcc, v[0:1], v[2:3]
	s_or_b64 s[26:27], vcc, s[26:27]
	v_pk_mov_b32 v[2:3], v[0:1], v[0:1] op_sel:[0,1]
	s_andn2_b64 exec, exec, s[26:27]
	s_cbranch_execnz .LBB53_10
; %bb.11:                               ;   in Loop: Header=BB53_9 Depth=2
	s_or_b64 exec, exec, s[26:27]
	v_add_co_u32_e32 v12, vcc, 32, v12
	v_addc_co_u32_e32 v13, vcc, 0, v13, vcc
	v_cmp_ge_i64_e32 vcc, v[12:13], v[10:11]
	s_or_b64 s[24:25], vcc, s[24:25]
	s_andn2_b64 exec, exec, s[24:25]
	s_cbranch_execnz .LBB53_9
	s_branch .LBB53_6
.LBB53_12:
	s_or_b64 exec, exec, s[4:5]
	s_mov_b64 s[4:5], 0
.LBB53_13:
	s_andn2_b64 vcc, exec, s[4:5]
	s_cbranch_vccnz .LBB53_23
; %bb.14:
	s_and_b64 exec, exec, s[0:1]
	s_cbranch_execz .LBB53_23
; %bb.15:
	v_subrev_co_u32_e32 v18, vcc, s16, v7
	s_mov_b32 s4, 0
	v_subb_co_u32_e64 v19, s[0:1], 0, 0, vcc
	s_mov_b64 s[0:1], 0
	v_mov_b32_e32 v20, s3
	v_mov_b32_e32 v21, s9
	;; [unrolled: 1-line block ×3, first 2 shown]
	s_branch .LBB53_17
.LBB53_16:                              ;   in Loop: Header=BB53_17 Depth=1
	s_or_b64 exec, exec, s[4:5]
	v_add_u32_e32 v6, s17, v6
	v_cmp_le_i32_e32 vcc, s19, v6
	s_or_b64 s[0:1], vcc, s[0:1]
	s_andn2_b64 exec, exec, s[0:1]
	s_cbranch_execz .LBB53_23
.LBB53_17:                              ; =>This Loop Header: Depth=1
                                        ;     Child Loop BB53_20 Depth 2
                                        ;       Child Loop BB53_22 Depth 3
	v_ashrrev_i32_e32 v7, 31, v6
	v_lshlrev_b64 v[0:1], 3, v[6:7]
	v_add_co_u32_e32 v2, vcc, s8, v0
	v_addc_co_u32_e32 v3, vcc, v21, v1, vcc
	global_load_dwordx2 v[2:3], v[2:3], off
	v_add_co_u32_e32 v8, vcc, s2, v0
	v_addc_co_u32_e32 v9, vcc, v20, v1, vcc
	global_load_dwordx2 v[10:11], v[8:9], off
	s_waitcnt vmcnt(1)
	v_subrev_co_u32_e32 v8, vcc, s16, v2
	v_subb_co_u32_e32 v9, vcc, v3, v22, vcc
	s_waitcnt vmcnt(0)
	v_add_co_u32_e32 v10, vcc, v10, v18
	v_addc_co_u32_e32 v11, vcc, v11, v19, vcc
	v_cmp_lt_i64_e32 vcc, v[10:11], v[8:9]
	s_and_saveexec_b64 s[4:5], vcc
	s_cbranch_execz .LBB53_16
; %bb.18:                               ;   in Loop: Header=BB53_17 Depth=1
	v_mov_b32_e32 v2, s15
	v_add_co_u32_e32 v0, vcc, s14, v0
	v_addc_co_u32_e32 v1, vcc, v2, v1, vcc
	global_load_dwordx2 v[0:1], v[0:1], off
	s_mov_b64 s[6:7], 0
	s_waitcnt vmcnt(0)
	v_mul_f64 v[12:13], v[4:5], v[0:1]
	s_branch .LBB53_20
.LBB53_19:                              ;   in Loop: Header=BB53_20 Depth=2
	s_or_b64 exec, exec, s[22:23]
	v_add_co_u32_e32 v10, vcc, 32, v10
	v_addc_co_u32_e32 v11, vcc, 0, v11, vcc
	v_cmp_ge_i64_e32 vcc, v[10:11], v[8:9]
	s_or_b64 s[6:7], vcc, s[6:7]
	s_andn2_b64 exec, exec, s[6:7]
	s_cbranch_execz .LBB53_16
.LBB53_20:                              ;   Parent Loop BB53_17 Depth=1
                                        ; =>  This Loop Header: Depth=2
                                        ;       Child Loop BB53_22 Depth 3
	v_lshlrev_b64 v[0:1], 2, v[10:11]
	v_mov_b32_e32 v2, s11
	v_add_co_u32_e32 v0, vcc, s10, v0
	v_addc_co_u32_e32 v1, vcc, v2, v1, vcc
	global_load_dword v0, v[0:1], off
	s_waitcnt vmcnt(0)
	v_subrev_u32_e32 v0, s16, v0
	v_cmp_ne_u32_e32 vcc, v0, v6
	s_and_saveexec_b64 s[22:23], vcc
	s_cbranch_execz .LBB53_19
; %bb.21:                               ;   in Loop: Header=BB53_20 Depth=2
	v_lshlrev_b64 v[2:3], 3, v[10:11]
	v_mov_b32_e32 v1, s13
	v_add_co_u32_e32 v2, vcc, s12, v2
	v_addc_co_u32_e32 v3, vcc, v1, v3, vcc
	v_ashrrev_i32_e32 v1, 31, v0
	v_lshlrev_b64 v[0:1], 3, v[0:1]
	v_mov_b32_e32 v7, s21
	v_add_co_u32_e32 v14, vcc, s20, v0
	global_load_dwordx2 v[16:17], v[2:3], off
	v_addc_co_u32_e32 v15, vcc, v7, v1, vcc
	global_load_dwordx2 v[2:3], v[14:15], off
	s_mov_b64 s[24:25], 0
	s_waitcnt vmcnt(1)
	v_mul_f64 v[16:17], v[12:13], v[16:17]
.LBB53_22:                              ;   Parent Loop BB53_17 Depth=1
                                        ;     Parent Loop BB53_20 Depth=2
                                        ; =>    This Inner Loop Header: Depth=3
	s_waitcnt vmcnt(0)
	v_add_f64 v[0:1], v[2:3], v[16:17]
	global_atomic_cmpswap_x2 v[0:1], v[14:15], v[0:3], off glc
	s_waitcnt vmcnt(0)
	v_cmp_eq_u64_e32 vcc, v[0:1], v[2:3]
	s_or_b64 s[24:25], vcc, s[24:25]
	v_pk_mov_b32 v[2:3], v[0:1], v[0:1] op_sel:[0,1]
	s_andn2_b64 exec, exec, s[24:25]
	s_cbranch_execnz .LBB53_22
	s_branch .LBB53_19
.LBB53_23:
	s_endpgm
	.section	.rodata,"a",@progbits
	.p2align	6, 0x0
	.amdhsa_kernel _ZN9rocsparseL21csrmvt_general_kernelILj256ELj32EliddddEEvbbT2_NS_24const_host_device_scalarIT6_EEPKT1_S7_PKS1_PKT3_PKT4_PT5_21rocsparse_index_base_b
		.amdhsa_group_segment_fixed_size 0
		.amdhsa_private_segment_fixed_size 0
		.amdhsa_kernarg_size 328
		.amdhsa_user_sgpr_count 6
		.amdhsa_user_sgpr_private_segment_buffer 1
		.amdhsa_user_sgpr_dispatch_ptr 0
		.amdhsa_user_sgpr_queue_ptr 0
		.amdhsa_user_sgpr_kernarg_segment_ptr 1
		.amdhsa_user_sgpr_dispatch_id 0
		.amdhsa_user_sgpr_flat_scratch_init 0
		.amdhsa_user_sgpr_kernarg_preload_length 0
		.amdhsa_user_sgpr_kernarg_preload_offset 0
		.amdhsa_user_sgpr_private_segment_size 0
		.amdhsa_uses_dynamic_stack 0
		.amdhsa_system_sgpr_private_segment_wavefront_offset 0
		.amdhsa_system_sgpr_workgroup_id_x 1
		.amdhsa_system_sgpr_workgroup_id_y 0
		.amdhsa_system_sgpr_workgroup_id_z 0
		.amdhsa_system_sgpr_workgroup_info 0
		.amdhsa_system_vgpr_workitem_id 0
		.amdhsa_next_free_vgpr 25
		.amdhsa_next_free_sgpr 28
		.amdhsa_accum_offset 28
		.amdhsa_reserve_vcc 1
		.amdhsa_reserve_flat_scratch 0
		.amdhsa_float_round_mode_32 0
		.amdhsa_float_round_mode_16_64 0
		.amdhsa_float_denorm_mode_32 3
		.amdhsa_float_denorm_mode_16_64 3
		.amdhsa_dx10_clamp 1
		.amdhsa_ieee_mode 1
		.amdhsa_fp16_overflow 0
		.amdhsa_tg_split 0
		.amdhsa_exception_fp_ieee_invalid_op 0
		.amdhsa_exception_fp_denorm_src 0
		.amdhsa_exception_fp_ieee_div_zero 0
		.amdhsa_exception_fp_ieee_overflow 0
		.amdhsa_exception_fp_ieee_underflow 0
		.amdhsa_exception_fp_ieee_inexact 0
		.amdhsa_exception_int_div_zero 0
	.end_amdhsa_kernel
	.section	.text._ZN9rocsparseL21csrmvt_general_kernelILj256ELj32EliddddEEvbbT2_NS_24const_host_device_scalarIT6_EEPKT1_S7_PKS1_PKT3_PKT4_PT5_21rocsparse_index_base_b,"axG",@progbits,_ZN9rocsparseL21csrmvt_general_kernelILj256ELj32EliddddEEvbbT2_NS_24const_host_device_scalarIT6_EEPKT1_S7_PKS1_PKT3_PKT4_PT5_21rocsparse_index_base_b,comdat
.Lfunc_end53:
	.size	_ZN9rocsparseL21csrmvt_general_kernelILj256ELj32EliddddEEvbbT2_NS_24const_host_device_scalarIT6_EEPKT1_S7_PKS1_PKT3_PKT4_PT5_21rocsparse_index_base_b, .Lfunc_end53-_ZN9rocsparseL21csrmvt_general_kernelILj256ELj32EliddddEEvbbT2_NS_24const_host_device_scalarIT6_EEPKT1_S7_PKS1_PKT3_PKT4_PT5_21rocsparse_index_base_b
                                        ; -- End function
	.section	.AMDGPU.csdata,"",@progbits
; Kernel info:
; codeLenInByte = 948
; NumSgprs: 32
; NumVgprs: 25
; NumAgprs: 0
; TotalNumVgprs: 25
; ScratchSize: 0
; MemoryBound: 0
; FloatMode: 240
; IeeeMode: 1
; LDSByteSize: 0 bytes/workgroup (compile time only)
; SGPRBlocks: 3
; VGPRBlocks: 3
; NumSGPRsForWavesPerEU: 32
; NumVGPRsForWavesPerEU: 25
; AccumOffset: 28
; Occupancy: 8
; WaveLimiterHint : 1
; COMPUTE_PGM_RSRC2:SCRATCH_EN: 0
; COMPUTE_PGM_RSRC2:USER_SGPR: 6
; COMPUTE_PGM_RSRC2:TRAP_HANDLER: 0
; COMPUTE_PGM_RSRC2:TGID_X_EN: 1
; COMPUTE_PGM_RSRC2:TGID_Y_EN: 0
; COMPUTE_PGM_RSRC2:TGID_Z_EN: 0
; COMPUTE_PGM_RSRC2:TIDIG_COMP_CNT: 0
; COMPUTE_PGM_RSRC3_GFX90A:ACCUM_OFFSET: 6
; COMPUTE_PGM_RSRC3_GFX90A:TG_SPLIT: 0
	.section	.text._ZN9rocsparseL21csrmvt_general_kernelILj256ELj64EliddddEEvbbT2_NS_24const_host_device_scalarIT6_EEPKT1_S7_PKS1_PKT3_PKT4_PT5_21rocsparse_index_base_b,"axG",@progbits,_ZN9rocsparseL21csrmvt_general_kernelILj256ELj64EliddddEEvbbT2_NS_24const_host_device_scalarIT6_EEPKT1_S7_PKS1_PKT3_PKT4_PT5_21rocsparse_index_base_b,comdat
	.globl	_ZN9rocsparseL21csrmvt_general_kernelILj256ELj64EliddddEEvbbT2_NS_24const_host_device_scalarIT6_EEPKT1_S7_PKS1_PKT3_PKT4_PT5_21rocsparse_index_base_b ; -- Begin function _ZN9rocsparseL21csrmvt_general_kernelILj256ELj64EliddddEEvbbT2_NS_24const_host_device_scalarIT6_EEPKT1_S7_PKS1_PKT3_PKT4_PT5_21rocsparse_index_base_b
	.p2align	8
	.type	_ZN9rocsparseL21csrmvt_general_kernelILj256ELj64EliddddEEvbbT2_NS_24const_host_device_scalarIT6_EEPKT1_S7_PKS1_PKT3_PKT4_PT5_21rocsparse_index_base_b,@function
_ZN9rocsparseL21csrmvt_general_kernelILj256ELj64EliddddEEvbbT2_NS_24const_host_device_scalarIT6_EEPKT1_S7_PKS1_PKT3_PKT4_PT5_21rocsparse_index_base_b: ; @_ZN9rocsparseL21csrmvt_general_kernelILj256ELj64EliddddEEvbbT2_NS_24const_host_device_scalarIT6_EEPKT1_S7_PKS1_PKT3_PKT4_PT5_21rocsparse_index_base_b
; %bb.0:
	s_load_dwordx2 s[16:17], s[4:5], 0x40
	s_load_dwordx4 s[0:3], s[4:5], 0x8
	s_waitcnt lgkmcnt(0)
	s_bitcmp1_b32 s17, 0
	s_cselect_b64 s[8:9], -1, 0
	s_and_b64 vcc, exec, s[8:9]
	v_pk_mov_b32 v[4:5], s[0:1], s[0:1] op_sel:[0,1]
	s_cbranch_vccnz .LBB54_2
; %bb.1:
	v_pk_mov_b32 v[2:3], s[0:1], s[0:1] op_sel:[0,1]
	flat_load_dwordx2 v[4:5], v[2:3]
.LBB54_2:
	s_waitcnt vmcnt(0) lgkmcnt(0)
	v_cmp_neq_f64_e32 vcc, 0, v[4:5]
	s_and_saveexec_b64 s[0:1], vcc
	s_cbranch_execz .LBB54_23
; %bb.3:
	s_load_dwordx2 s[18:19], s[4:5], 0x0
	s_load_dword s0, s[4:5], 0x48
	s_load_dwordx2 s[20:21], s[4:5], 0x38
	s_load_dwordx8 s[8:15], s[4:5], 0x18
	v_and_b32_e32 v7, 63, v0
	v_lshl_or_b32 v0, s6, 8, v0
	s_waitcnt lgkmcnt(0)
	s_and_b32 s1, s18, 1
	s_lshl_b32 s17, s0, 2
	v_lshrrev_b32_e32 v6, 6, v0
	s_cmp_eq_u32 s1, 0
	v_cmp_gt_i32_e64 s[0:1], s19, v6
	s_mov_b64 s[4:5], -1
	s_cbranch_scc0 .LBB54_13
; %bb.4:
	s_and_saveexec_b64 s[4:5], s[0:1]
	s_cbranch_execz .LBB54_12
; %bb.5:
	v_subrev_co_u32_e32 v20, vcc, s16, v7
	s_mov_b32 s18, 0
	v_subb_co_u32_e64 v21, s[6:7], 0, 0, vcc
	s_mov_b64 s[6:7], 0
	v_mov_b32_e32 v22, s3
	v_mov_b32_e32 v23, s9
	v_mov_b32_e32 v24, s18
	v_mov_b32_e32 v8, v6
	s_branch .LBB54_7
.LBB54_6:                               ;   in Loop: Header=BB54_7 Depth=1
	s_or_b64 exec, exec, s[22:23]
	v_add_u32_e32 v8, s17, v8
	v_cmp_le_i32_e32 vcc, s19, v8
	s_or_b64 s[6:7], vcc, s[6:7]
	s_andn2_b64 exec, exec, s[6:7]
	s_cbranch_execz .LBB54_12
.LBB54_7:                               ; =>This Loop Header: Depth=1
                                        ;     Child Loop BB54_9 Depth 2
                                        ;       Child Loop BB54_10 Depth 3
	v_ashrrev_i32_e32 v9, 31, v8
	v_lshlrev_b64 v[0:1], 3, v[8:9]
	v_add_co_u32_e32 v2, vcc, s8, v0
	v_addc_co_u32_e32 v3, vcc, v23, v1, vcc
	global_load_dwordx2 v[2:3], v[2:3], off
	v_add_co_u32_e32 v10, vcc, s2, v0
	v_addc_co_u32_e32 v11, vcc, v22, v1, vcc
	global_load_dwordx2 v[12:13], v[10:11], off
	s_waitcnt vmcnt(1)
	v_subrev_co_u32_e32 v10, vcc, s16, v2
	v_subb_co_u32_e32 v11, vcc, v3, v24, vcc
	s_waitcnt vmcnt(0)
	v_add_co_u32_e32 v12, vcc, v12, v20
	v_addc_co_u32_e32 v13, vcc, v13, v21, vcc
	v_cmp_lt_i64_e32 vcc, v[12:13], v[10:11]
	s_and_saveexec_b64 s[22:23], vcc
	s_cbranch_execz .LBB54_6
; %bb.8:                                ;   in Loop: Header=BB54_7 Depth=1
	v_mov_b32_e32 v2, s15
	v_add_co_u32_e32 v0, vcc, s14, v0
	v_addc_co_u32_e32 v1, vcc, v2, v1, vcc
	global_load_dwordx2 v[0:1], v[0:1], off
	s_mov_b64 s[24:25], 0
	s_waitcnt vmcnt(0)
	v_mul_f64 v[14:15], v[4:5], v[0:1]
.LBB54_9:                               ;   Parent Loop BB54_7 Depth=1
                                        ; =>  This Loop Header: Depth=2
                                        ;       Child Loop BB54_10 Depth 3
	v_lshlrev_b64 v[0:1], 2, v[12:13]
	v_mov_b32_e32 v2, s11
	v_add_co_u32_e32 v0, vcc, s10, v0
	v_addc_co_u32_e32 v1, vcc, v2, v1, vcc
	global_load_dword v2, v[0:1], off
	v_lshlrev_b64 v[0:1], 3, v[12:13]
	v_mov_b32_e32 v3, s13
	v_add_co_u32_e32 v0, vcc, s12, v0
	v_addc_co_u32_e32 v1, vcc, v3, v1, vcc
	v_mov_b32_e32 v9, s21
	global_load_dwordx2 v[0:1], v[0:1], off
	s_mov_b64 s[26:27], 0
	s_waitcnt vmcnt(1)
	v_subrev_u32_e32 v2, s16, v2
	v_ashrrev_i32_e32 v3, 31, v2
	v_lshlrev_b64 v[2:3], 3, v[2:3]
	v_add_co_u32_e32 v16, vcc, s20, v2
	v_addc_co_u32_e32 v17, vcc, v9, v3, vcc
	global_load_dwordx2 v[2:3], v[16:17], off
	s_waitcnt vmcnt(1)
	v_mul_f64 v[18:19], v[14:15], v[0:1]
.LBB54_10:                              ;   Parent Loop BB54_7 Depth=1
                                        ;     Parent Loop BB54_9 Depth=2
                                        ; =>    This Inner Loop Header: Depth=3
	s_waitcnt vmcnt(0)
	v_add_f64 v[0:1], v[2:3], v[18:19]
	global_atomic_cmpswap_x2 v[0:1], v[16:17], v[0:3], off glc
	s_waitcnt vmcnt(0)
	v_cmp_eq_u64_e32 vcc, v[0:1], v[2:3]
	s_or_b64 s[26:27], vcc, s[26:27]
	v_pk_mov_b32 v[2:3], v[0:1], v[0:1] op_sel:[0,1]
	s_andn2_b64 exec, exec, s[26:27]
	s_cbranch_execnz .LBB54_10
; %bb.11:                               ;   in Loop: Header=BB54_9 Depth=2
	s_or_b64 exec, exec, s[26:27]
	v_add_co_u32_e32 v12, vcc, 64, v12
	v_addc_co_u32_e32 v13, vcc, 0, v13, vcc
	v_cmp_ge_i64_e32 vcc, v[12:13], v[10:11]
	s_or_b64 s[24:25], vcc, s[24:25]
	s_andn2_b64 exec, exec, s[24:25]
	s_cbranch_execnz .LBB54_9
	s_branch .LBB54_6
.LBB54_12:
	s_or_b64 exec, exec, s[4:5]
	s_mov_b64 s[4:5], 0
.LBB54_13:
	s_andn2_b64 vcc, exec, s[4:5]
	s_cbranch_vccnz .LBB54_23
; %bb.14:
	s_and_b64 exec, exec, s[0:1]
	s_cbranch_execz .LBB54_23
; %bb.15:
	v_subrev_co_u32_e32 v18, vcc, s16, v7
	s_mov_b32 s4, 0
	v_subb_co_u32_e64 v19, s[0:1], 0, 0, vcc
	s_mov_b64 s[0:1], 0
	v_mov_b32_e32 v20, s3
	v_mov_b32_e32 v21, s9
	;; [unrolled: 1-line block ×3, first 2 shown]
	s_branch .LBB54_17
.LBB54_16:                              ;   in Loop: Header=BB54_17 Depth=1
	s_or_b64 exec, exec, s[4:5]
	v_add_u32_e32 v6, s17, v6
	v_cmp_le_i32_e32 vcc, s19, v6
	s_or_b64 s[0:1], vcc, s[0:1]
	s_andn2_b64 exec, exec, s[0:1]
	s_cbranch_execz .LBB54_23
.LBB54_17:                              ; =>This Loop Header: Depth=1
                                        ;     Child Loop BB54_20 Depth 2
                                        ;       Child Loop BB54_22 Depth 3
	v_ashrrev_i32_e32 v7, 31, v6
	v_lshlrev_b64 v[0:1], 3, v[6:7]
	v_add_co_u32_e32 v2, vcc, s8, v0
	v_addc_co_u32_e32 v3, vcc, v21, v1, vcc
	global_load_dwordx2 v[2:3], v[2:3], off
	v_add_co_u32_e32 v8, vcc, s2, v0
	v_addc_co_u32_e32 v9, vcc, v20, v1, vcc
	global_load_dwordx2 v[10:11], v[8:9], off
	s_waitcnt vmcnt(1)
	v_subrev_co_u32_e32 v8, vcc, s16, v2
	v_subb_co_u32_e32 v9, vcc, v3, v22, vcc
	s_waitcnt vmcnt(0)
	v_add_co_u32_e32 v10, vcc, v10, v18
	v_addc_co_u32_e32 v11, vcc, v11, v19, vcc
	v_cmp_lt_i64_e32 vcc, v[10:11], v[8:9]
	s_and_saveexec_b64 s[4:5], vcc
	s_cbranch_execz .LBB54_16
; %bb.18:                               ;   in Loop: Header=BB54_17 Depth=1
	v_mov_b32_e32 v2, s15
	v_add_co_u32_e32 v0, vcc, s14, v0
	v_addc_co_u32_e32 v1, vcc, v2, v1, vcc
	global_load_dwordx2 v[0:1], v[0:1], off
	s_mov_b64 s[6:7], 0
	s_waitcnt vmcnt(0)
	v_mul_f64 v[12:13], v[4:5], v[0:1]
	s_branch .LBB54_20
.LBB54_19:                              ;   in Loop: Header=BB54_20 Depth=2
	s_or_b64 exec, exec, s[22:23]
	v_add_co_u32_e32 v10, vcc, 64, v10
	v_addc_co_u32_e32 v11, vcc, 0, v11, vcc
	v_cmp_ge_i64_e32 vcc, v[10:11], v[8:9]
	s_or_b64 s[6:7], vcc, s[6:7]
	s_andn2_b64 exec, exec, s[6:7]
	s_cbranch_execz .LBB54_16
.LBB54_20:                              ;   Parent Loop BB54_17 Depth=1
                                        ; =>  This Loop Header: Depth=2
                                        ;       Child Loop BB54_22 Depth 3
	v_lshlrev_b64 v[0:1], 2, v[10:11]
	v_mov_b32_e32 v2, s11
	v_add_co_u32_e32 v0, vcc, s10, v0
	v_addc_co_u32_e32 v1, vcc, v2, v1, vcc
	global_load_dword v0, v[0:1], off
	s_waitcnt vmcnt(0)
	v_subrev_u32_e32 v0, s16, v0
	v_cmp_ne_u32_e32 vcc, v0, v6
	s_and_saveexec_b64 s[22:23], vcc
	s_cbranch_execz .LBB54_19
; %bb.21:                               ;   in Loop: Header=BB54_20 Depth=2
	v_lshlrev_b64 v[2:3], 3, v[10:11]
	v_mov_b32_e32 v1, s13
	v_add_co_u32_e32 v2, vcc, s12, v2
	v_addc_co_u32_e32 v3, vcc, v1, v3, vcc
	v_ashrrev_i32_e32 v1, 31, v0
	v_lshlrev_b64 v[0:1], 3, v[0:1]
	v_mov_b32_e32 v7, s21
	v_add_co_u32_e32 v14, vcc, s20, v0
	global_load_dwordx2 v[16:17], v[2:3], off
	v_addc_co_u32_e32 v15, vcc, v7, v1, vcc
	global_load_dwordx2 v[2:3], v[14:15], off
	s_mov_b64 s[24:25], 0
	s_waitcnt vmcnt(1)
	v_mul_f64 v[16:17], v[12:13], v[16:17]
.LBB54_22:                              ;   Parent Loop BB54_17 Depth=1
                                        ;     Parent Loop BB54_20 Depth=2
                                        ; =>    This Inner Loop Header: Depth=3
	s_waitcnt vmcnt(0)
	v_add_f64 v[0:1], v[2:3], v[16:17]
	global_atomic_cmpswap_x2 v[0:1], v[14:15], v[0:3], off glc
	s_waitcnt vmcnt(0)
	v_cmp_eq_u64_e32 vcc, v[0:1], v[2:3]
	s_or_b64 s[24:25], vcc, s[24:25]
	v_pk_mov_b32 v[2:3], v[0:1], v[0:1] op_sel:[0,1]
	s_andn2_b64 exec, exec, s[24:25]
	s_cbranch_execnz .LBB54_22
	s_branch .LBB54_19
.LBB54_23:
	s_endpgm
	.section	.rodata,"a",@progbits
	.p2align	6, 0x0
	.amdhsa_kernel _ZN9rocsparseL21csrmvt_general_kernelILj256ELj64EliddddEEvbbT2_NS_24const_host_device_scalarIT6_EEPKT1_S7_PKS1_PKT3_PKT4_PT5_21rocsparse_index_base_b
		.amdhsa_group_segment_fixed_size 0
		.amdhsa_private_segment_fixed_size 0
		.amdhsa_kernarg_size 328
		.amdhsa_user_sgpr_count 6
		.amdhsa_user_sgpr_private_segment_buffer 1
		.amdhsa_user_sgpr_dispatch_ptr 0
		.amdhsa_user_sgpr_queue_ptr 0
		.amdhsa_user_sgpr_kernarg_segment_ptr 1
		.amdhsa_user_sgpr_dispatch_id 0
		.amdhsa_user_sgpr_flat_scratch_init 0
		.amdhsa_user_sgpr_kernarg_preload_length 0
		.amdhsa_user_sgpr_kernarg_preload_offset 0
		.amdhsa_user_sgpr_private_segment_size 0
		.amdhsa_uses_dynamic_stack 0
		.amdhsa_system_sgpr_private_segment_wavefront_offset 0
		.amdhsa_system_sgpr_workgroup_id_x 1
		.amdhsa_system_sgpr_workgroup_id_y 0
		.amdhsa_system_sgpr_workgroup_id_z 0
		.amdhsa_system_sgpr_workgroup_info 0
		.amdhsa_system_vgpr_workitem_id 0
		.amdhsa_next_free_vgpr 25
		.amdhsa_next_free_sgpr 28
		.amdhsa_accum_offset 28
		.amdhsa_reserve_vcc 1
		.amdhsa_reserve_flat_scratch 0
		.amdhsa_float_round_mode_32 0
		.amdhsa_float_round_mode_16_64 0
		.amdhsa_float_denorm_mode_32 3
		.amdhsa_float_denorm_mode_16_64 3
		.amdhsa_dx10_clamp 1
		.amdhsa_ieee_mode 1
		.amdhsa_fp16_overflow 0
		.amdhsa_tg_split 0
		.amdhsa_exception_fp_ieee_invalid_op 0
		.amdhsa_exception_fp_denorm_src 0
		.amdhsa_exception_fp_ieee_div_zero 0
		.amdhsa_exception_fp_ieee_overflow 0
		.amdhsa_exception_fp_ieee_underflow 0
		.amdhsa_exception_fp_ieee_inexact 0
		.amdhsa_exception_int_div_zero 0
	.end_amdhsa_kernel
	.section	.text._ZN9rocsparseL21csrmvt_general_kernelILj256ELj64EliddddEEvbbT2_NS_24const_host_device_scalarIT6_EEPKT1_S7_PKS1_PKT3_PKT4_PT5_21rocsparse_index_base_b,"axG",@progbits,_ZN9rocsparseL21csrmvt_general_kernelILj256ELj64EliddddEEvbbT2_NS_24const_host_device_scalarIT6_EEPKT1_S7_PKS1_PKT3_PKT4_PT5_21rocsparse_index_base_b,comdat
.Lfunc_end54:
	.size	_ZN9rocsparseL21csrmvt_general_kernelILj256ELj64EliddddEEvbbT2_NS_24const_host_device_scalarIT6_EEPKT1_S7_PKS1_PKT3_PKT4_PT5_21rocsparse_index_base_b, .Lfunc_end54-_ZN9rocsparseL21csrmvt_general_kernelILj256ELj64EliddddEEvbbT2_NS_24const_host_device_scalarIT6_EEPKT1_S7_PKS1_PKT3_PKT4_PT5_21rocsparse_index_base_b
                                        ; -- End function
	.section	.AMDGPU.csdata,"",@progbits
; Kernel info:
; codeLenInByte = 948
; NumSgprs: 32
; NumVgprs: 25
; NumAgprs: 0
; TotalNumVgprs: 25
; ScratchSize: 0
; MemoryBound: 0
; FloatMode: 240
; IeeeMode: 1
; LDSByteSize: 0 bytes/workgroup (compile time only)
; SGPRBlocks: 3
; VGPRBlocks: 3
; NumSGPRsForWavesPerEU: 32
; NumVGPRsForWavesPerEU: 25
; AccumOffset: 28
; Occupancy: 8
; WaveLimiterHint : 1
; COMPUTE_PGM_RSRC2:SCRATCH_EN: 0
; COMPUTE_PGM_RSRC2:USER_SGPR: 6
; COMPUTE_PGM_RSRC2:TRAP_HANDLER: 0
; COMPUTE_PGM_RSRC2:TGID_X_EN: 1
; COMPUTE_PGM_RSRC2:TGID_Y_EN: 0
; COMPUTE_PGM_RSRC2:TGID_Z_EN: 0
; COMPUTE_PGM_RSRC2:TIDIG_COMP_CNT: 0
; COMPUTE_PGM_RSRC3_GFX90A:ACCUM_OFFSET: 6
; COMPUTE_PGM_RSRC3_GFX90A:TG_SPLIT: 0
	.section	.text._ZN9rocsparseL21csrmvn_general_kernelILj256ELj2EllddddEEvbT2_NS_24const_host_device_scalarIT6_EEPKT1_S7_PKS1_PKT3_PKT4_S4_PT5_21rocsparse_index_base_b,"axG",@progbits,_ZN9rocsparseL21csrmvn_general_kernelILj256ELj2EllddddEEvbT2_NS_24const_host_device_scalarIT6_EEPKT1_S7_PKS1_PKT3_PKT4_S4_PT5_21rocsparse_index_base_b,comdat
	.globl	_ZN9rocsparseL21csrmvn_general_kernelILj256ELj2EllddddEEvbT2_NS_24const_host_device_scalarIT6_EEPKT1_S7_PKS1_PKT3_PKT4_S4_PT5_21rocsparse_index_base_b ; -- Begin function _ZN9rocsparseL21csrmvn_general_kernelILj256ELj2EllddddEEvbT2_NS_24const_host_device_scalarIT6_EEPKT1_S7_PKS1_PKT3_PKT4_S4_PT5_21rocsparse_index_base_b
	.p2align	8
	.type	_ZN9rocsparseL21csrmvn_general_kernelILj256ELj2EllddddEEvbT2_NS_24const_host_device_scalarIT6_EEPKT1_S7_PKS1_PKT3_PKT4_S4_PT5_21rocsparse_index_base_b,@function
_ZN9rocsparseL21csrmvn_general_kernelILj256ELj2EllddddEEvbT2_NS_24const_host_device_scalarIT6_EEPKT1_S7_PKS1_PKT3_PKT4_S4_PT5_21rocsparse_index_base_b: ; @_ZN9rocsparseL21csrmvn_general_kernelILj256ELj2EllddddEEvbT2_NS_24const_host_device_scalarIT6_EEPKT1_S7_PKS1_PKT3_PKT4_S4_PT5_21rocsparse_index_base_b
; %bb.0:
	s_load_dwordx2 s[20:21], s[4:5], 0x50
	s_load_dwordx2 s[0:1], s[4:5], 0x40
	s_load_dwordx8 s[8:15], s[4:5], 0x8
	s_waitcnt lgkmcnt(0)
	s_bitcmp1_b32 s21, 0
	s_cselect_b64 s[16:17], -1, 0
	s_xor_b64 s[2:3], s[16:17], -1
	s_and_b64 vcc, exec, s[16:17]
	v_pk_mov_b32 v[2:3], s[10:11], s[10:11] op_sel:[0,1]
	s_cbranch_vccnz .LBB55_2
; %bb.1:
	v_pk_mov_b32 v[2:3], s[10:11], s[10:11] op_sel:[0,1]
	flat_load_dwordx2 v[2:3], v[2:3]
.LBB55_2:
	s_andn2_b64 vcc, exec, s[2:3]
	v_pk_mov_b32 v[4:5], s[0:1], s[0:1] op_sel:[0,1]
	s_cbranch_vccnz .LBB55_4
; %bb.3:
	v_pk_mov_b32 v[4:5], s[0:1], s[0:1] op_sel:[0,1]
	flat_load_dwordx2 v[4:5], v[4:5]
.LBB55_4:
	s_waitcnt vmcnt(0) lgkmcnt(0)
	v_cmp_neq_f64_e32 vcc, 0, v[2:3]
	v_cmp_neq_f64_e64 s[0:1], 1.0, v[4:5]
	s_or_b64 s[0:1], vcc, s[0:1]
	s_and_saveexec_b64 s[2:3], s[0:1]
	s_cbranch_execz .LBB55_16
; %bb.5:
	v_lshl_or_b32 v1, s6, 8, v0
	v_lshrrev_b32_e32 v6, 1, v1
	v_mov_b32_e32 v7, 0
	v_cmp_gt_i64_e32 vcc, s[8:9], v[6:7]
	s_and_b64 exec, exec, vcc
	s_cbranch_execz .LBB55_16
; %bb.6:
	s_load_dword s2, s[4:5], 0x58
	s_load_dwordx2 s[6:7], s[4:5], 0x48
	s_load_dwordx4 s[16:19], s[4:5], 0x28
	s_load_dwordx2 s[0:1], s[4:5], 0x38
	v_and_b32_e32 v0, 1, v0
	v_subrev_co_u32_e32 v18, vcc, s20, v0
	s_waitcnt lgkmcnt(0)
	s_lshl_b32 s24, s2, 7
	v_subb_co_u32_e64 v19, s[2:3], 0, 0, vcc
	s_ashr_i32 s3, s20, 31
	s_mov_b32 s2, s20
	s_lshl_b64 s[2:3], s[2:3], 3
	s_sub_u32 s25, s0, s2
	s_mov_b32 s21, 0
	s_subb_u32 s2, s1, s3
	v_cmp_eq_u32_e32 vcc, 1, v0
	s_mov_b64 s[4:5], 0
	v_cmp_neq_f64_e64 s[0:1], 0, v[4:5]
	v_mov_b32_e32 v20, s13
	v_mov_b32_e32 v21, s15
	;; [unrolled: 1-line block ×4, first 2 shown]
	s_mov_b32 s10, s21
	s_branch .LBB55_9
.LBB55_7:                               ;   in Loop: Header=BB55_9 Depth=1
	s_or_b64 exec, exec, s[2:3]
	global_store_dwordx2 v[0:1], v[8:9], off
.LBB55_8:                               ;   in Loop: Header=BB55_9 Depth=1
	s_or_b64 exec, exec, s[10:11]
	v_mov_b32_e32 v0, s21
	v_add_co_u32_e64 v6, s[2:3], s24, v6
	v_addc_co_u32_e64 v7, s[2:3], v7, v0, s[2:3]
	v_cmp_le_i64_e64 s[2:3], s[8:9], v[6:7]
	s_or_b64 s[4:5], s[2:3], s[4:5]
	s_andn2_b64 exec, exec, s[4:5]
	s_cbranch_execz .LBB55_16
.LBB55_9:                               ; =>This Loop Header: Depth=1
                                        ;     Child Loop BB55_11 Depth 2
	v_lshlrev_b64 v[0:1], 3, v[6:7]
	v_add_co_u32_e64 v8, s[2:3], s14, v0
	v_addc_co_u32_e64 v9, s[2:3], v21, v1, s[2:3]
	global_load_dwordx2 v[8:9], v[8:9], off
	v_add_co_u32_e64 v10, s[2:3], s12, v0
	v_addc_co_u32_e64 v11, s[2:3], v20, v1, s[2:3]
	global_load_dwordx2 v[10:11], v[10:11], off
	v_pk_mov_b32 v[12:13], 0, 0
	s_waitcnt vmcnt(1)
	v_subrev_co_u32_e64 v8, s[2:3], s20, v8
	v_subb_co_u32_e64 v9, s[2:3], v9, v22, s[2:3]
	s_waitcnt vmcnt(0)
	v_add_co_u32_e64 v10, s[2:3], v10, v18
	v_addc_co_u32_e64 v11, s[2:3], v11, v19, s[2:3]
	v_cmp_lt_i64_e64 s[2:3], v[10:11], v[8:9]
	s_and_saveexec_b64 s[10:11], s[2:3]
	s_cbranch_execz .LBB55_13
; %bb.10:                               ;   in Loop: Header=BB55_9 Depth=1
	v_lshlrev_b64 v[12:13], 3, v[10:11]
	v_mov_b32_e32 v15, s19
	v_add_co_u32_e64 v14, s[2:3], s18, v12
	v_addc_co_u32_e64 v15, s[2:3], v15, v13, s[2:3]
	v_mov_b32_e32 v17, s17
	v_add_co_u32_e64 v16, s[2:3], s16, v12
	v_addc_co_u32_e64 v17, s[2:3], v17, v13, s[2:3]
	s_mov_b64 s[22:23], 0
	v_pk_mov_b32 v[12:13], 0, 0
.LBB55_11:                              ;   Parent Loop BB55_9 Depth=1
                                        ; =>  This Inner Loop Header: Depth=2
	global_load_dwordx2 v[24:25], v[16:17], off
	global_load_dwordx2 v[26:27], v[14:15], off
	s_waitcnt vmcnt(1)
	v_lshlrev_b64 v[24:25], 3, v[24:25]
	v_add_co_u32_e64 v24, s[2:3], s25, v24
	v_addc_co_u32_e64 v25, s[2:3], v23, v25, s[2:3]
	global_load_dwordx2 v[24:25], v[24:25], off
	v_add_co_u32_e64 v10, s[2:3], 2, v10
	v_addc_co_u32_e64 v11, s[2:3], 0, v11, s[2:3]
	v_add_co_u32_e64 v14, s[2:3], 16, v14
	v_addc_co_u32_e64 v15, s[2:3], 0, v15, s[2:3]
	;; [unrolled: 2-line block ×3, first 2 shown]
	v_cmp_ge_i64_e64 s[2:3], v[10:11], v[8:9]
	s_waitcnt vmcnt(1)
	v_mul_f64 v[26:27], v[2:3], v[26:27]
	s_or_b64 s[22:23], s[2:3], s[22:23]
	s_waitcnt vmcnt(0)
	v_fmac_f64_e32 v[12:13], v[26:27], v[24:25]
	s_andn2_b64 exec, exec, s[22:23]
	s_cbranch_execnz .LBB55_11
; %bb.12:                               ;   in Loop: Header=BB55_9 Depth=1
	s_or_b64 exec, exec, s[22:23]
.LBB55_13:                              ;   in Loop: Header=BB55_9 Depth=1
	s_or_b64 exec, exec, s[10:11]
	v_mov_b32_dpp v8, v12 row_shr:1 row_mask:0xf bank_mask:0xf
	v_mov_b32_dpp v9, v13 row_shr:1 row_mask:0xf bank_mask:0xf
	s_and_saveexec_b64 s[10:11], vcc
	s_cbranch_execz .LBB55_8
; %bb.14:                               ;   in Loop: Header=BB55_9 Depth=1
	v_mov_b32_e32 v10, s7
	v_add_co_u32_e64 v0, s[2:3], s6, v0
	v_add_f64 v[8:9], v[12:13], v[8:9]
	v_addc_co_u32_e64 v1, s[2:3], v10, v1, s[2:3]
	s_and_saveexec_b64 s[2:3], s[0:1]
	s_cbranch_execz .LBB55_7
; %bb.15:                               ;   in Loop: Header=BB55_9 Depth=1
	global_load_dwordx2 v[10:11], v[0:1], off
	s_waitcnt vmcnt(0)
	v_fmac_f64_e32 v[8:9], v[4:5], v[10:11]
	s_branch .LBB55_7
.LBB55_16:
	s_endpgm
	.section	.rodata,"a",@progbits
	.p2align	6, 0x0
	.amdhsa_kernel _ZN9rocsparseL21csrmvn_general_kernelILj256ELj2EllddddEEvbT2_NS_24const_host_device_scalarIT6_EEPKT1_S7_PKS1_PKT3_PKT4_S4_PT5_21rocsparse_index_base_b
		.amdhsa_group_segment_fixed_size 0
		.amdhsa_private_segment_fixed_size 0
		.amdhsa_kernarg_size 344
		.amdhsa_user_sgpr_count 6
		.amdhsa_user_sgpr_private_segment_buffer 1
		.amdhsa_user_sgpr_dispatch_ptr 0
		.amdhsa_user_sgpr_queue_ptr 0
		.amdhsa_user_sgpr_kernarg_segment_ptr 1
		.amdhsa_user_sgpr_dispatch_id 0
		.amdhsa_user_sgpr_flat_scratch_init 0
		.amdhsa_user_sgpr_kernarg_preload_length 0
		.amdhsa_user_sgpr_kernarg_preload_offset 0
		.amdhsa_user_sgpr_private_segment_size 0
		.amdhsa_uses_dynamic_stack 0
		.amdhsa_system_sgpr_private_segment_wavefront_offset 0
		.amdhsa_system_sgpr_workgroup_id_x 1
		.amdhsa_system_sgpr_workgroup_id_y 0
		.amdhsa_system_sgpr_workgroup_id_z 0
		.amdhsa_system_sgpr_workgroup_info 0
		.amdhsa_system_vgpr_workitem_id 0
		.amdhsa_next_free_vgpr 28
		.amdhsa_next_free_sgpr 26
		.amdhsa_accum_offset 28
		.amdhsa_reserve_vcc 1
		.amdhsa_reserve_flat_scratch 0
		.amdhsa_float_round_mode_32 0
		.amdhsa_float_round_mode_16_64 0
		.amdhsa_float_denorm_mode_32 3
		.amdhsa_float_denorm_mode_16_64 3
		.amdhsa_dx10_clamp 1
		.amdhsa_ieee_mode 1
		.amdhsa_fp16_overflow 0
		.amdhsa_tg_split 0
		.amdhsa_exception_fp_ieee_invalid_op 0
		.amdhsa_exception_fp_denorm_src 0
		.amdhsa_exception_fp_ieee_div_zero 0
		.amdhsa_exception_fp_ieee_overflow 0
		.amdhsa_exception_fp_ieee_underflow 0
		.amdhsa_exception_fp_ieee_inexact 0
		.amdhsa_exception_int_div_zero 0
	.end_amdhsa_kernel
	.section	.text._ZN9rocsparseL21csrmvn_general_kernelILj256ELj2EllddddEEvbT2_NS_24const_host_device_scalarIT6_EEPKT1_S7_PKS1_PKT3_PKT4_S4_PT5_21rocsparse_index_base_b,"axG",@progbits,_ZN9rocsparseL21csrmvn_general_kernelILj256ELj2EllddddEEvbT2_NS_24const_host_device_scalarIT6_EEPKT1_S7_PKS1_PKT3_PKT4_S4_PT5_21rocsparse_index_base_b,comdat
.Lfunc_end55:
	.size	_ZN9rocsparseL21csrmvn_general_kernelILj256ELj2EllddddEEvbT2_NS_24const_host_device_scalarIT6_EEPKT1_S7_PKS1_PKT3_PKT4_S4_PT5_21rocsparse_index_base_b, .Lfunc_end55-_ZN9rocsparseL21csrmvn_general_kernelILj256ELj2EllddddEEvbT2_NS_24const_host_device_scalarIT6_EEPKT1_S7_PKS1_PKT3_PKT4_S4_PT5_21rocsparse_index_base_b
                                        ; -- End function
	.section	.AMDGPU.csdata,"",@progbits
; Kernel info:
; codeLenInByte = 748
; NumSgprs: 30
; NumVgprs: 28
; NumAgprs: 0
; TotalNumVgprs: 28
; ScratchSize: 0
; MemoryBound: 1
; FloatMode: 240
; IeeeMode: 1
; LDSByteSize: 0 bytes/workgroup (compile time only)
; SGPRBlocks: 3
; VGPRBlocks: 3
; NumSGPRsForWavesPerEU: 30
; NumVGPRsForWavesPerEU: 28
; AccumOffset: 28
; Occupancy: 8
; WaveLimiterHint : 1
; COMPUTE_PGM_RSRC2:SCRATCH_EN: 0
; COMPUTE_PGM_RSRC2:USER_SGPR: 6
; COMPUTE_PGM_RSRC2:TRAP_HANDLER: 0
; COMPUTE_PGM_RSRC2:TGID_X_EN: 1
; COMPUTE_PGM_RSRC2:TGID_Y_EN: 0
; COMPUTE_PGM_RSRC2:TGID_Z_EN: 0
; COMPUTE_PGM_RSRC2:TIDIG_COMP_CNT: 0
; COMPUTE_PGM_RSRC3_GFX90A:ACCUM_OFFSET: 6
; COMPUTE_PGM_RSRC3_GFX90A:TG_SPLIT: 0
	.section	.text._ZN9rocsparseL21csrmvn_general_kernelILj256ELj4EllddddEEvbT2_NS_24const_host_device_scalarIT6_EEPKT1_S7_PKS1_PKT3_PKT4_S4_PT5_21rocsparse_index_base_b,"axG",@progbits,_ZN9rocsparseL21csrmvn_general_kernelILj256ELj4EllddddEEvbT2_NS_24const_host_device_scalarIT6_EEPKT1_S7_PKS1_PKT3_PKT4_S4_PT5_21rocsparse_index_base_b,comdat
	.globl	_ZN9rocsparseL21csrmvn_general_kernelILj256ELj4EllddddEEvbT2_NS_24const_host_device_scalarIT6_EEPKT1_S7_PKS1_PKT3_PKT4_S4_PT5_21rocsparse_index_base_b ; -- Begin function _ZN9rocsparseL21csrmvn_general_kernelILj256ELj4EllddddEEvbT2_NS_24const_host_device_scalarIT6_EEPKT1_S7_PKS1_PKT3_PKT4_S4_PT5_21rocsparse_index_base_b
	.p2align	8
	.type	_ZN9rocsparseL21csrmvn_general_kernelILj256ELj4EllddddEEvbT2_NS_24const_host_device_scalarIT6_EEPKT1_S7_PKS1_PKT3_PKT4_S4_PT5_21rocsparse_index_base_b,@function
_ZN9rocsparseL21csrmvn_general_kernelILj256ELj4EllddddEEvbT2_NS_24const_host_device_scalarIT6_EEPKT1_S7_PKS1_PKT3_PKT4_S4_PT5_21rocsparse_index_base_b: ; @_ZN9rocsparseL21csrmvn_general_kernelILj256ELj4EllddddEEvbT2_NS_24const_host_device_scalarIT6_EEPKT1_S7_PKS1_PKT3_PKT4_S4_PT5_21rocsparse_index_base_b
; %bb.0:
	s_load_dwordx2 s[20:21], s[4:5], 0x50
	s_load_dwordx2 s[0:1], s[4:5], 0x40
	s_load_dwordx8 s[8:15], s[4:5], 0x8
	s_waitcnt lgkmcnt(0)
	s_bitcmp1_b32 s21, 0
	s_cselect_b64 s[16:17], -1, 0
	s_xor_b64 s[2:3], s[16:17], -1
	s_and_b64 vcc, exec, s[16:17]
	v_pk_mov_b32 v[2:3], s[10:11], s[10:11] op_sel:[0,1]
	s_cbranch_vccnz .LBB56_2
; %bb.1:
	v_pk_mov_b32 v[2:3], s[10:11], s[10:11] op_sel:[0,1]
	flat_load_dwordx2 v[2:3], v[2:3]
.LBB56_2:
	s_andn2_b64 vcc, exec, s[2:3]
	v_pk_mov_b32 v[4:5], s[0:1], s[0:1] op_sel:[0,1]
	s_cbranch_vccnz .LBB56_4
; %bb.3:
	v_pk_mov_b32 v[4:5], s[0:1], s[0:1] op_sel:[0,1]
	flat_load_dwordx2 v[4:5], v[4:5]
.LBB56_4:
	s_waitcnt vmcnt(0) lgkmcnt(0)
	v_cmp_neq_f64_e32 vcc, 0, v[2:3]
	v_cmp_neq_f64_e64 s[0:1], 1.0, v[4:5]
	s_or_b64 s[0:1], vcc, s[0:1]
	s_and_saveexec_b64 s[2:3], s[0:1]
	s_cbranch_execz .LBB56_16
; %bb.5:
	v_lshl_or_b32 v1, s6, 8, v0
	v_lshrrev_b32_e32 v6, 2, v1
	v_mov_b32_e32 v7, 0
	v_cmp_gt_i64_e32 vcc, s[8:9], v[6:7]
	s_and_b64 exec, exec, vcc
	s_cbranch_execz .LBB56_16
; %bb.6:
	s_load_dword s2, s[4:5], 0x58
	s_load_dwordx2 s[6:7], s[4:5], 0x48
	s_load_dwordx4 s[16:19], s[4:5], 0x28
	s_load_dwordx2 s[0:1], s[4:5], 0x38
	v_and_b32_e32 v0, 3, v0
	v_subrev_co_u32_e32 v18, vcc, s20, v0
	s_waitcnt lgkmcnt(0)
	s_lshl_b32 s24, s2, 6
	v_subb_co_u32_e64 v19, s[2:3], 0, 0, vcc
	s_ashr_i32 s3, s20, 31
	s_mov_b32 s2, s20
	s_lshl_b64 s[2:3], s[2:3], 3
	s_sub_u32 s25, s0, s2
	s_mov_b32 s21, 0
	s_subb_u32 s2, s1, s3
	v_cmp_eq_u32_e32 vcc, 3, v0
	s_mov_b64 s[4:5], 0
	v_cmp_neq_f64_e64 s[0:1], 0, v[4:5]
	v_mov_b32_e32 v20, s13
	v_mov_b32_e32 v21, s15
	;; [unrolled: 1-line block ×4, first 2 shown]
	s_mov_b32 s10, s21
	s_branch .LBB56_9
.LBB56_7:                               ;   in Loop: Header=BB56_9 Depth=1
	s_or_b64 exec, exec, s[2:3]
	global_store_dwordx2 v[0:1], v[8:9], off
.LBB56_8:                               ;   in Loop: Header=BB56_9 Depth=1
	s_or_b64 exec, exec, s[10:11]
	v_mov_b32_e32 v0, s21
	v_add_co_u32_e64 v6, s[2:3], s24, v6
	v_addc_co_u32_e64 v7, s[2:3], v7, v0, s[2:3]
	v_cmp_le_i64_e64 s[2:3], s[8:9], v[6:7]
	s_or_b64 s[4:5], s[2:3], s[4:5]
	s_andn2_b64 exec, exec, s[4:5]
	s_cbranch_execz .LBB56_16
.LBB56_9:                               ; =>This Loop Header: Depth=1
                                        ;     Child Loop BB56_11 Depth 2
	v_lshlrev_b64 v[0:1], 3, v[6:7]
	v_add_co_u32_e64 v8, s[2:3], s14, v0
	v_addc_co_u32_e64 v9, s[2:3], v21, v1, s[2:3]
	global_load_dwordx2 v[8:9], v[8:9], off
	v_add_co_u32_e64 v10, s[2:3], s12, v0
	v_addc_co_u32_e64 v11, s[2:3], v20, v1, s[2:3]
	global_load_dwordx2 v[10:11], v[10:11], off
	v_pk_mov_b32 v[12:13], 0, 0
	s_waitcnt vmcnt(1)
	v_subrev_co_u32_e64 v8, s[2:3], s20, v8
	v_subb_co_u32_e64 v9, s[2:3], v9, v22, s[2:3]
	s_waitcnt vmcnt(0)
	v_add_co_u32_e64 v10, s[2:3], v10, v18
	v_addc_co_u32_e64 v11, s[2:3], v11, v19, s[2:3]
	v_cmp_lt_i64_e64 s[2:3], v[10:11], v[8:9]
	s_and_saveexec_b64 s[10:11], s[2:3]
	s_cbranch_execz .LBB56_13
; %bb.10:                               ;   in Loop: Header=BB56_9 Depth=1
	v_lshlrev_b64 v[12:13], 3, v[10:11]
	v_mov_b32_e32 v15, s19
	v_add_co_u32_e64 v14, s[2:3], s18, v12
	v_addc_co_u32_e64 v15, s[2:3], v15, v13, s[2:3]
	v_mov_b32_e32 v17, s17
	v_add_co_u32_e64 v16, s[2:3], s16, v12
	v_addc_co_u32_e64 v17, s[2:3], v17, v13, s[2:3]
	s_mov_b64 s[22:23], 0
	v_pk_mov_b32 v[12:13], 0, 0
.LBB56_11:                              ;   Parent Loop BB56_9 Depth=1
                                        ; =>  This Inner Loop Header: Depth=2
	global_load_dwordx2 v[24:25], v[16:17], off
	global_load_dwordx2 v[26:27], v[14:15], off
	s_waitcnt vmcnt(1)
	v_lshlrev_b64 v[24:25], 3, v[24:25]
	v_add_co_u32_e64 v24, s[2:3], s25, v24
	v_addc_co_u32_e64 v25, s[2:3], v23, v25, s[2:3]
	global_load_dwordx2 v[24:25], v[24:25], off
	v_add_co_u32_e64 v10, s[2:3], 4, v10
	v_addc_co_u32_e64 v11, s[2:3], 0, v11, s[2:3]
	v_add_co_u32_e64 v14, s[2:3], 32, v14
	v_addc_co_u32_e64 v15, s[2:3], 0, v15, s[2:3]
	;; [unrolled: 2-line block ×3, first 2 shown]
	v_cmp_ge_i64_e64 s[2:3], v[10:11], v[8:9]
	s_waitcnt vmcnt(1)
	v_mul_f64 v[26:27], v[2:3], v[26:27]
	s_or_b64 s[22:23], s[2:3], s[22:23]
	s_waitcnt vmcnt(0)
	v_fmac_f64_e32 v[12:13], v[26:27], v[24:25]
	s_andn2_b64 exec, exec, s[22:23]
	s_cbranch_execnz .LBB56_11
; %bb.12:                               ;   in Loop: Header=BB56_9 Depth=1
	s_or_b64 exec, exec, s[22:23]
.LBB56_13:                              ;   in Loop: Header=BB56_9 Depth=1
	s_or_b64 exec, exec, s[10:11]
	v_mov_b32_dpp v8, v12 row_shr:1 row_mask:0xf bank_mask:0xf
	v_mov_b32_dpp v9, v13 row_shr:1 row_mask:0xf bank_mask:0xf
	v_add_f64 v[8:9], v[12:13], v[8:9]
	s_nop 1
	v_mov_b32_dpp v10, v8 row_shr:2 row_mask:0xf bank_mask:0xf
	v_mov_b32_dpp v11, v9 row_shr:2 row_mask:0xf bank_mask:0xf
	s_and_saveexec_b64 s[10:11], vcc
	s_cbranch_execz .LBB56_8
; %bb.14:                               ;   in Loop: Header=BB56_9 Depth=1
	v_add_f64 v[8:9], v[8:9], v[10:11]
	v_mov_b32_e32 v10, s7
	v_add_co_u32_e64 v0, s[2:3], s6, v0
	v_addc_co_u32_e64 v1, s[2:3], v10, v1, s[2:3]
	s_and_saveexec_b64 s[2:3], s[0:1]
	s_cbranch_execz .LBB56_7
; %bb.15:                               ;   in Loop: Header=BB56_9 Depth=1
	global_load_dwordx2 v[10:11], v[0:1], off
	s_waitcnt vmcnt(0)
	v_fmac_f64_e32 v[8:9], v[4:5], v[10:11]
	s_branch .LBB56_7
.LBB56_16:
	s_endpgm
	.section	.rodata,"a",@progbits
	.p2align	6, 0x0
	.amdhsa_kernel _ZN9rocsparseL21csrmvn_general_kernelILj256ELj4EllddddEEvbT2_NS_24const_host_device_scalarIT6_EEPKT1_S7_PKS1_PKT3_PKT4_S4_PT5_21rocsparse_index_base_b
		.amdhsa_group_segment_fixed_size 0
		.amdhsa_private_segment_fixed_size 0
		.amdhsa_kernarg_size 344
		.amdhsa_user_sgpr_count 6
		.amdhsa_user_sgpr_private_segment_buffer 1
		.amdhsa_user_sgpr_dispatch_ptr 0
		.amdhsa_user_sgpr_queue_ptr 0
		.amdhsa_user_sgpr_kernarg_segment_ptr 1
		.amdhsa_user_sgpr_dispatch_id 0
		.amdhsa_user_sgpr_flat_scratch_init 0
		.amdhsa_user_sgpr_kernarg_preload_length 0
		.amdhsa_user_sgpr_kernarg_preload_offset 0
		.amdhsa_user_sgpr_private_segment_size 0
		.amdhsa_uses_dynamic_stack 0
		.amdhsa_system_sgpr_private_segment_wavefront_offset 0
		.amdhsa_system_sgpr_workgroup_id_x 1
		.amdhsa_system_sgpr_workgroup_id_y 0
		.amdhsa_system_sgpr_workgroup_id_z 0
		.amdhsa_system_sgpr_workgroup_info 0
		.amdhsa_system_vgpr_workitem_id 0
		.amdhsa_next_free_vgpr 28
		.amdhsa_next_free_sgpr 26
		.amdhsa_accum_offset 28
		.amdhsa_reserve_vcc 1
		.amdhsa_reserve_flat_scratch 0
		.amdhsa_float_round_mode_32 0
		.amdhsa_float_round_mode_16_64 0
		.amdhsa_float_denorm_mode_32 3
		.amdhsa_float_denorm_mode_16_64 3
		.amdhsa_dx10_clamp 1
		.amdhsa_ieee_mode 1
		.amdhsa_fp16_overflow 0
		.amdhsa_tg_split 0
		.amdhsa_exception_fp_ieee_invalid_op 0
		.amdhsa_exception_fp_denorm_src 0
		.amdhsa_exception_fp_ieee_div_zero 0
		.amdhsa_exception_fp_ieee_overflow 0
		.amdhsa_exception_fp_ieee_underflow 0
		.amdhsa_exception_fp_ieee_inexact 0
		.amdhsa_exception_int_div_zero 0
	.end_amdhsa_kernel
	.section	.text._ZN9rocsparseL21csrmvn_general_kernelILj256ELj4EllddddEEvbT2_NS_24const_host_device_scalarIT6_EEPKT1_S7_PKS1_PKT3_PKT4_S4_PT5_21rocsparse_index_base_b,"axG",@progbits,_ZN9rocsparseL21csrmvn_general_kernelILj256ELj4EllddddEEvbT2_NS_24const_host_device_scalarIT6_EEPKT1_S7_PKS1_PKT3_PKT4_S4_PT5_21rocsparse_index_base_b,comdat
.Lfunc_end56:
	.size	_ZN9rocsparseL21csrmvn_general_kernelILj256ELj4EllddddEEvbT2_NS_24const_host_device_scalarIT6_EEPKT1_S7_PKS1_PKT3_PKT4_S4_PT5_21rocsparse_index_base_b, .Lfunc_end56-_ZN9rocsparseL21csrmvn_general_kernelILj256ELj4EllddddEEvbT2_NS_24const_host_device_scalarIT6_EEPKT1_S7_PKS1_PKT3_PKT4_S4_PT5_21rocsparse_index_base_b
                                        ; -- End function
	.section	.AMDGPU.csdata,"",@progbits
; Kernel info:
; codeLenInByte = 776
; NumSgprs: 30
; NumVgprs: 28
; NumAgprs: 0
; TotalNumVgprs: 28
; ScratchSize: 0
; MemoryBound: 1
; FloatMode: 240
; IeeeMode: 1
; LDSByteSize: 0 bytes/workgroup (compile time only)
; SGPRBlocks: 3
; VGPRBlocks: 3
; NumSGPRsForWavesPerEU: 30
; NumVGPRsForWavesPerEU: 28
; AccumOffset: 28
; Occupancy: 8
; WaveLimiterHint : 1
; COMPUTE_PGM_RSRC2:SCRATCH_EN: 0
; COMPUTE_PGM_RSRC2:USER_SGPR: 6
; COMPUTE_PGM_RSRC2:TRAP_HANDLER: 0
; COMPUTE_PGM_RSRC2:TGID_X_EN: 1
; COMPUTE_PGM_RSRC2:TGID_Y_EN: 0
; COMPUTE_PGM_RSRC2:TGID_Z_EN: 0
; COMPUTE_PGM_RSRC2:TIDIG_COMP_CNT: 0
; COMPUTE_PGM_RSRC3_GFX90A:ACCUM_OFFSET: 6
; COMPUTE_PGM_RSRC3_GFX90A:TG_SPLIT: 0
	.section	.text._ZN9rocsparseL21csrmvn_general_kernelILj256ELj8EllddddEEvbT2_NS_24const_host_device_scalarIT6_EEPKT1_S7_PKS1_PKT3_PKT4_S4_PT5_21rocsparse_index_base_b,"axG",@progbits,_ZN9rocsparseL21csrmvn_general_kernelILj256ELj8EllddddEEvbT2_NS_24const_host_device_scalarIT6_EEPKT1_S7_PKS1_PKT3_PKT4_S4_PT5_21rocsparse_index_base_b,comdat
	.globl	_ZN9rocsparseL21csrmvn_general_kernelILj256ELj8EllddddEEvbT2_NS_24const_host_device_scalarIT6_EEPKT1_S7_PKS1_PKT3_PKT4_S4_PT5_21rocsparse_index_base_b ; -- Begin function _ZN9rocsparseL21csrmvn_general_kernelILj256ELj8EllddddEEvbT2_NS_24const_host_device_scalarIT6_EEPKT1_S7_PKS1_PKT3_PKT4_S4_PT5_21rocsparse_index_base_b
	.p2align	8
	.type	_ZN9rocsparseL21csrmvn_general_kernelILj256ELj8EllddddEEvbT2_NS_24const_host_device_scalarIT6_EEPKT1_S7_PKS1_PKT3_PKT4_S4_PT5_21rocsparse_index_base_b,@function
_ZN9rocsparseL21csrmvn_general_kernelILj256ELj8EllddddEEvbT2_NS_24const_host_device_scalarIT6_EEPKT1_S7_PKS1_PKT3_PKT4_S4_PT5_21rocsparse_index_base_b: ; @_ZN9rocsparseL21csrmvn_general_kernelILj256ELj8EllddddEEvbT2_NS_24const_host_device_scalarIT6_EEPKT1_S7_PKS1_PKT3_PKT4_S4_PT5_21rocsparse_index_base_b
; %bb.0:
	s_load_dwordx2 s[20:21], s[4:5], 0x50
	s_load_dwordx2 s[0:1], s[4:5], 0x40
	s_load_dwordx8 s[8:15], s[4:5], 0x8
	s_waitcnt lgkmcnt(0)
	s_bitcmp1_b32 s21, 0
	s_cselect_b64 s[16:17], -1, 0
	s_xor_b64 s[2:3], s[16:17], -1
	s_and_b64 vcc, exec, s[16:17]
	v_pk_mov_b32 v[2:3], s[10:11], s[10:11] op_sel:[0,1]
	s_cbranch_vccnz .LBB57_2
; %bb.1:
	v_pk_mov_b32 v[2:3], s[10:11], s[10:11] op_sel:[0,1]
	flat_load_dwordx2 v[2:3], v[2:3]
.LBB57_2:
	s_andn2_b64 vcc, exec, s[2:3]
	v_pk_mov_b32 v[4:5], s[0:1], s[0:1] op_sel:[0,1]
	s_cbranch_vccnz .LBB57_4
; %bb.3:
	v_pk_mov_b32 v[4:5], s[0:1], s[0:1] op_sel:[0,1]
	flat_load_dwordx2 v[4:5], v[4:5]
.LBB57_4:
	s_waitcnt vmcnt(0) lgkmcnt(0)
	v_cmp_neq_f64_e32 vcc, 0, v[2:3]
	v_cmp_neq_f64_e64 s[0:1], 1.0, v[4:5]
	s_or_b64 s[0:1], vcc, s[0:1]
	s_and_saveexec_b64 s[2:3], s[0:1]
	s_cbranch_execz .LBB57_16
; %bb.5:
	v_lshl_or_b32 v1, s6, 8, v0
	v_lshrrev_b32_e32 v6, 3, v1
	v_mov_b32_e32 v7, 0
	v_cmp_gt_i64_e32 vcc, s[8:9], v[6:7]
	s_and_b64 exec, exec, vcc
	s_cbranch_execz .LBB57_16
; %bb.6:
	s_load_dword s2, s[4:5], 0x58
	s_load_dwordx2 s[6:7], s[4:5], 0x48
	s_load_dwordx4 s[16:19], s[4:5], 0x28
	s_load_dwordx2 s[0:1], s[4:5], 0x38
	v_and_b32_e32 v0, 7, v0
	v_subrev_co_u32_e32 v18, vcc, s20, v0
	s_waitcnt lgkmcnt(0)
	s_lshl_b32 s24, s2, 5
	v_subb_co_u32_e64 v19, s[2:3], 0, 0, vcc
	s_ashr_i32 s3, s20, 31
	s_mov_b32 s2, s20
	s_lshl_b64 s[2:3], s[2:3], 3
	s_sub_u32 s25, s0, s2
	s_mov_b32 s21, 0
	s_subb_u32 s2, s1, s3
	v_cmp_eq_u32_e32 vcc, 7, v0
	s_mov_b64 s[4:5], 0
	v_cmp_neq_f64_e64 s[0:1], 0, v[4:5]
	v_mov_b32_e32 v20, s13
	v_mov_b32_e32 v21, s15
	;; [unrolled: 1-line block ×4, first 2 shown]
	s_mov_b32 s10, s21
	s_branch .LBB57_9
.LBB57_7:                               ;   in Loop: Header=BB57_9 Depth=1
	s_or_b64 exec, exec, s[2:3]
	global_store_dwordx2 v[0:1], v[8:9], off
.LBB57_8:                               ;   in Loop: Header=BB57_9 Depth=1
	s_or_b64 exec, exec, s[10:11]
	v_mov_b32_e32 v0, s21
	v_add_co_u32_e64 v6, s[2:3], s24, v6
	v_addc_co_u32_e64 v7, s[2:3], v7, v0, s[2:3]
	v_cmp_le_i64_e64 s[2:3], s[8:9], v[6:7]
	s_or_b64 s[4:5], s[2:3], s[4:5]
	s_andn2_b64 exec, exec, s[4:5]
	s_cbranch_execz .LBB57_16
.LBB57_9:                               ; =>This Loop Header: Depth=1
                                        ;     Child Loop BB57_11 Depth 2
	v_lshlrev_b64 v[0:1], 3, v[6:7]
	v_add_co_u32_e64 v8, s[2:3], s14, v0
	v_addc_co_u32_e64 v9, s[2:3], v21, v1, s[2:3]
	global_load_dwordx2 v[8:9], v[8:9], off
	v_add_co_u32_e64 v10, s[2:3], s12, v0
	v_addc_co_u32_e64 v11, s[2:3], v20, v1, s[2:3]
	global_load_dwordx2 v[10:11], v[10:11], off
	v_pk_mov_b32 v[12:13], 0, 0
	s_waitcnt vmcnt(1)
	v_subrev_co_u32_e64 v8, s[2:3], s20, v8
	v_subb_co_u32_e64 v9, s[2:3], v9, v22, s[2:3]
	s_waitcnt vmcnt(0)
	v_add_co_u32_e64 v10, s[2:3], v10, v18
	v_addc_co_u32_e64 v11, s[2:3], v11, v19, s[2:3]
	v_cmp_lt_i64_e64 s[2:3], v[10:11], v[8:9]
	s_and_saveexec_b64 s[10:11], s[2:3]
	s_cbranch_execz .LBB57_13
; %bb.10:                               ;   in Loop: Header=BB57_9 Depth=1
	v_lshlrev_b64 v[12:13], 3, v[10:11]
	v_mov_b32_e32 v15, s19
	v_add_co_u32_e64 v14, s[2:3], s18, v12
	v_addc_co_u32_e64 v15, s[2:3], v15, v13, s[2:3]
	v_mov_b32_e32 v17, s17
	v_add_co_u32_e64 v16, s[2:3], s16, v12
	v_addc_co_u32_e64 v17, s[2:3], v17, v13, s[2:3]
	s_mov_b64 s[22:23], 0
	v_pk_mov_b32 v[12:13], 0, 0
.LBB57_11:                              ;   Parent Loop BB57_9 Depth=1
                                        ; =>  This Inner Loop Header: Depth=2
	global_load_dwordx2 v[24:25], v[16:17], off
	global_load_dwordx2 v[26:27], v[14:15], off
	s_waitcnt vmcnt(1)
	v_lshlrev_b64 v[24:25], 3, v[24:25]
	v_add_co_u32_e64 v24, s[2:3], s25, v24
	v_addc_co_u32_e64 v25, s[2:3], v23, v25, s[2:3]
	global_load_dwordx2 v[24:25], v[24:25], off
	v_add_co_u32_e64 v10, s[2:3], 8, v10
	v_addc_co_u32_e64 v11, s[2:3], 0, v11, s[2:3]
	v_add_co_u32_e64 v14, s[2:3], 64, v14
	v_addc_co_u32_e64 v15, s[2:3], 0, v15, s[2:3]
	;; [unrolled: 2-line block ×3, first 2 shown]
	v_cmp_ge_i64_e64 s[2:3], v[10:11], v[8:9]
	s_waitcnt vmcnt(1)
	v_mul_f64 v[26:27], v[2:3], v[26:27]
	s_or_b64 s[22:23], s[2:3], s[22:23]
	s_waitcnt vmcnt(0)
	v_fmac_f64_e32 v[12:13], v[26:27], v[24:25]
	s_andn2_b64 exec, exec, s[22:23]
	s_cbranch_execnz .LBB57_11
; %bb.12:                               ;   in Loop: Header=BB57_9 Depth=1
	s_or_b64 exec, exec, s[22:23]
.LBB57_13:                              ;   in Loop: Header=BB57_9 Depth=1
	s_or_b64 exec, exec, s[10:11]
	v_mov_b32_dpp v8, v12 row_shr:1 row_mask:0xf bank_mask:0xf
	v_mov_b32_dpp v9, v13 row_shr:1 row_mask:0xf bank_mask:0xf
	v_add_f64 v[8:9], v[12:13], v[8:9]
	s_nop 1
	v_mov_b32_dpp v10, v8 row_shr:2 row_mask:0xf bank_mask:0xf
	v_mov_b32_dpp v11, v9 row_shr:2 row_mask:0xf bank_mask:0xf
	v_add_f64 v[8:9], v[8:9], v[10:11]
	s_nop 1
	v_mov_b32_dpp v10, v8 row_shr:4 row_mask:0xf bank_mask:0xe
	v_mov_b32_dpp v11, v9 row_shr:4 row_mask:0xf bank_mask:0xe
	s_and_saveexec_b64 s[10:11], vcc
	s_cbranch_execz .LBB57_8
; %bb.14:                               ;   in Loop: Header=BB57_9 Depth=1
	v_add_f64 v[8:9], v[8:9], v[10:11]
	v_mov_b32_e32 v10, s7
	v_add_co_u32_e64 v0, s[2:3], s6, v0
	v_addc_co_u32_e64 v1, s[2:3], v10, v1, s[2:3]
	s_and_saveexec_b64 s[2:3], s[0:1]
	s_cbranch_execz .LBB57_7
; %bb.15:                               ;   in Loop: Header=BB57_9 Depth=1
	global_load_dwordx2 v[10:11], v[0:1], off
	s_waitcnt vmcnt(0)
	v_fmac_f64_e32 v[8:9], v[4:5], v[10:11]
	s_branch .LBB57_7
.LBB57_16:
	s_endpgm
	.section	.rodata,"a",@progbits
	.p2align	6, 0x0
	.amdhsa_kernel _ZN9rocsparseL21csrmvn_general_kernelILj256ELj8EllddddEEvbT2_NS_24const_host_device_scalarIT6_EEPKT1_S7_PKS1_PKT3_PKT4_S4_PT5_21rocsparse_index_base_b
		.amdhsa_group_segment_fixed_size 0
		.amdhsa_private_segment_fixed_size 0
		.amdhsa_kernarg_size 344
		.amdhsa_user_sgpr_count 6
		.amdhsa_user_sgpr_private_segment_buffer 1
		.amdhsa_user_sgpr_dispatch_ptr 0
		.amdhsa_user_sgpr_queue_ptr 0
		.amdhsa_user_sgpr_kernarg_segment_ptr 1
		.amdhsa_user_sgpr_dispatch_id 0
		.amdhsa_user_sgpr_flat_scratch_init 0
		.amdhsa_user_sgpr_kernarg_preload_length 0
		.amdhsa_user_sgpr_kernarg_preload_offset 0
		.amdhsa_user_sgpr_private_segment_size 0
		.amdhsa_uses_dynamic_stack 0
		.amdhsa_system_sgpr_private_segment_wavefront_offset 0
		.amdhsa_system_sgpr_workgroup_id_x 1
		.amdhsa_system_sgpr_workgroup_id_y 0
		.amdhsa_system_sgpr_workgroup_id_z 0
		.amdhsa_system_sgpr_workgroup_info 0
		.amdhsa_system_vgpr_workitem_id 0
		.amdhsa_next_free_vgpr 28
		.amdhsa_next_free_sgpr 26
		.amdhsa_accum_offset 28
		.amdhsa_reserve_vcc 1
		.amdhsa_reserve_flat_scratch 0
		.amdhsa_float_round_mode_32 0
		.amdhsa_float_round_mode_16_64 0
		.amdhsa_float_denorm_mode_32 3
		.amdhsa_float_denorm_mode_16_64 3
		.amdhsa_dx10_clamp 1
		.amdhsa_ieee_mode 1
		.amdhsa_fp16_overflow 0
		.amdhsa_tg_split 0
		.amdhsa_exception_fp_ieee_invalid_op 0
		.amdhsa_exception_fp_denorm_src 0
		.amdhsa_exception_fp_ieee_div_zero 0
		.amdhsa_exception_fp_ieee_overflow 0
		.amdhsa_exception_fp_ieee_underflow 0
		.amdhsa_exception_fp_ieee_inexact 0
		.amdhsa_exception_int_div_zero 0
	.end_amdhsa_kernel
	.section	.text._ZN9rocsparseL21csrmvn_general_kernelILj256ELj8EllddddEEvbT2_NS_24const_host_device_scalarIT6_EEPKT1_S7_PKS1_PKT3_PKT4_S4_PT5_21rocsparse_index_base_b,"axG",@progbits,_ZN9rocsparseL21csrmvn_general_kernelILj256ELj8EllddddEEvbT2_NS_24const_host_device_scalarIT6_EEPKT1_S7_PKS1_PKT3_PKT4_S4_PT5_21rocsparse_index_base_b,comdat
.Lfunc_end57:
	.size	_ZN9rocsparseL21csrmvn_general_kernelILj256ELj8EllddddEEvbT2_NS_24const_host_device_scalarIT6_EEPKT1_S7_PKS1_PKT3_PKT4_S4_PT5_21rocsparse_index_base_b, .Lfunc_end57-_ZN9rocsparseL21csrmvn_general_kernelILj256ELj8EllddddEEvbT2_NS_24const_host_device_scalarIT6_EEPKT1_S7_PKS1_PKT3_PKT4_S4_PT5_21rocsparse_index_base_b
                                        ; -- End function
	.section	.AMDGPU.csdata,"",@progbits
; Kernel info:
; codeLenInByte = 804
; NumSgprs: 30
; NumVgprs: 28
; NumAgprs: 0
; TotalNumVgprs: 28
; ScratchSize: 0
; MemoryBound: 1
; FloatMode: 240
; IeeeMode: 1
; LDSByteSize: 0 bytes/workgroup (compile time only)
; SGPRBlocks: 3
; VGPRBlocks: 3
; NumSGPRsForWavesPerEU: 30
; NumVGPRsForWavesPerEU: 28
; AccumOffset: 28
; Occupancy: 8
; WaveLimiterHint : 1
; COMPUTE_PGM_RSRC2:SCRATCH_EN: 0
; COMPUTE_PGM_RSRC2:USER_SGPR: 6
; COMPUTE_PGM_RSRC2:TRAP_HANDLER: 0
; COMPUTE_PGM_RSRC2:TGID_X_EN: 1
; COMPUTE_PGM_RSRC2:TGID_Y_EN: 0
; COMPUTE_PGM_RSRC2:TGID_Z_EN: 0
; COMPUTE_PGM_RSRC2:TIDIG_COMP_CNT: 0
; COMPUTE_PGM_RSRC3_GFX90A:ACCUM_OFFSET: 6
; COMPUTE_PGM_RSRC3_GFX90A:TG_SPLIT: 0
	.section	.text._ZN9rocsparseL21csrmvn_general_kernelILj256ELj16EllddddEEvbT2_NS_24const_host_device_scalarIT6_EEPKT1_S7_PKS1_PKT3_PKT4_S4_PT5_21rocsparse_index_base_b,"axG",@progbits,_ZN9rocsparseL21csrmvn_general_kernelILj256ELj16EllddddEEvbT2_NS_24const_host_device_scalarIT6_EEPKT1_S7_PKS1_PKT3_PKT4_S4_PT5_21rocsparse_index_base_b,comdat
	.globl	_ZN9rocsparseL21csrmvn_general_kernelILj256ELj16EllddddEEvbT2_NS_24const_host_device_scalarIT6_EEPKT1_S7_PKS1_PKT3_PKT4_S4_PT5_21rocsparse_index_base_b ; -- Begin function _ZN9rocsparseL21csrmvn_general_kernelILj256ELj16EllddddEEvbT2_NS_24const_host_device_scalarIT6_EEPKT1_S7_PKS1_PKT3_PKT4_S4_PT5_21rocsparse_index_base_b
	.p2align	8
	.type	_ZN9rocsparseL21csrmvn_general_kernelILj256ELj16EllddddEEvbT2_NS_24const_host_device_scalarIT6_EEPKT1_S7_PKS1_PKT3_PKT4_S4_PT5_21rocsparse_index_base_b,@function
_ZN9rocsparseL21csrmvn_general_kernelILj256ELj16EllddddEEvbT2_NS_24const_host_device_scalarIT6_EEPKT1_S7_PKS1_PKT3_PKT4_S4_PT5_21rocsparse_index_base_b: ; @_ZN9rocsparseL21csrmvn_general_kernelILj256ELj16EllddddEEvbT2_NS_24const_host_device_scalarIT6_EEPKT1_S7_PKS1_PKT3_PKT4_S4_PT5_21rocsparse_index_base_b
; %bb.0:
	s_load_dwordx2 s[20:21], s[4:5], 0x50
	s_load_dwordx2 s[0:1], s[4:5], 0x40
	s_load_dwordx8 s[8:15], s[4:5], 0x8
	s_waitcnt lgkmcnt(0)
	s_bitcmp1_b32 s21, 0
	s_cselect_b64 s[16:17], -1, 0
	s_xor_b64 s[2:3], s[16:17], -1
	s_and_b64 vcc, exec, s[16:17]
	v_pk_mov_b32 v[2:3], s[10:11], s[10:11] op_sel:[0,1]
	s_cbranch_vccnz .LBB58_2
; %bb.1:
	v_pk_mov_b32 v[2:3], s[10:11], s[10:11] op_sel:[0,1]
	flat_load_dwordx2 v[2:3], v[2:3]
.LBB58_2:
	s_andn2_b64 vcc, exec, s[2:3]
	v_pk_mov_b32 v[4:5], s[0:1], s[0:1] op_sel:[0,1]
	s_cbranch_vccnz .LBB58_4
; %bb.3:
	v_pk_mov_b32 v[4:5], s[0:1], s[0:1] op_sel:[0,1]
	flat_load_dwordx2 v[4:5], v[4:5]
.LBB58_4:
	s_waitcnt vmcnt(0) lgkmcnt(0)
	v_cmp_neq_f64_e32 vcc, 0, v[2:3]
	v_cmp_neq_f64_e64 s[0:1], 1.0, v[4:5]
	s_or_b64 s[0:1], vcc, s[0:1]
	s_and_saveexec_b64 s[2:3], s[0:1]
	s_cbranch_execz .LBB58_16
; %bb.5:
	v_lshl_or_b32 v1, s6, 8, v0
	v_lshrrev_b32_e32 v6, 4, v1
	v_mov_b32_e32 v7, 0
	v_cmp_gt_i64_e32 vcc, s[8:9], v[6:7]
	s_and_b64 exec, exec, vcc
	s_cbranch_execz .LBB58_16
; %bb.6:
	s_load_dword s2, s[4:5], 0x58
	s_load_dwordx2 s[6:7], s[4:5], 0x48
	s_load_dwordx4 s[16:19], s[4:5], 0x28
	s_load_dwordx2 s[0:1], s[4:5], 0x38
	v_and_b32_e32 v0, 15, v0
	v_subrev_co_u32_e32 v18, vcc, s20, v0
	s_waitcnt lgkmcnt(0)
	s_lshl_b32 s26, s2, 4
	v_subb_co_u32_e64 v19, s[2:3], 0, 0, vcc
	s_ashr_i32 s3, s20, 31
	s_mov_b32 s2, s20
	s_lshl_b64 s[2:3], s[2:3], 3
	s_sub_u32 s27, s0, s2
	s_mov_b32 s21, 0
	s_subb_u32 s5, s1, s3
	v_cmp_eq_u32_e64 s[0:1], 15, v0
	s_mov_b64 s[10:11], 0
	v_cmp_neq_f64_e64 s[2:3], 0, v[4:5]
	v_mov_b32_e32 v20, s13
	v_mov_b32_e32 v21, s15
	;; [unrolled: 1-line block ×4, first 2 shown]
	s_branch .LBB58_9
.LBB58_7:                               ;   in Loop: Header=BB58_9 Depth=1
	s_or_b64 exec, exec, s[22:23]
	global_store_dwordx2 v[0:1], v[8:9], off
.LBB58_8:                               ;   in Loop: Header=BB58_9 Depth=1
	s_or_b64 exec, exec, s[4:5]
	v_mov_b32_e32 v0, s21
	v_add_co_u32_e32 v6, vcc, s26, v6
	v_addc_co_u32_e32 v7, vcc, v7, v0, vcc
	v_cmp_le_i64_e32 vcc, s[8:9], v[6:7]
	s_or_b64 s[10:11], vcc, s[10:11]
	s_andn2_b64 exec, exec, s[10:11]
	s_cbranch_execz .LBB58_16
.LBB58_9:                               ; =>This Loop Header: Depth=1
                                        ;     Child Loop BB58_11 Depth 2
	v_lshlrev_b64 v[0:1], 3, v[6:7]
	v_add_co_u32_e32 v8, vcc, s14, v0
	v_addc_co_u32_e32 v9, vcc, v21, v1, vcc
	global_load_dwordx2 v[8:9], v[8:9], off
	v_add_co_u32_e32 v10, vcc, s12, v0
	v_addc_co_u32_e32 v11, vcc, v20, v1, vcc
	global_load_dwordx2 v[10:11], v[10:11], off
	v_pk_mov_b32 v[12:13], 0, 0
	s_waitcnt vmcnt(1)
	v_subrev_co_u32_e32 v8, vcc, s20, v8
	v_subb_co_u32_e32 v9, vcc, v9, v22, vcc
	s_waitcnt vmcnt(0)
	v_add_co_u32_e32 v10, vcc, v10, v18
	v_addc_co_u32_e32 v11, vcc, v11, v19, vcc
	v_cmp_lt_i64_e32 vcc, v[10:11], v[8:9]
	s_and_saveexec_b64 s[22:23], vcc
	s_cbranch_execz .LBB58_13
; %bb.10:                               ;   in Loop: Header=BB58_9 Depth=1
	v_lshlrev_b64 v[12:13], 3, v[10:11]
	v_mov_b32_e32 v15, s19
	v_add_co_u32_e32 v14, vcc, s18, v12
	v_addc_co_u32_e32 v15, vcc, v15, v13, vcc
	v_mov_b32_e32 v17, s17
	v_add_co_u32_e32 v16, vcc, s16, v12
	v_addc_co_u32_e32 v17, vcc, v17, v13, vcc
	s_mov_b64 s[24:25], 0
	v_pk_mov_b32 v[12:13], 0, 0
.LBB58_11:                              ;   Parent Loop BB58_9 Depth=1
                                        ; =>  This Inner Loop Header: Depth=2
	global_load_dwordx2 v[24:25], v[16:17], off
	global_load_dwordx2 v[26:27], v[14:15], off
	s_waitcnt vmcnt(1)
	v_lshlrev_b64 v[24:25], 3, v[24:25]
	v_add_co_u32_e32 v24, vcc, s27, v24
	v_addc_co_u32_e32 v25, vcc, v23, v25, vcc
	global_load_dwordx2 v[24:25], v[24:25], off
	v_add_co_u32_e32 v10, vcc, 16, v10
	v_addc_co_u32_e32 v11, vcc, 0, v11, vcc
	v_add_co_u32_e32 v14, vcc, 0x80, v14
	v_addc_co_u32_e32 v15, vcc, 0, v15, vcc
	v_add_co_u32_e32 v16, vcc, 0x80, v16
	v_cmp_ge_i64_e64 s[4:5], v[10:11], v[8:9]
	s_waitcnt vmcnt(1)
	v_mul_f64 v[26:27], v[2:3], v[26:27]
	v_addc_co_u32_e32 v17, vcc, 0, v17, vcc
	s_or_b64 s[24:25], s[4:5], s[24:25]
	s_waitcnt vmcnt(0)
	v_fmac_f64_e32 v[12:13], v[26:27], v[24:25]
	s_andn2_b64 exec, exec, s[24:25]
	s_cbranch_execnz .LBB58_11
; %bb.12:                               ;   in Loop: Header=BB58_9 Depth=1
	s_or_b64 exec, exec, s[24:25]
.LBB58_13:                              ;   in Loop: Header=BB58_9 Depth=1
	s_or_b64 exec, exec, s[22:23]
	v_mov_b32_dpp v8, v12 row_shr:1 row_mask:0xf bank_mask:0xf
	v_mov_b32_dpp v9, v13 row_shr:1 row_mask:0xf bank_mask:0xf
	v_add_f64 v[8:9], v[12:13], v[8:9]
	s_nop 1
	v_mov_b32_dpp v10, v8 row_shr:2 row_mask:0xf bank_mask:0xf
	v_mov_b32_dpp v11, v9 row_shr:2 row_mask:0xf bank_mask:0xf
	v_add_f64 v[8:9], v[8:9], v[10:11]
	s_nop 1
	;; [unrolled: 4-line block ×3, first 2 shown]
	v_mov_b32_dpp v10, v8 row_shr:8 row_mask:0xf bank_mask:0xc
	v_mov_b32_dpp v11, v9 row_shr:8 row_mask:0xf bank_mask:0xc
	s_and_saveexec_b64 s[4:5], s[0:1]
	s_cbranch_execz .LBB58_8
; %bb.14:                               ;   in Loop: Header=BB58_9 Depth=1
	v_add_f64 v[8:9], v[8:9], v[10:11]
	v_mov_b32_e32 v10, s7
	v_add_co_u32_e32 v0, vcc, s6, v0
	v_addc_co_u32_e32 v1, vcc, v10, v1, vcc
	s_and_saveexec_b64 s[22:23], s[2:3]
	s_cbranch_execz .LBB58_7
; %bb.15:                               ;   in Loop: Header=BB58_9 Depth=1
	global_load_dwordx2 v[10:11], v[0:1], off
	s_waitcnt vmcnt(0)
	v_fmac_f64_e32 v[8:9], v[4:5], v[10:11]
	s_branch .LBB58_7
.LBB58_16:
	s_endpgm
	.section	.rodata,"a",@progbits
	.p2align	6, 0x0
	.amdhsa_kernel _ZN9rocsparseL21csrmvn_general_kernelILj256ELj16EllddddEEvbT2_NS_24const_host_device_scalarIT6_EEPKT1_S7_PKS1_PKT3_PKT4_S4_PT5_21rocsparse_index_base_b
		.amdhsa_group_segment_fixed_size 0
		.amdhsa_private_segment_fixed_size 0
		.amdhsa_kernarg_size 344
		.amdhsa_user_sgpr_count 6
		.amdhsa_user_sgpr_private_segment_buffer 1
		.amdhsa_user_sgpr_dispatch_ptr 0
		.amdhsa_user_sgpr_queue_ptr 0
		.amdhsa_user_sgpr_kernarg_segment_ptr 1
		.amdhsa_user_sgpr_dispatch_id 0
		.amdhsa_user_sgpr_flat_scratch_init 0
		.amdhsa_user_sgpr_kernarg_preload_length 0
		.amdhsa_user_sgpr_kernarg_preload_offset 0
		.amdhsa_user_sgpr_private_segment_size 0
		.amdhsa_uses_dynamic_stack 0
		.amdhsa_system_sgpr_private_segment_wavefront_offset 0
		.amdhsa_system_sgpr_workgroup_id_x 1
		.amdhsa_system_sgpr_workgroup_id_y 0
		.amdhsa_system_sgpr_workgroup_id_z 0
		.amdhsa_system_sgpr_workgroup_info 0
		.amdhsa_system_vgpr_workitem_id 0
		.amdhsa_next_free_vgpr 28
		.amdhsa_next_free_sgpr 28
		.amdhsa_accum_offset 28
		.amdhsa_reserve_vcc 1
		.amdhsa_reserve_flat_scratch 0
		.amdhsa_float_round_mode_32 0
		.amdhsa_float_round_mode_16_64 0
		.amdhsa_float_denorm_mode_32 3
		.amdhsa_float_denorm_mode_16_64 3
		.amdhsa_dx10_clamp 1
		.amdhsa_ieee_mode 1
		.amdhsa_fp16_overflow 0
		.amdhsa_tg_split 0
		.amdhsa_exception_fp_ieee_invalid_op 0
		.amdhsa_exception_fp_denorm_src 0
		.amdhsa_exception_fp_ieee_div_zero 0
		.amdhsa_exception_fp_ieee_overflow 0
		.amdhsa_exception_fp_ieee_underflow 0
		.amdhsa_exception_fp_ieee_inexact 0
		.amdhsa_exception_int_div_zero 0
	.end_amdhsa_kernel
	.section	.text._ZN9rocsparseL21csrmvn_general_kernelILj256ELj16EllddddEEvbT2_NS_24const_host_device_scalarIT6_EEPKT1_S7_PKS1_PKT3_PKT4_S4_PT5_21rocsparse_index_base_b,"axG",@progbits,_ZN9rocsparseL21csrmvn_general_kernelILj256ELj16EllddddEEvbT2_NS_24const_host_device_scalarIT6_EEPKT1_S7_PKS1_PKT3_PKT4_S4_PT5_21rocsparse_index_base_b,comdat
.Lfunc_end58:
	.size	_ZN9rocsparseL21csrmvn_general_kernelILj256ELj16EllddddEEvbT2_NS_24const_host_device_scalarIT6_EEPKT1_S7_PKS1_PKT3_PKT4_S4_PT5_21rocsparse_index_base_b, .Lfunc_end58-_ZN9rocsparseL21csrmvn_general_kernelILj256ELj16EllddddEEvbT2_NS_24const_host_device_scalarIT6_EEPKT1_S7_PKS1_PKT3_PKT4_S4_PT5_21rocsparse_index_base_b
                                        ; -- End function
	.section	.AMDGPU.csdata,"",@progbits
; Kernel info:
; codeLenInByte = 736
; NumSgprs: 32
; NumVgprs: 28
; NumAgprs: 0
; TotalNumVgprs: 28
; ScratchSize: 0
; MemoryBound: 1
; FloatMode: 240
; IeeeMode: 1
; LDSByteSize: 0 bytes/workgroup (compile time only)
; SGPRBlocks: 3
; VGPRBlocks: 3
; NumSGPRsForWavesPerEU: 32
; NumVGPRsForWavesPerEU: 28
; AccumOffset: 28
; Occupancy: 8
; WaveLimiterHint : 1
; COMPUTE_PGM_RSRC2:SCRATCH_EN: 0
; COMPUTE_PGM_RSRC2:USER_SGPR: 6
; COMPUTE_PGM_RSRC2:TRAP_HANDLER: 0
; COMPUTE_PGM_RSRC2:TGID_X_EN: 1
; COMPUTE_PGM_RSRC2:TGID_Y_EN: 0
; COMPUTE_PGM_RSRC2:TGID_Z_EN: 0
; COMPUTE_PGM_RSRC2:TIDIG_COMP_CNT: 0
; COMPUTE_PGM_RSRC3_GFX90A:ACCUM_OFFSET: 6
; COMPUTE_PGM_RSRC3_GFX90A:TG_SPLIT: 0
	.section	.text._ZN9rocsparseL21csrmvn_general_kernelILj256ELj32EllddddEEvbT2_NS_24const_host_device_scalarIT6_EEPKT1_S7_PKS1_PKT3_PKT4_S4_PT5_21rocsparse_index_base_b,"axG",@progbits,_ZN9rocsparseL21csrmvn_general_kernelILj256ELj32EllddddEEvbT2_NS_24const_host_device_scalarIT6_EEPKT1_S7_PKS1_PKT3_PKT4_S4_PT5_21rocsparse_index_base_b,comdat
	.globl	_ZN9rocsparseL21csrmvn_general_kernelILj256ELj32EllddddEEvbT2_NS_24const_host_device_scalarIT6_EEPKT1_S7_PKS1_PKT3_PKT4_S4_PT5_21rocsparse_index_base_b ; -- Begin function _ZN9rocsparseL21csrmvn_general_kernelILj256ELj32EllddddEEvbT2_NS_24const_host_device_scalarIT6_EEPKT1_S7_PKS1_PKT3_PKT4_S4_PT5_21rocsparse_index_base_b
	.p2align	8
	.type	_ZN9rocsparseL21csrmvn_general_kernelILj256ELj32EllddddEEvbT2_NS_24const_host_device_scalarIT6_EEPKT1_S7_PKS1_PKT3_PKT4_S4_PT5_21rocsparse_index_base_b,@function
_ZN9rocsparseL21csrmvn_general_kernelILj256ELj32EllddddEEvbT2_NS_24const_host_device_scalarIT6_EEPKT1_S7_PKS1_PKT3_PKT4_S4_PT5_21rocsparse_index_base_b: ; @_ZN9rocsparseL21csrmvn_general_kernelILj256ELj32EllddddEEvbT2_NS_24const_host_device_scalarIT6_EEPKT1_S7_PKS1_PKT3_PKT4_S4_PT5_21rocsparse_index_base_b
; %bb.0:
	s_load_dwordx2 s[20:21], s[4:5], 0x50
	s_load_dwordx2 s[0:1], s[4:5], 0x40
	s_load_dwordx8 s[8:15], s[4:5], 0x8
	s_waitcnt lgkmcnt(0)
	s_bitcmp1_b32 s21, 0
	s_cselect_b64 s[16:17], -1, 0
	s_xor_b64 s[2:3], s[16:17], -1
	s_and_b64 vcc, exec, s[16:17]
	v_pk_mov_b32 v[2:3], s[10:11], s[10:11] op_sel:[0,1]
	s_cbranch_vccnz .LBB59_2
; %bb.1:
	v_pk_mov_b32 v[2:3], s[10:11], s[10:11] op_sel:[0,1]
	flat_load_dwordx2 v[2:3], v[2:3]
.LBB59_2:
	s_andn2_b64 vcc, exec, s[2:3]
	v_pk_mov_b32 v[4:5], s[0:1], s[0:1] op_sel:[0,1]
	s_cbranch_vccnz .LBB59_4
; %bb.3:
	v_pk_mov_b32 v[4:5], s[0:1], s[0:1] op_sel:[0,1]
	flat_load_dwordx2 v[4:5], v[4:5]
.LBB59_4:
	s_waitcnt vmcnt(0) lgkmcnt(0)
	v_cmp_neq_f64_e32 vcc, 0, v[2:3]
	v_cmp_neq_f64_e64 s[0:1], 1.0, v[4:5]
	s_or_b64 s[0:1], vcc, s[0:1]
	s_and_saveexec_b64 s[2:3], s[0:1]
	s_cbranch_execz .LBB59_16
; %bb.5:
	v_lshl_or_b32 v1, s6, 8, v0
	v_lshrrev_b32_e32 v6, 5, v1
	v_mov_b32_e32 v7, 0
	v_cmp_gt_i64_e32 vcc, s[8:9], v[6:7]
	s_and_b64 exec, exec, vcc
	s_cbranch_execz .LBB59_16
; %bb.6:
	s_load_dword s2, s[4:5], 0x58
	s_load_dwordx2 s[6:7], s[4:5], 0x48
	s_load_dwordx4 s[16:19], s[4:5], 0x28
	s_load_dwordx2 s[0:1], s[4:5], 0x38
	v_and_b32_e32 v0, 31, v0
	v_subrev_co_u32_e32 v18, vcc, s20, v0
	s_waitcnt lgkmcnt(0)
	s_lshl_b32 s26, s2, 3
	v_subb_co_u32_e64 v19, s[2:3], 0, 0, vcc
	s_ashr_i32 s3, s20, 31
	s_mov_b32 s2, s20
	s_lshl_b64 s[2:3], s[2:3], 3
	s_sub_u32 s27, s0, s2
	s_mov_b32 s21, 0
	s_subb_u32 s5, s1, s3
	v_cmp_eq_u32_e64 s[0:1], 31, v0
	s_mov_b64 s[10:11], 0
	v_cmp_neq_f64_e64 s[2:3], 0, v[4:5]
	v_mov_b32_e32 v20, s13
	v_mov_b32_e32 v21, s15
	;; [unrolled: 1-line block ×4, first 2 shown]
	s_branch .LBB59_9
.LBB59_7:                               ;   in Loop: Header=BB59_9 Depth=1
	s_or_b64 exec, exec, s[22:23]
	global_store_dwordx2 v[0:1], v[8:9], off
.LBB59_8:                               ;   in Loop: Header=BB59_9 Depth=1
	s_or_b64 exec, exec, s[4:5]
	v_mov_b32_e32 v0, s21
	v_add_co_u32_e32 v6, vcc, s26, v6
	v_addc_co_u32_e32 v7, vcc, v7, v0, vcc
	v_cmp_le_i64_e32 vcc, s[8:9], v[6:7]
	s_or_b64 s[10:11], vcc, s[10:11]
	s_andn2_b64 exec, exec, s[10:11]
	s_cbranch_execz .LBB59_16
.LBB59_9:                               ; =>This Loop Header: Depth=1
                                        ;     Child Loop BB59_11 Depth 2
	v_lshlrev_b64 v[0:1], 3, v[6:7]
	v_add_co_u32_e32 v8, vcc, s14, v0
	v_addc_co_u32_e32 v9, vcc, v21, v1, vcc
	global_load_dwordx2 v[8:9], v[8:9], off
	v_add_co_u32_e32 v10, vcc, s12, v0
	v_addc_co_u32_e32 v11, vcc, v20, v1, vcc
	global_load_dwordx2 v[10:11], v[10:11], off
	v_pk_mov_b32 v[12:13], 0, 0
	s_waitcnt vmcnt(1)
	v_subrev_co_u32_e32 v8, vcc, s20, v8
	v_subb_co_u32_e32 v9, vcc, v9, v22, vcc
	s_waitcnt vmcnt(0)
	v_add_co_u32_e32 v10, vcc, v10, v18
	v_addc_co_u32_e32 v11, vcc, v11, v19, vcc
	v_cmp_lt_i64_e32 vcc, v[10:11], v[8:9]
	s_and_saveexec_b64 s[22:23], vcc
	s_cbranch_execz .LBB59_13
; %bb.10:                               ;   in Loop: Header=BB59_9 Depth=1
	v_lshlrev_b64 v[12:13], 3, v[10:11]
	v_mov_b32_e32 v15, s19
	v_add_co_u32_e32 v14, vcc, s18, v12
	v_addc_co_u32_e32 v15, vcc, v15, v13, vcc
	v_mov_b32_e32 v17, s17
	v_add_co_u32_e32 v16, vcc, s16, v12
	v_addc_co_u32_e32 v17, vcc, v17, v13, vcc
	s_mov_b64 s[24:25], 0
	v_pk_mov_b32 v[12:13], 0, 0
.LBB59_11:                              ;   Parent Loop BB59_9 Depth=1
                                        ; =>  This Inner Loop Header: Depth=2
	global_load_dwordx2 v[24:25], v[16:17], off
	global_load_dwordx2 v[26:27], v[14:15], off
	s_waitcnt vmcnt(1)
	v_lshlrev_b64 v[24:25], 3, v[24:25]
	v_add_co_u32_e32 v24, vcc, s27, v24
	v_addc_co_u32_e32 v25, vcc, v23, v25, vcc
	global_load_dwordx2 v[24:25], v[24:25], off
	v_add_co_u32_e32 v10, vcc, 32, v10
	v_addc_co_u32_e32 v11, vcc, 0, v11, vcc
	v_add_co_u32_e32 v14, vcc, 0x100, v14
	v_addc_co_u32_e32 v15, vcc, 0, v15, vcc
	v_add_co_u32_e32 v16, vcc, 0x100, v16
	v_cmp_ge_i64_e64 s[4:5], v[10:11], v[8:9]
	s_waitcnt vmcnt(1)
	v_mul_f64 v[26:27], v[2:3], v[26:27]
	v_addc_co_u32_e32 v17, vcc, 0, v17, vcc
	s_or_b64 s[24:25], s[4:5], s[24:25]
	s_waitcnt vmcnt(0)
	v_fmac_f64_e32 v[12:13], v[26:27], v[24:25]
	s_andn2_b64 exec, exec, s[24:25]
	s_cbranch_execnz .LBB59_11
; %bb.12:                               ;   in Loop: Header=BB59_9 Depth=1
	s_or_b64 exec, exec, s[24:25]
.LBB59_13:                              ;   in Loop: Header=BB59_9 Depth=1
	s_or_b64 exec, exec, s[22:23]
	v_mov_b32_dpp v8, v12 row_shr:1 row_mask:0xf bank_mask:0xf
	v_mov_b32_dpp v9, v13 row_shr:1 row_mask:0xf bank_mask:0xf
	v_add_f64 v[8:9], v[12:13], v[8:9]
	s_nop 1
	v_mov_b32_dpp v10, v8 row_shr:2 row_mask:0xf bank_mask:0xf
	v_mov_b32_dpp v11, v9 row_shr:2 row_mask:0xf bank_mask:0xf
	v_add_f64 v[8:9], v[8:9], v[10:11]
	s_nop 1
	;; [unrolled: 4-line block ×4, first 2 shown]
	v_mov_b32_dpp v10, v8 row_bcast:15 row_mask:0xa bank_mask:0xf
	v_mov_b32_dpp v11, v9 row_bcast:15 row_mask:0xa bank_mask:0xf
	s_and_saveexec_b64 s[4:5], s[0:1]
	s_cbranch_execz .LBB59_8
; %bb.14:                               ;   in Loop: Header=BB59_9 Depth=1
	v_add_f64 v[8:9], v[8:9], v[10:11]
	v_mov_b32_e32 v10, s7
	v_add_co_u32_e32 v0, vcc, s6, v0
	v_addc_co_u32_e32 v1, vcc, v10, v1, vcc
	s_and_saveexec_b64 s[22:23], s[2:3]
	s_cbranch_execz .LBB59_7
; %bb.15:                               ;   in Loop: Header=BB59_9 Depth=1
	global_load_dwordx2 v[10:11], v[0:1], off
	s_waitcnt vmcnt(0)
	v_fmac_f64_e32 v[8:9], v[4:5], v[10:11]
	s_branch .LBB59_7
.LBB59_16:
	s_endpgm
	.section	.rodata,"a",@progbits
	.p2align	6, 0x0
	.amdhsa_kernel _ZN9rocsparseL21csrmvn_general_kernelILj256ELj32EllddddEEvbT2_NS_24const_host_device_scalarIT6_EEPKT1_S7_PKS1_PKT3_PKT4_S4_PT5_21rocsparse_index_base_b
		.amdhsa_group_segment_fixed_size 0
		.amdhsa_private_segment_fixed_size 0
		.amdhsa_kernarg_size 344
		.amdhsa_user_sgpr_count 6
		.amdhsa_user_sgpr_private_segment_buffer 1
		.amdhsa_user_sgpr_dispatch_ptr 0
		.amdhsa_user_sgpr_queue_ptr 0
		.amdhsa_user_sgpr_kernarg_segment_ptr 1
		.amdhsa_user_sgpr_dispatch_id 0
		.amdhsa_user_sgpr_flat_scratch_init 0
		.amdhsa_user_sgpr_kernarg_preload_length 0
		.amdhsa_user_sgpr_kernarg_preload_offset 0
		.amdhsa_user_sgpr_private_segment_size 0
		.amdhsa_uses_dynamic_stack 0
		.amdhsa_system_sgpr_private_segment_wavefront_offset 0
		.amdhsa_system_sgpr_workgroup_id_x 1
		.amdhsa_system_sgpr_workgroup_id_y 0
		.amdhsa_system_sgpr_workgroup_id_z 0
		.amdhsa_system_sgpr_workgroup_info 0
		.amdhsa_system_vgpr_workitem_id 0
		.amdhsa_next_free_vgpr 28
		.amdhsa_next_free_sgpr 28
		.amdhsa_accum_offset 28
		.amdhsa_reserve_vcc 1
		.amdhsa_reserve_flat_scratch 0
		.amdhsa_float_round_mode_32 0
		.amdhsa_float_round_mode_16_64 0
		.amdhsa_float_denorm_mode_32 3
		.amdhsa_float_denorm_mode_16_64 3
		.amdhsa_dx10_clamp 1
		.amdhsa_ieee_mode 1
		.amdhsa_fp16_overflow 0
		.amdhsa_tg_split 0
		.amdhsa_exception_fp_ieee_invalid_op 0
		.amdhsa_exception_fp_denorm_src 0
		.amdhsa_exception_fp_ieee_div_zero 0
		.amdhsa_exception_fp_ieee_overflow 0
		.amdhsa_exception_fp_ieee_underflow 0
		.amdhsa_exception_fp_ieee_inexact 0
		.amdhsa_exception_int_div_zero 0
	.end_amdhsa_kernel
	.section	.text._ZN9rocsparseL21csrmvn_general_kernelILj256ELj32EllddddEEvbT2_NS_24const_host_device_scalarIT6_EEPKT1_S7_PKS1_PKT3_PKT4_S4_PT5_21rocsparse_index_base_b,"axG",@progbits,_ZN9rocsparseL21csrmvn_general_kernelILj256ELj32EllddddEEvbT2_NS_24const_host_device_scalarIT6_EEPKT1_S7_PKS1_PKT3_PKT4_S4_PT5_21rocsparse_index_base_b,comdat
.Lfunc_end59:
	.size	_ZN9rocsparseL21csrmvn_general_kernelILj256ELj32EllddddEEvbT2_NS_24const_host_device_scalarIT6_EEPKT1_S7_PKS1_PKT3_PKT4_S4_PT5_21rocsparse_index_base_b, .Lfunc_end59-_ZN9rocsparseL21csrmvn_general_kernelILj256ELj32EllddddEEvbT2_NS_24const_host_device_scalarIT6_EEPKT1_S7_PKS1_PKT3_PKT4_S4_PT5_21rocsparse_index_base_b
                                        ; -- End function
	.section	.AMDGPU.csdata,"",@progbits
; Kernel info:
; codeLenInByte = 764
; NumSgprs: 32
; NumVgprs: 28
; NumAgprs: 0
; TotalNumVgprs: 28
; ScratchSize: 0
; MemoryBound: 1
; FloatMode: 240
; IeeeMode: 1
; LDSByteSize: 0 bytes/workgroup (compile time only)
; SGPRBlocks: 3
; VGPRBlocks: 3
; NumSGPRsForWavesPerEU: 32
; NumVGPRsForWavesPerEU: 28
; AccumOffset: 28
; Occupancy: 8
; WaveLimiterHint : 1
; COMPUTE_PGM_RSRC2:SCRATCH_EN: 0
; COMPUTE_PGM_RSRC2:USER_SGPR: 6
; COMPUTE_PGM_RSRC2:TRAP_HANDLER: 0
; COMPUTE_PGM_RSRC2:TGID_X_EN: 1
; COMPUTE_PGM_RSRC2:TGID_Y_EN: 0
; COMPUTE_PGM_RSRC2:TGID_Z_EN: 0
; COMPUTE_PGM_RSRC2:TIDIG_COMP_CNT: 0
; COMPUTE_PGM_RSRC3_GFX90A:ACCUM_OFFSET: 6
; COMPUTE_PGM_RSRC3_GFX90A:TG_SPLIT: 0
	.section	.text._ZN9rocsparseL21csrmvn_general_kernelILj256ELj64EllddddEEvbT2_NS_24const_host_device_scalarIT6_EEPKT1_S7_PKS1_PKT3_PKT4_S4_PT5_21rocsparse_index_base_b,"axG",@progbits,_ZN9rocsparseL21csrmvn_general_kernelILj256ELj64EllddddEEvbT2_NS_24const_host_device_scalarIT6_EEPKT1_S7_PKS1_PKT3_PKT4_S4_PT5_21rocsparse_index_base_b,comdat
	.globl	_ZN9rocsparseL21csrmvn_general_kernelILj256ELj64EllddddEEvbT2_NS_24const_host_device_scalarIT6_EEPKT1_S7_PKS1_PKT3_PKT4_S4_PT5_21rocsparse_index_base_b ; -- Begin function _ZN9rocsparseL21csrmvn_general_kernelILj256ELj64EllddddEEvbT2_NS_24const_host_device_scalarIT6_EEPKT1_S7_PKS1_PKT3_PKT4_S4_PT5_21rocsparse_index_base_b
	.p2align	8
	.type	_ZN9rocsparseL21csrmvn_general_kernelILj256ELj64EllddddEEvbT2_NS_24const_host_device_scalarIT6_EEPKT1_S7_PKS1_PKT3_PKT4_S4_PT5_21rocsparse_index_base_b,@function
_ZN9rocsparseL21csrmvn_general_kernelILj256ELj64EllddddEEvbT2_NS_24const_host_device_scalarIT6_EEPKT1_S7_PKS1_PKT3_PKT4_S4_PT5_21rocsparse_index_base_b: ; @_ZN9rocsparseL21csrmvn_general_kernelILj256ELj64EllddddEEvbT2_NS_24const_host_device_scalarIT6_EEPKT1_S7_PKS1_PKT3_PKT4_S4_PT5_21rocsparse_index_base_b
; %bb.0:
	s_load_dwordx2 s[20:21], s[4:5], 0x50
	s_load_dwordx2 s[0:1], s[4:5], 0x40
	s_load_dwordx8 s[8:15], s[4:5], 0x8
	s_waitcnt lgkmcnt(0)
	s_bitcmp1_b32 s21, 0
	s_cselect_b64 s[16:17], -1, 0
	s_xor_b64 s[2:3], s[16:17], -1
	s_and_b64 vcc, exec, s[16:17]
	v_pk_mov_b32 v[2:3], s[10:11], s[10:11] op_sel:[0,1]
	s_cbranch_vccnz .LBB60_2
; %bb.1:
	v_pk_mov_b32 v[2:3], s[10:11], s[10:11] op_sel:[0,1]
	flat_load_dwordx2 v[2:3], v[2:3]
.LBB60_2:
	s_andn2_b64 vcc, exec, s[2:3]
	v_pk_mov_b32 v[4:5], s[0:1], s[0:1] op_sel:[0,1]
	s_cbranch_vccnz .LBB60_4
; %bb.3:
	v_pk_mov_b32 v[4:5], s[0:1], s[0:1] op_sel:[0,1]
	flat_load_dwordx2 v[4:5], v[4:5]
.LBB60_4:
	s_waitcnt vmcnt(0) lgkmcnt(0)
	v_cmp_neq_f64_e32 vcc, 0, v[2:3]
	v_cmp_neq_f64_e64 s[0:1], 1.0, v[4:5]
	s_or_b64 s[0:1], vcc, s[0:1]
	s_and_saveexec_b64 s[2:3], s[0:1]
	s_cbranch_execz .LBB60_16
; %bb.5:
	v_lshl_or_b32 v1, s6, 8, v0
	v_lshrrev_b32_e32 v6, 6, v1
	v_mov_b32_e32 v7, 0
	v_cmp_gt_i64_e32 vcc, s[8:9], v[6:7]
	s_and_b64 exec, exec, vcc
	s_cbranch_execz .LBB60_16
; %bb.6:
	s_load_dword s2, s[4:5], 0x58
	s_load_dwordx2 s[6:7], s[4:5], 0x48
	s_load_dwordx4 s[16:19], s[4:5], 0x28
	s_load_dwordx2 s[0:1], s[4:5], 0x38
	v_and_b32_e32 v0, 63, v0
	v_subrev_co_u32_e32 v18, vcc, s20, v0
	s_waitcnt lgkmcnt(0)
	s_lshl_b32 s26, s2, 2
	v_subb_co_u32_e64 v19, s[2:3], 0, 0, vcc
	s_ashr_i32 s3, s20, 31
	s_mov_b32 s2, s20
	s_lshl_b64 s[2:3], s[2:3], 3
	s_sub_u32 s27, s0, s2
	s_mov_b32 s21, 0
	s_subb_u32 s5, s1, s3
	v_cmp_eq_u32_e64 s[0:1], 63, v0
	s_mov_b64 s[10:11], 0
	v_cmp_neq_f64_e64 s[2:3], 0, v[4:5]
	v_mov_b32_e32 v20, s13
	v_mov_b32_e32 v21, s15
	;; [unrolled: 1-line block ×4, first 2 shown]
	s_branch .LBB60_9
.LBB60_7:                               ;   in Loop: Header=BB60_9 Depth=1
	s_or_b64 exec, exec, s[22:23]
	global_store_dwordx2 v[0:1], v[8:9], off
.LBB60_8:                               ;   in Loop: Header=BB60_9 Depth=1
	s_or_b64 exec, exec, s[4:5]
	v_mov_b32_e32 v0, s21
	v_add_co_u32_e32 v6, vcc, s26, v6
	v_addc_co_u32_e32 v7, vcc, v7, v0, vcc
	v_cmp_le_i64_e32 vcc, s[8:9], v[6:7]
	s_or_b64 s[10:11], vcc, s[10:11]
	s_andn2_b64 exec, exec, s[10:11]
	s_cbranch_execz .LBB60_16
.LBB60_9:                               ; =>This Loop Header: Depth=1
                                        ;     Child Loop BB60_11 Depth 2
	v_lshlrev_b64 v[0:1], 3, v[6:7]
	v_add_co_u32_e32 v8, vcc, s14, v0
	v_addc_co_u32_e32 v9, vcc, v21, v1, vcc
	global_load_dwordx2 v[8:9], v[8:9], off
	v_add_co_u32_e32 v10, vcc, s12, v0
	v_addc_co_u32_e32 v11, vcc, v20, v1, vcc
	global_load_dwordx2 v[10:11], v[10:11], off
	v_pk_mov_b32 v[12:13], 0, 0
	s_waitcnt vmcnt(1)
	v_subrev_co_u32_e32 v8, vcc, s20, v8
	v_subb_co_u32_e32 v9, vcc, v9, v22, vcc
	s_waitcnt vmcnt(0)
	v_add_co_u32_e32 v10, vcc, v10, v18
	v_addc_co_u32_e32 v11, vcc, v11, v19, vcc
	v_cmp_lt_i64_e32 vcc, v[10:11], v[8:9]
	s_and_saveexec_b64 s[22:23], vcc
	s_cbranch_execz .LBB60_13
; %bb.10:                               ;   in Loop: Header=BB60_9 Depth=1
	v_lshlrev_b64 v[12:13], 3, v[10:11]
	v_mov_b32_e32 v15, s19
	v_add_co_u32_e32 v14, vcc, s18, v12
	v_addc_co_u32_e32 v15, vcc, v15, v13, vcc
	v_mov_b32_e32 v17, s17
	v_add_co_u32_e32 v16, vcc, s16, v12
	v_addc_co_u32_e32 v17, vcc, v17, v13, vcc
	s_mov_b64 s[24:25], 0
	v_pk_mov_b32 v[12:13], 0, 0
.LBB60_11:                              ;   Parent Loop BB60_9 Depth=1
                                        ; =>  This Inner Loop Header: Depth=2
	global_load_dwordx2 v[24:25], v[16:17], off
	global_load_dwordx2 v[26:27], v[14:15], off
	s_waitcnt vmcnt(1)
	v_lshlrev_b64 v[24:25], 3, v[24:25]
	v_add_co_u32_e32 v24, vcc, s27, v24
	v_addc_co_u32_e32 v25, vcc, v23, v25, vcc
	global_load_dwordx2 v[24:25], v[24:25], off
	v_add_co_u32_e32 v10, vcc, 64, v10
	v_addc_co_u32_e32 v11, vcc, 0, v11, vcc
	v_add_co_u32_e32 v14, vcc, 0x200, v14
	v_addc_co_u32_e32 v15, vcc, 0, v15, vcc
	v_add_co_u32_e32 v16, vcc, 0x200, v16
	v_cmp_ge_i64_e64 s[4:5], v[10:11], v[8:9]
	s_waitcnt vmcnt(1)
	v_mul_f64 v[26:27], v[2:3], v[26:27]
	v_addc_co_u32_e32 v17, vcc, 0, v17, vcc
	s_or_b64 s[24:25], s[4:5], s[24:25]
	s_waitcnt vmcnt(0)
	v_fmac_f64_e32 v[12:13], v[26:27], v[24:25]
	s_andn2_b64 exec, exec, s[24:25]
	s_cbranch_execnz .LBB60_11
; %bb.12:                               ;   in Loop: Header=BB60_9 Depth=1
	s_or_b64 exec, exec, s[24:25]
.LBB60_13:                              ;   in Loop: Header=BB60_9 Depth=1
	s_or_b64 exec, exec, s[22:23]
	v_mov_b32_dpp v8, v12 row_shr:1 row_mask:0xf bank_mask:0xf
	v_mov_b32_dpp v9, v13 row_shr:1 row_mask:0xf bank_mask:0xf
	v_add_f64 v[8:9], v[12:13], v[8:9]
	s_nop 1
	v_mov_b32_dpp v10, v8 row_shr:2 row_mask:0xf bank_mask:0xf
	v_mov_b32_dpp v11, v9 row_shr:2 row_mask:0xf bank_mask:0xf
	v_add_f64 v[8:9], v[8:9], v[10:11]
	s_nop 1
	;; [unrolled: 4-line block ×4, first 2 shown]
	v_mov_b32_dpp v10, v8 row_bcast:15 row_mask:0xa bank_mask:0xf
	v_mov_b32_dpp v11, v9 row_bcast:15 row_mask:0xa bank_mask:0xf
	v_add_f64 v[8:9], v[8:9], v[10:11]
	s_nop 1
	v_mov_b32_dpp v10, v8 row_bcast:31 row_mask:0xc bank_mask:0xf
	v_mov_b32_dpp v11, v9 row_bcast:31 row_mask:0xc bank_mask:0xf
	s_and_saveexec_b64 s[4:5], s[0:1]
	s_cbranch_execz .LBB60_8
; %bb.14:                               ;   in Loop: Header=BB60_9 Depth=1
	v_add_f64 v[8:9], v[8:9], v[10:11]
	v_mov_b32_e32 v10, s7
	v_add_co_u32_e32 v0, vcc, s6, v0
	v_addc_co_u32_e32 v1, vcc, v10, v1, vcc
	s_and_saveexec_b64 s[22:23], s[2:3]
	s_cbranch_execz .LBB60_7
; %bb.15:                               ;   in Loop: Header=BB60_9 Depth=1
	global_load_dwordx2 v[10:11], v[0:1], off
	s_waitcnt vmcnt(0)
	v_fmac_f64_e32 v[8:9], v[4:5], v[10:11]
	s_branch .LBB60_7
.LBB60_16:
	s_endpgm
	.section	.rodata,"a",@progbits
	.p2align	6, 0x0
	.amdhsa_kernel _ZN9rocsparseL21csrmvn_general_kernelILj256ELj64EllddddEEvbT2_NS_24const_host_device_scalarIT6_EEPKT1_S7_PKS1_PKT3_PKT4_S4_PT5_21rocsparse_index_base_b
		.amdhsa_group_segment_fixed_size 0
		.amdhsa_private_segment_fixed_size 0
		.amdhsa_kernarg_size 344
		.amdhsa_user_sgpr_count 6
		.amdhsa_user_sgpr_private_segment_buffer 1
		.amdhsa_user_sgpr_dispatch_ptr 0
		.amdhsa_user_sgpr_queue_ptr 0
		.amdhsa_user_sgpr_kernarg_segment_ptr 1
		.amdhsa_user_sgpr_dispatch_id 0
		.amdhsa_user_sgpr_flat_scratch_init 0
		.amdhsa_user_sgpr_kernarg_preload_length 0
		.amdhsa_user_sgpr_kernarg_preload_offset 0
		.amdhsa_user_sgpr_private_segment_size 0
		.amdhsa_uses_dynamic_stack 0
		.amdhsa_system_sgpr_private_segment_wavefront_offset 0
		.amdhsa_system_sgpr_workgroup_id_x 1
		.amdhsa_system_sgpr_workgroup_id_y 0
		.amdhsa_system_sgpr_workgroup_id_z 0
		.amdhsa_system_sgpr_workgroup_info 0
		.amdhsa_system_vgpr_workitem_id 0
		.amdhsa_next_free_vgpr 28
		.amdhsa_next_free_sgpr 28
		.amdhsa_accum_offset 28
		.amdhsa_reserve_vcc 1
		.amdhsa_reserve_flat_scratch 0
		.amdhsa_float_round_mode_32 0
		.amdhsa_float_round_mode_16_64 0
		.amdhsa_float_denorm_mode_32 3
		.amdhsa_float_denorm_mode_16_64 3
		.amdhsa_dx10_clamp 1
		.amdhsa_ieee_mode 1
		.amdhsa_fp16_overflow 0
		.amdhsa_tg_split 0
		.amdhsa_exception_fp_ieee_invalid_op 0
		.amdhsa_exception_fp_denorm_src 0
		.amdhsa_exception_fp_ieee_div_zero 0
		.amdhsa_exception_fp_ieee_overflow 0
		.amdhsa_exception_fp_ieee_underflow 0
		.amdhsa_exception_fp_ieee_inexact 0
		.amdhsa_exception_int_div_zero 0
	.end_amdhsa_kernel
	.section	.text._ZN9rocsparseL21csrmvn_general_kernelILj256ELj64EllddddEEvbT2_NS_24const_host_device_scalarIT6_EEPKT1_S7_PKS1_PKT3_PKT4_S4_PT5_21rocsparse_index_base_b,"axG",@progbits,_ZN9rocsparseL21csrmvn_general_kernelILj256ELj64EllddddEEvbT2_NS_24const_host_device_scalarIT6_EEPKT1_S7_PKS1_PKT3_PKT4_S4_PT5_21rocsparse_index_base_b,comdat
.Lfunc_end60:
	.size	_ZN9rocsparseL21csrmvn_general_kernelILj256ELj64EllddddEEvbT2_NS_24const_host_device_scalarIT6_EEPKT1_S7_PKS1_PKT3_PKT4_S4_PT5_21rocsparse_index_base_b, .Lfunc_end60-_ZN9rocsparseL21csrmvn_general_kernelILj256ELj64EllddddEEvbT2_NS_24const_host_device_scalarIT6_EEPKT1_S7_PKS1_PKT3_PKT4_S4_PT5_21rocsparse_index_base_b
                                        ; -- End function
	.section	.AMDGPU.csdata,"",@progbits
; Kernel info:
; codeLenInByte = 792
; NumSgprs: 32
; NumVgprs: 28
; NumAgprs: 0
; TotalNumVgprs: 28
; ScratchSize: 0
; MemoryBound: 1
; FloatMode: 240
; IeeeMode: 1
; LDSByteSize: 0 bytes/workgroup (compile time only)
; SGPRBlocks: 3
; VGPRBlocks: 3
; NumSGPRsForWavesPerEU: 32
; NumVGPRsForWavesPerEU: 28
; AccumOffset: 28
; Occupancy: 8
; WaveLimiterHint : 1
; COMPUTE_PGM_RSRC2:SCRATCH_EN: 0
; COMPUTE_PGM_RSRC2:USER_SGPR: 6
; COMPUTE_PGM_RSRC2:TRAP_HANDLER: 0
; COMPUTE_PGM_RSRC2:TGID_X_EN: 1
; COMPUTE_PGM_RSRC2:TGID_Y_EN: 0
; COMPUTE_PGM_RSRC2:TGID_Z_EN: 0
; COMPUTE_PGM_RSRC2:TIDIG_COMP_CNT: 0
; COMPUTE_PGM_RSRC3_GFX90A:ACCUM_OFFSET: 6
; COMPUTE_PGM_RSRC3_GFX90A:TG_SPLIT: 0
	.section	.text._ZN9rocsparseL21csrmvt_general_kernelILj256ELj4EllddddEEvbbT2_NS_24const_host_device_scalarIT6_EEPKT1_S7_PKS1_PKT3_PKT4_PT5_21rocsparse_index_base_b,"axG",@progbits,_ZN9rocsparseL21csrmvt_general_kernelILj256ELj4EllddddEEvbbT2_NS_24const_host_device_scalarIT6_EEPKT1_S7_PKS1_PKT3_PKT4_PT5_21rocsparse_index_base_b,comdat
	.globl	_ZN9rocsparseL21csrmvt_general_kernelILj256ELj4EllddddEEvbbT2_NS_24const_host_device_scalarIT6_EEPKT1_S7_PKS1_PKT3_PKT4_PT5_21rocsparse_index_base_b ; -- Begin function _ZN9rocsparseL21csrmvt_general_kernelILj256ELj4EllddddEEvbbT2_NS_24const_host_device_scalarIT6_EEPKT1_S7_PKS1_PKT3_PKT4_PT5_21rocsparse_index_base_b
	.p2align	8
	.type	_ZN9rocsparseL21csrmvt_general_kernelILj256ELj4EllddddEEvbbT2_NS_24const_host_device_scalarIT6_EEPKT1_S7_PKS1_PKT3_PKT4_PT5_21rocsparse_index_base_b,@function
_ZN9rocsparseL21csrmvt_general_kernelILj256ELj4EllddddEEvbbT2_NS_24const_host_device_scalarIT6_EEPKT1_S7_PKS1_PKT3_PKT4_PT5_21rocsparse_index_base_b: ; @_ZN9rocsparseL21csrmvt_general_kernelILj256ELj4EllddddEEvbbT2_NS_24const_host_device_scalarIT6_EEPKT1_S7_PKS1_PKT3_PKT4_PT5_21rocsparse_index_base_b
; %bb.0:
	s_load_dwordx2 s[2:3], s[4:5], 0x48
	s_load_dwordx8 s[8:15], s[4:5], 0x8
	s_waitcnt lgkmcnt(0)
	s_bitcmp1_b32 s3, 0
	s_cselect_b64 s[0:1], -1, 0
	s_and_b64 vcc, exec, s[0:1]
	v_pk_mov_b32 v[4:5], s[10:11], s[10:11] op_sel:[0,1]
	s_cbranch_vccnz .LBB61_2
; %bb.1:
	v_pk_mov_b32 v[2:3], s[10:11], s[10:11] op_sel:[0,1]
	flat_load_dwordx2 v[4:5], v[2:3]
.LBB61_2:
	s_waitcnt vmcnt(0) lgkmcnt(0)
	v_cmp_neq_f64_e32 vcc, 0, v[4:5]
	s_and_saveexec_b64 s[0:1], vcc
	s_cbranch_execz .LBB61_23
; %bb.3:
	s_load_dword s0, s[4:5], 0x0
	s_load_dword s1, s[4:5], 0x50
	s_load_dwordx8 s[16:23], s[4:5], 0x28
	v_and_b32_e32 v20, 3, v0
	v_lshl_or_b32 v0, s6, 8, v0
	s_waitcnt lgkmcnt(0)
	s_and_b32 s0, s0, 1
	s_lshl_b32 s3, s1, 6
	v_lshrrev_b32_e32 v6, 2, v0
	v_mov_b32_e32 v7, 0
	s_cmp_eq_u32 s0, 0
	v_cmp_gt_i64_e64 s[0:1], s[8:9], v[6:7]
	s_mov_b64 s[4:5], -1
	s_cbranch_scc0 .LBB61_13
; %bb.4:
	s_and_saveexec_b64 s[4:5], s[0:1]
	s_cbranch_execz .LBB61_12
; %bb.5:
	v_subrev_co_u32_e32 v21, vcc, s2, v20
	s_mov_b32 s10, 0
	v_subb_co_u32_e64 v22, s[6:7], 0, 0, vcc
	s_mov_b64 s[6:7], 0
	v_mov_b32_e32 v23, s13
	v_mov_b32_e32 v24, s15
	;; [unrolled: 1-line block ×3, first 2 shown]
	v_pk_mov_b32 v[8:9], v[6:7], v[6:7] op_sel:[0,1]
	s_branch .LBB61_7
.LBB61_6:                               ;   in Loop: Header=BB61_7 Depth=1
	s_or_b64 exec, exec, s[10:11]
	v_add_co_u32_e32 v8, vcc, s3, v8
	v_addc_co_u32_e32 v9, vcc, 0, v9, vcc
	v_cmp_le_i64_e32 vcc, s[8:9], v[8:9]
	s_or_b64 s[6:7], vcc, s[6:7]
	s_andn2_b64 exec, exec, s[6:7]
	s_cbranch_execz .LBB61_12
.LBB61_7:                               ; =>This Loop Header: Depth=1
                                        ;     Child Loop BB61_9 Depth 2
                                        ;       Child Loop BB61_10 Depth 3
	v_lshlrev_b64 v[0:1], 3, v[8:9]
	v_add_co_u32_e32 v2, vcc, s14, v0
	v_addc_co_u32_e32 v3, vcc, v24, v1, vcc
	global_load_dwordx2 v[2:3], v[2:3], off
	v_add_co_u32_e32 v10, vcc, s12, v0
	v_addc_co_u32_e32 v11, vcc, v23, v1, vcc
	global_load_dwordx2 v[12:13], v[10:11], off
	s_waitcnt vmcnt(1)
	v_subrev_co_u32_e32 v10, vcc, s2, v2
	v_subb_co_u32_e32 v11, vcc, v3, v25, vcc
	s_waitcnt vmcnt(0)
	v_add_co_u32_e32 v12, vcc, v12, v21
	v_addc_co_u32_e32 v13, vcc, v13, v22, vcc
	v_cmp_lt_i64_e32 vcc, v[12:13], v[10:11]
	s_and_saveexec_b64 s[10:11], vcc
	s_cbranch_execz .LBB61_6
; %bb.8:                                ;   in Loop: Header=BB61_7 Depth=1
	v_mov_b32_e32 v2, s21
	v_add_co_u32_e32 v0, vcc, s20, v0
	v_addc_co_u32_e32 v1, vcc, v2, v1, vcc
	global_load_dwordx2 v[0:1], v[0:1], off
	s_mov_b64 s[24:25], 0
	s_waitcnt vmcnt(0)
	v_mul_f64 v[14:15], v[4:5], v[0:1]
.LBB61_9:                               ;   Parent Loop BB61_7 Depth=1
                                        ; =>  This Loop Header: Depth=2
                                        ;       Child Loop BB61_10 Depth 3
	v_lshlrev_b64 v[0:1], 3, v[12:13]
	v_mov_b32_e32 v3, s17
	v_add_co_u32_e32 v2, vcc, s16, v0
	v_addc_co_u32_e32 v3, vcc, v3, v1, vcc
	global_load_dwordx2 v[2:3], v[2:3], off
	v_mov_b32_e32 v16, s19
	v_add_co_u32_e32 v0, vcc, s18, v0
	v_addc_co_u32_e32 v1, vcc, v16, v1, vcc
	v_mov_b32_e32 v17, s23
	global_load_dwordx2 v[0:1], v[0:1], off
	s_mov_b64 s[26:27], 0
	s_waitcnt vmcnt(1)
	v_subrev_co_u32_e32 v2, vcc, s2, v2
	v_subb_co_u32_e32 v3, vcc, v3, v25, vcc
	v_lshlrev_b64 v[2:3], 3, v[2:3]
	v_add_co_u32_e32 v16, vcc, s22, v2
	v_addc_co_u32_e32 v17, vcc, v17, v3, vcc
	global_load_dwordx2 v[2:3], v[16:17], off
	s_waitcnt vmcnt(1)
	v_mul_f64 v[18:19], v[14:15], v[0:1]
.LBB61_10:                              ;   Parent Loop BB61_7 Depth=1
                                        ;     Parent Loop BB61_9 Depth=2
                                        ; =>    This Inner Loop Header: Depth=3
	s_waitcnt vmcnt(0)
	v_add_f64 v[0:1], v[2:3], v[18:19]
	global_atomic_cmpswap_x2 v[0:1], v[16:17], v[0:3], off glc
	s_waitcnt vmcnt(0)
	v_cmp_eq_u64_e32 vcc, v[0:1], v[2:3]
	s_or_b64 s[26:27], vcc, s[26:27]
	v_pk_mov_b32 v[2:3], v[0:1], v[0:1] op_sel:[0,1]
	s_andn2_b64 exec, exec, s[26:27]
	s_cbranch_execnz .LBB61_10
; %bb.11:                               ;   in Loop: Header=BB61_9 Depth=2
	s_or_b64 exec, exec, s[26:27]
	v_add_co_u32_e32 v12, vcc, 4, v12
	v_addc_co_u32_e32 v13, vcc, 0, v13, vcc
	v_cmp_ge_i64_e32 vcc, v[12:13], v[10:11]
	s_or_b64 s[24:25], vcc, s[24:25]
	s_andn2_b64 exec, exec, s[24:25]
	s_cbranch_execnz .LBB61_9
	s_branch .LBB61_6
.LBB61_12:
	s_or_b64 exec, exec, s[4:5]
	s_mov_b64 s[4:5], 0
.LBB61_13:
	s_andn2_b64 vcc, exec, s[4:5]
	s_cbranch_vccnz .LBB61_23
; %bb.14:
	s_and_b64 exec, exec, s[0:1]
	s_cbranch_execz .LBB61_23
; %bb.15:
	v_subrev_co_u32_e32 v18, vcc, s2, v20
	s_mov_b32 s4, 0
	v_subb_co_u32_e64 v19, s[0:1], 0, 0, vcc
	s_mov_b64 s[0:1], 0
	v_mov_b32_e32 v20, s13
	v_mov_b32_e32 v21, s15
	;; [unrolled: 1-line block ×3, first 2 shown]
	s_branch .LBB61_17
.LBB61_16:                              ;   in Loop: Header=BB61_17 Depth=1
	s_or_b64 exec, exec, s[4:5]
	v_add_co_u32_e32 v6, vcc, s3, v6
	v_addc_co_u32_e32 v7, vcc, 0, v7, vcc
	v_cmp_le_i64_e32 vcc, s[8:9], v[6:7]
	s_or_b64 s[0:1], vcc, s[0:1]
	s_andn2_b64 exec, exec, s[0:1]
	s_cbranch_execz .LBB61_23
.LBB61_17:                              ; =>This Loop Header: Depth=1
                                        ;     Child Loop BB61_20 Depth 2
                                        ;       Child Loop BB61_22 Depth 3
	v_lshlrev_b64 v[0:1], 3, v[6:7]
	v_add_co_u32_e32 v2, vcc, s14, v0
	v_addc_co_u32_e32 v3, vcc, v21, v1, vcc
	global_load_dwordx2 v[2:3], v[2:3], off
	v_add_co_u32_e32 v8, vcc, s12, v0
	v_addc_co_u32_e32 v9, vcc, v20, v1, vcc
	global_load_dwordx2 v[10:11], v[8:9], off
	s_waitcnt vmcnt(1)
	v_subrev_co_u32_e32 v8, vcc, s2, v2
	v_subb_co_u32_e32 v9, vcc, v3, v22, vcc
	s_waitcnt vmcnt(0)
	v_add_co_u32_e32 v10, vcc, v10, v18
	v_addc_co_u32_e32 v11, vcc, v11, v19, vcc
	v_cmp_lt_i64_e32 vcc, v[10:11], v[8:9]
	s_and_saveexec_b64 s[4:5], vcc
	s_cbranch_execz .LBB61_16
; %bb.18:                               ;   in Loop: Header=BB61_17 Depth=1
	v_mov_b32_e32 v2, s21
	v_add_co_u32_e32 v0, vcc, s20, v0
	v_addc_co_u32_e32 v1, vcc, v2, v1, vcc
	global_load_dwordx2 v[0:1], v[0:1], off
	s_mov_b64 s[6:7], 0
	s_waitcnt vmcnt(0)
	v_mul_f64 v[12:13], v[4:5], v[0:1]
	s_branch .LBB61_20
.LBB61_19:                              ;   in Loop: Header=BB61_20 Depth=2
	s_or_b64 exec, exec, s[10:11]
	v_add_co_u32_e32 v10, vcc, 4, v10
	v_addc_co_u32_e32 v11, vcc, 0, v11, vcc
	v_cmp_ge_i64_e32 vcc, v[10:11], v[8:9]
	s_or_b64 s[6:7], vcc, s[6:7]
	s_andn2_b64 exec, exec, s[6:7]
	s_cbranch_execz .LBB61_16
.LBB61_20:                              ;   Parent Loop BB61_17 Depth=1
                                        ; =>  This Loop Header: Depth=2
                                        ;       Child Loop BB61_22 Depth 3
	v_lshlrev_b64 v[0:1], 3, v[10:11]
	v_mov_b32_e32 v3, s17
	v_add_co_u32_e32 v2, vcc, s16, v0
	v_addc_co_u32_e32 v3, vcc, v3, v1, vcc
	global_load_dwordx2 v[2:3], v[2:3], off
	s_waitcnt vmcnt(0)
	v_subrev_co_u32_e32 v2, vcc, s2, v2
	v_subb_co_u32_e32 v3, vcc, v3, v22, vcc
	v_cmp_ne_u64_e32 vcc, v[2:3], v[6:7]
	s_and_saveexec_b64 s[10:11], vcc
	s_cbranch_execz .LBB61_19
; %bb.21:                               ;   in Loop: Header=BB61_20 Depth=2
	v_mov_b32_e32 v14, s19
	v_add_co_u32_e32 v0, vcc, s18, v0
	v_addc_co_u32_e32 v1, vcc, v14, v1, vcc
	v_lshlrev_b64 v[2:3], 3, v[2:3]
	v_mov_b32_e32 v15, s23
	v_add_co_u32_e32 v14, vcc, s22, v2
	global_load_dwordx2 v[0:1], v[0:1], off
	v_addc_co_u32_e32 v15, vcc, v15, v3, vcc
	global_load_dwordx2 v[2:3], v[14:15], off
	s_mov_b64 s[24:25], 0
	s_waitcnt vmcnt(1)
	v_mul_f64 v[16:17], v[12:13], v[0:1]
.LBB61_22:                              ;   Parent Loop BB61_17 Depth=1
                                        ;     Parent Loop BB61_20 Depth=2
                                        ; =>    This Inner Loop Header: Depth=3
	s_waitcnt vmcnt(0)
	v_add_f64 v[0:1], v[2:3], v[16:17]
	global_atomic_cmpswap_x2 v[0:1], v[14:15], v[0:3], off glc
	s_waitcnt vmcnt(0)
	v_cmp_eq_u64_e32 vcc, v[0:1], v[2:3]
	s_or_b64 s[24:25], vcc, s[24:25]
	v_pk_mov_b32 v[2:3], v[0:1], v[0:1] op_sel:[0,1]
	s_andn2_b64 exec, exec, s[24:25]
	s_cbranch_execnz .LBB61_22
	s_branch .LBB61_19
.LBB61_23:
	s_endpgm
	.section	.rodata,"a",@progbits
	.p2align	6, 0x0
	.amdhsa_kernel _ZN9rocsparseL21csrmvt_general_kernelILj256ELj4EllddddEEvbbT2_NS_24const_host_device_scalarIT6_EEPKT1_S7_PKS1_PKT3_PKT4_PT5_21rocsparse_index_base_b
		.amdhsa_group_segment_fixed_size 0
		.amdhsa_private_segment_fixed_size 0
		.amdhsa_kernarg_size 336
		.amdhsa_user_sgpr_count 6
		.amdhsa_user_sgpr_private_segment_buffer 1
		.amdhsa_user_sgpr_dispatch_ptr 0
		.amdhsa_user_sgpr_queue_ptr 0
		.amdhsa_user_sgpr_kernarg_segment_ptr 1
		.amdhsa_user_sgpr_dispatch_id 0
		.amdhsa_user_sgpr_flat_scratch_init 0
		.amdhsa_user_sgpr_kernarg_preload_length 0
		.amdhsa_user_sgpr_kernarg_preload_offset 0
		.amdhsa_user_sgpr_private_segment_size 0
		.amdhsa_uses_dynamic_stack 0
		.amdhsa_system_sgpr_private_segment_wavefront_offset 0
		.amdhsa_system_sgpr_workgroup_id_x 1
		.amdhsa_system_sgpr_workgroup_id_y 0
		.amdhsa_system_sgpr_workgroup_id_z 0
		.amdhsa_system_sgpr_workgroup_info 0
		.amdhsa_system_vgpr_workitem_id 0
		.amdhsa_next_free_vgpr 26
		.amdhsa_next_free_sgpr 28
		.amdhsa_accum_offset 28
		.amdhsa_reserve_vcc 1
		.amdhsa_reserve_flat_scratch 0
		.amdhsa_float_round_mode_32 0
		.amdhsa_float_round_mode_16_64 0
		.amdhsa_float_denorm_mode_32 3
		.amdhsa_float_denorm_mode_16_64 3
		.amdhsa_dx10_clamp 1
		.amdhsa_ieee_mode 1
		.amdhsa_fp16_overflow 0
		.amdhsa_tg_split 0
		.amdhsa_exception_fp_ieee_invalid_op 0
		.amdhsa_exception_fp_denorm_src 0
		.amdhsa_exception_fp_ieee_div_zero 0
		.amdhsa_exception_fp_ieee_overflow 0
		.amdhsa_exception_fp_ieee_underflow 0
		.amdhsa_exception_fp_ieee_inexact 0
		.amdhsa_exception_int_div_zero 0
	.end_amdhsa_kernel
	.section	.text._ZN9rocsparseL21csrmvt_general_kernelILj256ELj4EllddddEEvbbT2_NS_24const_host_device_scalarIT6_EEPKT1_S7_PKS1_PKT3_PKT4_PT5_21rocsparse_index_base_b,"axG",@progbits,_ZN9rocsparseL21csrmvt_general_kernelILj256ELj4EllddddEEvbbT2_NS_24const_host_device_scalarIT6_EEPKT1_S7_PKS1_PKT3_PKT4_PT5_21rocsparse_index_base_b,comdat
.Lfunc_end61:
	.size	_ZN9rocsparseL21csrmvt_general_kernelILj256ELj4EllddddEEvbbT2_NS_24const_host_device_scalarIT6_EEPKT1_S7_PKS1_PKT3_PKT4_PT5_21rocsparse_index_base_b, .Lfunc_end61-_ZN9rocsparseL21csrmvt_general_kernelILj256ELj4EllddddEEvbbT2_NS_24const_host_device_scalarIT6_EEPKT1_S7_PKS1_PKT3_PKT4_PT5_21rocsparse_index_base_b
                                        ; -- End function
	.section	.AMDGPU.csdata,"",@progbits
; Kernel info:
; codeLenInByte = 932
; NumSgprs: 32
; NumVgprs: 26
; NumAgprs: 0
; TotalNumVgprs: 26
; ScratchSize: 0
; MemoryBound: 0
; FloatMode: 240
; IeeeMode: 1
; LDSByteSize: 0 bytes/workgroup (compile time only)
; SGPRBlocks: 3
; VGPRBlocks: 3
; NumSGPRsForWavesPerEU: 32
; NumVGPRsForWavesPerEU: 26
; AccumOffset: 28
; Occupancy: 8
; WaveLimiterHint : 1
; COMPUTE_PGM_RSRC2:SCRATCH_EN: 0
; COMPUTE_PGM_RSRC2:USER_SGPR: 6
; COMPUTE_PGM_RSRC2:TRAP_HANDLER: 0
; COMPUTE_PGM_RSRC2:TGID_X_EN: 1
; COMPUTE_PGM_RSRC2:TGID_Y_EN: 0
; COMPUTE_PGM_RSRC2:TGID_Z_EN: 0
; COMPUTE_PGM_RSRC2:TIDIG_COMP_CNT: 0
; COMPUTE_PGM_RSRC3_GFX90A:ACCUM_OFFSET: 6
; COMPUTE_PGM_RSRC3_GFX90A:TG_SPLIT: 0
	.section	.text._ZN9rocsparseL21csrmvt_general_kernelILj256ELj8EllddddEEvbbT2_NS_24const_host_device_scalarIT6_EEPKT1_S7_PKS1_PKT3_PKT4_PT5_21rocsparse_index_base_b,"axG",@progbits,_ZN9rocsparseL21csrmvt_general_kernelILj256ELj8EllddddEEvbbT2_NS_24const_host_device_scalarIT6_EEPKT1_S7_PKS1_PKT3_PKT4_PT5_21rocsparse_index_base_b,comdat
	.globl	_ZN9rocsparseL21csrmvt_general_kernelILj256ELj8EllddddEEvbbT2_NS_24const_host_device_scalarIT6_EEPKT1_S7_PKS1_PKT3_PKT4_PT5_21rocsparse_index_base_b ; -- Begin function _ZN9rocsparseL21csrmvt_general_kernelILj256ELj8EllddddEEvbbT2_NS_24const_host_device_scalarIT6_EEPKT1_S7_PKS1_PKT3_PKT4_PT5_21rocsparse_index_base_b
	.p2align	8
	.type	_ZN9rocsparseL21csrmvt_general_kernelILj256ELj8EllddddEEvbbT2_NS_24const_host_device_scalarIT6_EEPKT1_S7_PKS1_PKT3_PKT4_PT5_21rocsparse_index_base_b,@function
_ZN9rocsparseL21csrmvt_general_kernelILj256ELj8EllddddEEvbbT2_NS_24const_host_device_scalarIT6_EEPKT1_S7_PKS1_PKT3_PKT4_PT5_21rocsparse_index_base_b: ; @_ZN9rocsparseL21csrmvt_general_kernelILj256ELj8EllddddEEvbbT2_NS_24const_host_device_scalarIT6_EEPKT1_S7_PKS1_PKT3_PKT4_PT5_21rocsparse_index_base_b
; %bb.0:
	s_load_dwordx2 s[2:3], s[4:5], 0x48
	s_load_dwordx8 s[8:15], s[4:5], 0x8
	s_waitcnt lgkmcnt(0)
	s_bitcmp1_b32 s3, 0
	s_cselect_b64 s[0:1], -1, 0
	s_and_b64 vcc, exec, s[0:1]
	v_pk_mov_b32 v[4:5], s[10:11], s[10:11] op_sel:[0,1]
	s_cbranch_vccnz .LBB62_2
; %bb.1:
	v_pk_mov_b32 v[2:3], s[10:11], s[10:11] op_sel:[0,1]
	flat_load_dwordx2 v[4:5], v[2:3]
.LBB62_2:
	s_waitcnt vmcnt(0) lgkmcnt(0)
	v_cmp_neq_f64_e32 vcc, 0, v[4:5]
	s_and_saveexec_b64 s[0:1], vcc
	s_cbranch_execz .LBB62_23
; %bb.3:
	s_load_dword s0, s[4:5], 0x0
	s_load_dword s1, s[4:5], 0x50
	s_load_dwordx8 s[16:23], s[4:5], 0x28
	v_and_b32_e32 v20, 7, v0
	v_lshl_or_b32 v0, s6, 8, v0
	s_waitcnt lgkmcnt(0)
	s_and_b32 s0, s0, 1
	s_lshl_b32 s3, s1, 5
	v_lshrrev_b32_e32 v6, 3, v0
	v_mov_b32_e32 v7, 0
	s_cmp_eq_u32 s0, 0
	v_cmp_gt_i64_e64 s[0:1], s[8:9], v[6:7]
	s_mov_b64 s[4:5], -1
	s_cbranch_scc0 .LBB62_13
; %bb.4:
	s_and_saveexec_b64 s[4:5], s[0:1]
	s_cbranch_execz .LBB62_12
; %bb.5:
	v_subrev_co_u32_e32 v21, vcc, s2, v20
	s_mov_b32 s10, 0
	v_subb_co_u32_e64 v22, s[6:7], 0, 0, vcc
	s_mov_b64 s[6:7], 0
	v_mov_b32_e32 v23, s13
	v_mov_b32_e32 v24, s15
	;; [unrolled: 1-line block ×3, first 2 shown]
	v_pk_mov_b32 v[8:9], v[6:7], v[6:7] op_sel:[0,1]
	s_branch .LBB62_7
.LBB62_6:                               ;   in Loop: Header=BB62_7 Depth=1
	s_or_b64 exec, exec, s[10:11]
	v_add_co_u32_e32 v8, vcc, s3, v8
	v_addc_co_u32_e32 v9, vcc, 0, v9, vcc
	v_cmp_le_i64_e32 vcc, s[8:9], v[8:9]
	s_or_b64 s[6:7], vcc, s[6:7]
	s_andn2_b64 exec, exec, s[6:7]
	s_cbranch_execz .LBB62_12
.LBB62_7:                               ; =>This Loop Header: Depth=1
                                        ;     Child Loop BB62_9 Depth 2
                                        ;       Child Loop BB62_10 Depth 3
	v_lshlrev_b64 v[0:1], 3, v[8:9]
	v_add_co_u32_e32 v2, vcc, s14, v0
	v_addc_co_u32_e32 v3, vcc, v24, v1, vcc
	global_load_dwordx2 v[2:3], v[2:3], off
	v_add_co_u32_e32 v10, vcc, s12, v0
	v_addc_co_u32_e32 v11, vcc, v23, v1, vcc
	global_load_dwordx2 v[12:13], v[10:11], off
	s_waitcnt vmcnt(1)
	v_subrev_co_u32_e32 v10, vcc, s2, v2
	v_subb_co_u32_e32 v11, vcc, v3, v25, vcc
	s_waitcnt vmcnt(0)
	v_add_co_u32_e32 v12, vcc, v12, v21
	v_addc_co_u32_e32 v13, vcc, v13, v22, vcc
	v_cmp_lt_i64_e32 vcc, v[12:13], v[10:11]
	s_and_saveexec_b64 s[10:11], vcc
	s_cbranch_execz .LBB62_6
; %bb.8:                                ;   in Loop: Header=BB62_7 Depth=1
	v_mov_b32_e32 v2, s21
	v_add_co_u32_e32 v0, vcc, s20, v0
	v_addc_co_u32_e32 v1, vcc, v2, v1, vcc
	global_load_dwordx2 v[0:1], v[0:1], off
	s_mov_b64 s[24:25], 0
	s_waitcnt vmcnt(0)
	v_mul_f64 v[14:15], v[4:5], v[0:1]
.LBB62_9:                               ;   Parent Loop BB62_7 Depth=1
                                        ; =>  This Loop Header: Depth=2
                                        ;       Child Loop BB62_10 Depth 3
	v_lshlrev_b64 v[0:1], 3, v[12:13]
	v_mov_b32_e32 v3, s17
	v_add_co_u32_e32 v2, vcc, s16, v0
	v_addc_co_u32_e32 v3, vcc, v3, v1, vcc
	global_load_dwordx2 v[2:3], v[2:3], off
	v_mov_b32_e32 v16, s19
	v_add_co_u32_e32 v0, vcc, s18, v0
	v_addc_co_u32_e32 v1, vcc, v16, v1, vcc
	v_mov_b32_e32 v17, s23
	global_load_dwordx2 v[0:1], v[0:1], off
	s_mov_b64 s[26:27], 0
	s_waitcnt vmcnt(1)
	v_subrev_co_u32_e32 v2, vcc, s2, v2
	v_subb_co_u32_e32 v3, vcc, v3, v25, vcc
	v_lshlrev_b64 v[2:3], 3, v[2:3]
	v_add_co_u32_e32 v16, vcc, s22, v2
	v_addc_co_u32_e32 v17, vcc, v17, v3, vcc
	global_load_dwordx2 v[2:3], v[16:17], off
	s_waitcnt vmcnt(1)
	v_mul_f64 v[18:19], v[14:15], v[0:1]
.LBB62_10:                              ;   Parent Loop BB62_7 Depth=1
                                        ;     Parent Loop BB62_9 Depth=2
                                        ; =>    This Inner Loop Header: Depth=3
	s_waitcnt vmcnt(0)
	v_add_f64 v[0:1], v[2:3], v[18:19]
	global_atomic_cmpswap_x2 v[0:1], v[16:17], v[0:3], off glc
	s_waitcnt vmcnt(0)
	v_cmp_eq_u64_e32 vcc, v[0:1], v[2:3]
	s_or_b64 s[26:27], vcc, s[26:27]
	v_pk_mov_b32 v[2:3], v[0:1], v[0:1] op_sel:[0,1]
	s_andn2_b64 exec, exec, s[26:27]
	s_cbranch_execnz .LBB62_10
; %bb.11:                               ;   in Loop: Header=BB62_9 Depth=2
	s_or_b64 exec, exec, s[26:27]
	v_add_co_u32_e32 v12, vcc, 8, v12
	v_addc_co_u32_e32 v13, vcc, 0, v13, vcc
	v_cmp_ge_i64_e32 vcc, v[12:13], v[10:11]
	s_or_b64 s[24:25], vcc, s[24:25]
	s_andn2_b64 exec, exec, s[24:25]
	s_cbranch_execnz .LBB62_9
	s_branch .LBB62_6
.LBB62_12:
	s_or_b64 exec, exec, s[4:5]
	s_mov_b64 s[4:5], 0
.LBB62_13:
	s_andn2_b64 vcc, exec, s[4:5]
	s_cbranch_vccnz .LBB62_23
; %bb.14:
	s_and_b64 exec, exec, s[0:1]
	s_cbranch_execz .LBB62_23
; %bb.15:
	v_subrev_co_u32_e32 v18, vcc, s2, v20
	s_mov_b32 s4, 0
	v_subb_co_u32_e64 v19, s[0:1], 0, 0, vcc
	s_mov_b64 s[0:1], 0
	v_mov_b32_e32 v20, s13
	v_mov_b32_e32 v21, s15
	;; [unrolled: 1-line block ×3, first 2 shown]
	s_branch .LBB62_17
.LBB62_16:                              ;   in Loop: Header=BB62_17 Depth=1
	s_or_b64 exec, exec, s[4:5]
	v_add_co_u32_e32 v6, vcc, s3, v6
	v_addc_co_u32_e32 v7, vcc, 0, v7, vcc
	v_cmp_le_i64_e32 vcc, s[8:9], v[6:7]
	s_or_b64 s[0:1], vcc, s[0:1]
	s_andn2_b64 exec, exec, s[0:1]
	s_cbranch_execz .LBB62_23
.LBB62_17:                              ; =>This Loop Header: Depth=1
                                        ;     Child Loop BB62_20 Depth 2
                                        ;       Child Loop BB62_22 Depth 3
	v_lshlrev_b64 v[0:1], 3, v[6:7]
	v_add_co_u32_e32 v2, vcc, s14, v0
	v_addc_co_u32_e32 v3, vcc, v21, v1, vcc
	global_load_dwordx2 v[2:3], v[2:3], off
	v_add_co_u32_e32 v8, vcc, s12, v0
	v_addc_co_u32_e32 v9, vcc, v20, v1, vcc
	global_load_dwordx2 v[10:11], v[8:9], off
	s_waitcnt vmcnt(1)
	v_subrev_co_u32_e32 v8, vcc, s2, v2
	v_subb_co_u32_e32 v9, vcc, v3, v22, vcc
	s_waitcnt vmcnt(0)
	v_add_co_u32_e32 v10, vcc, v10, v18
	v_addc_co_u32_e32 v11, vcc, v11, v19, vcc
	v_cmp_lt_i64_e32 vcc, v[10:11], v[8:9]
	s_and_saveexec_b64 s[4:5], vcc
	s_cbranch_execz .LBB62_16
; %bb.18:                               ;   in Loop: Header=BB62_17 Depth=1
	v_mov_b32_e32 v2, s21
	v_add_co_u32_e32 v0, vcc, s20, v0
	v_addc_co_u32_e32 v1, vcc, v2, v1, vcc
	global_load_dwordx2 v[0:1], v[0:1], off
	s_mov_b64 s[6:7], 0
	s_waitcnt vmcnt(0)
	v_mul_f64 v[12:13], v[4:5], v[0:1]
	s_branch .LBB62_20
.LBB62_19:                              ;   in Loop: Header=BB62_20 Depth=2
	s_or_b64 exec, exec, s[10:11]
	v_add_co_u32_e32 v10, vcc, 8, v10
	v_addc_co_u32_e32 v11, vcc, 0, v11, vcc
	v_cmp_ge_i64_e32 vcc, v[10:11], v[8:9]
	s_or_b64 s[6:7], vcc, s[6:7]
	s_andn2_b64 exec, exec, s[6:7]
	s_cbranch_execz .LBB62_16
.LBB62_20:                              ;   Parent Loop BB62_17 Depth=1
                                        ; =>  This Loop Header: Depth=2
                                        ;       Child Loop BB62_22 Depth 3
	v_lshlrev_b64 v[0:1], 3, v[10:11]
	v_mov_b32_e32 v3, s17
	v_add_co_u32_e32 v2, vcc, s16, v0
	v_addc_co_u32_e32 v3, vcc, v3, v1, vcc
	global_load_dwordx2 v[2:3], v[2:3], off
	s_waitcnt vmcnt(0)
	v_subrev_co_u32_e32 v2, vcc, s2, v2
	v_subb_co_u32_e32 v3, vcc, v3, v22, vcc
	v_cmp_ne_u64_e32 vcc, v[2:3], v[6:7]
	s_and_saveexec_b64 s[10:11], vcc
	s_cbranch_execz .LBB62_19
; %bb.21:                               ;   in Loop: Header=BB62_20 Depth=2
	v_mov_b32_e32 v14, s19
	v_add_co_u32_e32 v0, vcc, s18, v0
	v_addc_co_u32_e32 v1, vcc, v14, v1, vcc
	v_lshlrev_b64 v[2:3], 3, v[2:3]
	v_mov_b32_e32 v15, s23
	v_add_co_u32_e32 v14, vcc, s22, v2
	global_load_dwordx2 v[0:1], v[0:1], off
	v_addc_co_u32_e32 v15, vcc, v15, v3, vcc
	global_load_dwordx2 v[2:3], v[14:15], off
	s_mov_b64 s[24:25], 0
	s_waitcnt vmcnt(1)
	v_mul_f64 v[16:17], v[12:13], v[0:1]
.LBB62_22:                              ;   Parent Loop BB62_17 Depth=1
                                        ;     Parent Loop BB62_20 Depth=2
                                        ; =>    This Inner Loop Header: Depth=3
	s_waitcnt vmcnt(0)
	v_add_f64 v[0:1], v[2:3], v[16:17]
	global_atomic_cmpswap_x2 v[0:1], v[14:15], v[0:3], off glc
	s_waitcnt vmcnt(0)
	v_cmp_eq_u64_e32 vcc, v[0:1], v[2:3]
	s_or_b64 s[24:25], vcc, s[24:25]
	v_pk_mov_b32 v[2:3], v[0:1], v[0:1] op_sel:[0,1]
	s_andn2_b64 exec, exec, s[24:25]
	s_cbranch_execnz .LBB62_22
	s_branch .LBB62_19
.LBB62_23:
	s_endpgm
	.section	.rodata,"a",@progbits
	.p2align	6, 0x0
	.amdhsa_kernel _ZN9rocsparseL21csrmvt_general_kernelILj256ELj8EllddddEEvbbT2_NS_24const_host_device_scalarIT6_EEPKT1_S7_PKS1_PKT3_PKT4_PT5_21rocsparse_index_base_b
		.amdhsa_group_segment_fixed_size 0
		.amdhsa_private_segment_fixed_size 0
		.amdhsa_kernarg_size 336
		.amdhsa_user_sgpr_count 6
		.amdhsa_user_sgpr_private_segment_buffer 1
		.amdhsa_user_sgpr_dispatch_ptr 0
		.amdhsa_user_sgpr_queue_ptr 0
		.amdhsa_user_sgpr_kernarg_segment_ptr 1
		.amdhsa_user_sgpr_dispatch_id 0
		.amdhsa_user_sgpr_flat_scratch_init 0
		.amdhsa_user_sgpr_kernarg_preload_length 0
		.amdhsa_user_sgpr_kernarg_preload_offset 0
		.amdhsa_user_sgpr_private_segment_size 0
		.amdhsa_uses_dynamic_stack 0
		.amdhsa_system_sgpr_private_segment_wavefront_offset 0
		.amdhsa_system_sgpr_workgroup_id_x 1
		.amdhsa_system_sgpr_workgroup_id_y 0
		.amdhsa_system_sgpr_workgroup_id_z 0
		.amdhsa_system_sgpr_workgroup_info 0
		.amdhsa_system_vgpr_workitem_id 0
		.amdhsa_next_free_vgpr 26
		.amdhsa_next_free_sgpr 28
		.amdhsa_accum_offset 28
		.amdhsa_reserve_vcc 1
		.amdhsa_reserve_flat_scratch 0
		.amdhsa_float_round_mode_32 0
		.amdhsa_float_round_mode_16_64 0
		.amdhsa_float_denorm_mode_32 3
		.amdhsa_float_denorm_mode_16_64 3
		.amdhsa_dx10_clamp 1
		.amdhsa_ieee_mode 1
		.amdhsa_fp16_overflow 0
		.amdhsa_tg_split 0
		.amdhsa_exception_fp_ieee_invalid_op 0
		.amdhsa_exception_fp_denorm_src 0
		.amdhsa_exception_fp_ieee_div_zero 0
		.amdhsa_exception_fp_ieee_overflow 0
		.amdhsa_exception_fp_ieee_underflow 0
		.amdhsa_exception_fp_ieee_inexact 0
		.amdhsa_exception_int_div_zero 0
	.end_amdhsa_kernel
	.section	.text._ZN9rocsparseL21csrmvt_general_kernelILj256ELj8EllddddEEvbbT2_NS_24const_host_device_scalarIT6_EEPKT1_S7_PKS1_PKT3_PKT4_PT5_21rocsparse_index_base_b,"axG",@progbits,_ZN9rocsparseL21csrmvt_general_kernelILj256ELj8EllddddEEvbbT2_NS_24const_host_device_scalarIT6_EEPKT1_S7_PKS1_PKT3_PKT4_PT5_21rocsparse_index_base_b,comdat
.Lfunc_end62:
	.size	_ZN9rocsparseL21csrmvt_general_kernelILj256ELj8EllddddEEvbbT2_NS_24const_host_device_scalarIT6_EEPKT1_S7_PKS1_PKT3_PKT4_PT5_21rocsparse_index_base_b, .Lfunc_end62-_ZN9rocsparseL21csrmvt_general_kernelILj256ELj8EllddddEEvbbT2_NS_24const_host_device_scalarIT6_EEPKT1_S7_PKS1_PKT3_PKT4_PT5_21rocsparse_index_base_b
                                        ; -- End function
	.section	.AMDGPU.csdata,"",@progbits
; Kernel info:
; codeLenInByte = 932
; NumSgprs: 32
; NumVgprs: 26
; NumAgprs: 0
; TotalNumVgprs: 26
; ScratchSize: 0
; MemoryBound: 0
; FloatMode: 240
; IeeeMode: 1
; LDSByteSize: 0 bytes/workgroup (compile time only)
; SGPRBlocks: 3
; VGPRBlocks: 3
; NumSGPRsForWavesPerEU: 32
; NumVGPRsForWavesPerEU: 26
; AccumOffset: 28
; Occupancy: 8
; WaveLimiterHint : 1
; COMPUTE_PGM_RSRC2:SCRATCH_EN: 0
; COMPUTE_PGM_RSRC2:USER_SGPR: 6
; COMPUTE_PGM_RSRC2:TRAP_HANDLER: 0
; COMPUTE_PGM_RSRC2:TGID_X_EN: 1
; COMPUTE_PGM_RSRC2:TGID_Y_EN: 0
; COMPUTE_PGM_RSRC2:TGID_Z_EN: 0
; COMPUTE_PGM_RSRC2:TIDIG_COMP_CNT: 0
; COMPUTE_PGM_RSRC3_GFX90A:ACCUM_OFFSET: 6
; COMPUTE_PGM_RSRC3_GFX90A:TG_SPLIT: 0
	.section	.text._ZN9rocsparseL21csrmvt_general_kernelILj256ELj16EllddddEEvbbT2_NS_24const_host_device_scalarIT6_EEPKT1_S7_PKS1_PKT3_PKT4_PT5_21rocsparse_index_base_b,"axG",@progbits,_ZN9rocsparseL21csrmvt_general_kernelILj256ELj16EllddddEEvbbT2_NS_24const_host_device_scalarIT6_EEPKT1_S7_PKS1_PKT3_PKT4_PT5_21rocsparse_index_base_b,comdat
	.globl	_ZN9rocsparseL21csrmvt_general_kernelILj256ELj16EllddddEEvbbT2_NS_24const_host_device_scalarIT6_EEPKT1_S7_PKS1_PKT3_PKT4_PT5_21rocsparse_index_base_b ; -- Begin function _ZN9rocsparseL21csrmvt_general_kernelILj256ELj16EllddddEEvbbT2_NS_24const_host_device_scalarIT6_EEPKT1_S7_PKS1_PKT3_PKT4_PT5_21rocsparse_index_base_b
	.p2align	8
	.type	_ZN9rocsparseL21csrmvt_general_kernelILj256ELj16EllddddEEvbbT2_NS_24const_host_device_scalarIT6_EEPKT1_S7_PKS1_PKT3_PKT4_PT5_21rocsparse_index_base_b,@function
_ZN9rocsparseL21csrmvt_general_kernelILj256ELj16EllddddEEvbbT2_NS_24const_host_device_scalarIT6_EEPKT1_S7_PKS1_PKT3_PKT4_PT5_21rocsparse_index_base_b: ; @_ZN9rocsparseL21csrmvt_general_kernelILj256ELj16EllddddEEvbbT2_NS_24const_host_device_scalarIT6_EEPKT1_S7_PKS1_PKT3_PKT4_PT5_21rocsparse_index_base_b
; %bb.0:
	s_load_dwordx2 s[2:3], s[4:5], 0x48
	s_load_dwordx8 s[8:15], s[4:5], 0x8
	s_waitcnt lgkmcnt(0)
	s_bitcmp1_b32 s3, 0
	s_cselect_b64 s[0:1], -1, 0
	s_and_b64 vcc, exec, s[0:1]
	v_pk_mov_b32 v[4:5], s[10:11], s[10:11] op_sel:[0,1]
	s_cbranch_vccnz .LBB63_2
; %bb.1:
	v_pk_mov_b32 v[2:3], s[10:11], s[10:11] op_sel:[0,1]
	flat_load_dwordx2 v[4:5], v[2:3]
.LBB63_2:
	s_waitcnt vmcnt(0) lgkmcnt(0)
	v_cmp_neq_f64_e32 vcc, 0, v[4:5]
	s_and_saveexec_b64 s[0:1], vcc
	s_cbranch_execz .LBB63_23
; %bb.3:
	s_load_dword s0, s[4:5], 0x0
	s_load_dword s1, s[4:5], 0x50
	s_load_dwordx8 s[16:23], s[4:5], 0x28
	v_and_b32_e32 v20, 15, v0
	v_lshl_or_b32 v0, s6, 8, v0
	s_waitcnt lgkmcnt(0)
	s_and_b32 s0, s0, 1
	s_lshl_b32 s3, s1, 4
	v_lshrrev_b32_e32 v6, 4, v0
	v_mov_b32_e32 v7, 0
	s_cmp_eq_u32 s0, 0
	v_cmp_gt_i64_e64 s[0:1], s[8:9], v[6:7]
	s_mov_b64 s[4:5], -1
	s_cbranch_scc0 .LBB63_13
; %bb.4:
	s_and_saveexec_b64 s[4:5], s[0:1]
	s_cbranch_execz .LBB63_12
; %bb.5:
	v_subrev_co_u32_e32 v21, vcc, s2, v20
	s_mov_b32 s10, 0
	v_subb_co_u32_e64 v22, s[6:7], 0, 0, vcc
	s_mov_b64 s[6:7], 0
	v_mov_b32_e32 v23, s13
	v_mov_b32_e32 v24, s15
	;; [unrolled: 1-line block ×3, first 2 shown]
	v_pk_mov_b32 v[8:9], v[6:7], v[6:7] op_sel:[0,1]
	s_branch .LBB63_7
.LBB63_6:                               ;   in Loop: Header=BB63_7 Depth=1
	s_or_b64 exec, exec, s[10:11]
	v_add_co_u32_e32 v8, vcc, s3, v8
	v_addc_co_u32_e32 v9, vcc, 0, v9, vcc
	v_cmp_le_i64_e32 vcc, s[8:9], v[8:9]
	s_or_b64 s[6:7], vcc, s[6:7]
	s_andn2_b64 exec, exec, s[6:7]
	s_cbranch_execz .LBB63_12
.LBB63_7:                               ; =>This Loop Header: Depth=1
                                        ;     Child Loop BB63_9 Depth 2
                                        ;       Child Loop BB63_10 Depth 3
	v_lshlrev_b64 v[0:1], 3, v[8:9]
	v_add_co_u32_e32 v2, vcc, s14, v0
	v_addc_co_u32_e32 v3, vcc, v24, v1, vcc
	global_load_dwordx2 v[2:3], v[2:3], off
	v_add_co_u32_e32 v10, vcc, s12, v0
	v_addc_co_u32_e32 v11, vcc, v23, v1, vcc
	global_load_dwordx2 v[12:13], v[10:11], off
	s_waitcnt vmcnt(1)
	v_subrev_co_u32_e32 v10, vcc, s2, v2
	v_subb_co_u32_e32 v11, vcc, v3, v25, vcc
	s_waitcnt vmcnt(0)
	v_add_co_u32_e32 v12, vcc, v12, v21
	v_addc_co_u32_e32 v13, vcc, v13, v22, vcc
	v_cmp_lt_i64_e32 vcc, v[12:13], v[10:11]
	s_and_saveexec_b64 s[10:11], vcc
	s_cbranch_execz .LBB63_6
; %bb.8:                                ;   in Loop: Header=BB63_7 Depth=1
	v_mov_b32_e32 v2, s21
	v_add_co_u32_e32 v0, vcc, s20, v0
	v_addc_co_u32_e32 v1, vcc, v2, v1, vcc
	global_load_dwordx2 v[0:1], v[0:1], off
	s_mov_b64 s[24:25], 0
	s_waitcnt vmcnt(0)
	v_mul_f64 v[14:15], v[4:5], v[0:1]
.LBB63_9:                               ;   Parent Loop BB63_7 Depth=1
                                        ; =>  This Loop Header: Depth=2
                                        ;       Child Loop BB63_10 Depth 3
	v_lshlrev_b64 v[0:1], 3, v[12:13]
	v_mov_b32_e32 v3, s17
	v_add_co_u32_e32 v2, vcc, s16, v0
	v_addc_co_u32_e32 v3, vcc, v3, v1, vcc
	global_load_dwordx2 v[2:3], v[2:3], off
	v_mov_b32_e32 v16, s19
	v_add_co_u32_e32 v0, vcc, s18, v0
	v_addc_co_u32_e32 v1, vcc, v16, v1, vcc
	v_mov_b32_e32 v17, s23
	global_load_dwordx2 v[0:1], v[0:1], off
	s_mov_b64 s[26:27], 0
	s_waitcnt vmcnt(1)
	v_subrev_co_u32_e32 v2, vcc, s2, v2
	v_subb_co_u32_e32 v3, vcc, v3, v25, vcc
	v_lshlrev_b64 v[2:3], 3, v[2:3]
	v_add_co_u32_e32 v16, vcc, s22, v2
	v_addc_co_u32_e32 v17, vcc, v17, v3, vcc
	global_load_dwordx2 v[2:3], v[16:17], off
	s_waitcnt vmcnt(1)
	v_mul_f64 v[18:19], v[14:15], v[0:1]
.LBB63_10:                              ;   Parent Loop BB63_7 Depth=1
                                        ;     Parent Loop BB63_9 Depth=2
                                        ; =>    This Inner Loop Header: Depth=3
	s_waitcnt vmcnt(0)
	v_add_f64 v[0:1], v[2:3], v[18:19]
	global_atomic_cmpswap_x2 v[0:1], v[16:17], v[0:3], off glc
	s_waitcnt vmcnt(0)
	v_cmp_eq_u64_e32 vcc, v[0:1], v[2:3]
	s_or_b64 s[26:27], vcc, s[26:27]
	v_pk_mov_b32 v[2:3], v[0:1], v[0:1] op_sel:[0,1]
	s_andn2_b64 exec, exec, s[26:27]
	s_cbranch_execnz .LBB63_10
; %bb.11:                               ;   in Loop: Header=BB63_9 Depth=2
	s_or_b64 exec, exec, s[26:27]
	v_add_co_u32_e32 v12, vcc, 16, v12
	v_addc_co_u32_e32 v13, vcc, 0, v13, vcc
	v_cmp_ge_i64_e32 vcc, v[12:13], v[10:11]
	s_or_b64 s[24:25], vcc, s[24:25]
	s_andn2_b64 exec, exec, s[24:25]
	s_cbranch_execnz .LBB63_9
	s_branch .LBB63_6
.LBB63_12:
	s_or_b64 exec, exec, s[4:5]
	s_mov_b64 s[4:5], 0
.LBB63_13:
	s_andn2_b64 vcc, exec, s[4:5]
	s_cbranch_vccnz .LBB63_23
; %bb.14:
	s_and_b64 exec, exec, s[0:1]
	s_cbranch_execz .LBB63_23
; %bb.15:
	v_subrev_co_u32_e32 v18, vcc, s2, v20
	s_mov_b32 s4, 0
	v_subb_co_u32_e64 v19, s[0:1], 0, 0, vcc
	s_mov_b64 s[0:1], 0
	v_mov_b32_e32 v20, s13
	v_mov_b32_e32 v21, s15
	;; [unrolled: 1-line block ×3, first 2 shown]
	s_branch .LBB63_17
.LBB63_16:                              ;   in Loop: Header=BB63_17 Depth=1
	s_or_b64 exec, exec, s[4:5]
	v_add_co_u32_e32 v6, vcc, s3, v6
	v_addc_co_u32_e32 v7, vcc, 0, v7, vcc
	v_cmp_le_i64_e32 vcc, s[8:9], v[6:7]
	s_or_b64 s[0:1], vcc, s[0:1]
	s_andn2_b64 exec, exec, s[0:1]
	s_cbranch_execz .LBB63_23
.LBB63_17:                              ; =>This Loop Header: Depth=1
                                        ;     Child Loop BB63_20 Depth 2
                                        ;       Child Loop BB63_22 Depth 3
	v_lshlrev_b64 v[0:1], 3, v[6:7]
	v_add_co_u32_e32 v2, vcc, s14, v0
	v_addc_co_u32_e32 v3, vcc, v21, v1, vcc
	global_load_dwordx2 v[2:3], v[2:3], off
	v_add_co_u32_e32 v8, vcc, s12, v0
	v_addc_co_u32_e32 v9, vcc, v20, v1, vcc
	global_load_dwordx2 v[10:11], v[8:9], off
	s_waitcnt vmcnt(1)
	v_subrev_co_u32_e32 v8, vcc, s2, v2
	v_subb_co_u32_e32 v9, vcc, v3, v22, vcc
	s_waitcnt vmcnt(0)
	v_add_co_u32_e32 v10, vcc, v10, v18
	v_addc_co_u32_e32 v11, vcc, v11, v19, vcc
	v_cmp_lt_i64_e32 vcc, v[10:11], v[8:9]
	s_and_saveexec_b64 s[4:5], vcc
	s_cbranch_execz .LBB63_16
; %bb.18:                               ;   in Loop: Header=BB63_17 Depth=1
	v_mov_b32_e32 v2, s21
	v_add_co_u32_e32 v0, vcc, s20, v0
	v_addc_co_u32_e32 v1, vcc, v2, v1, vcc
	global_load_dwordx2 v[0:1], v[0:1], off
	s_mov_b64 s[6:7], 0
	s_waitcnt vmcnt(0)
	v_mul_f64 v[12:13], v[4:5], v[0:1]
	s_branch .LBB63_20
.LBB63_19:                              ;   in Loop: Header=BB63_20 Depth=2
	s_or_b64 exec, exec, s[10:11]
	v_add_co_u32_e32 v10, vcc, 16, v10
	v_addc_co_u32_e32 v11, vcc, 0, v11, vcc
	v_cmp_ge_i64_e32 vcc, v[10:11], v[8:9]
	s_or_b64 s[6:7], vcc, s[6:7]
	s_andn2_b64 exec, exec, s[6:7]
	s_cbranch_execz .LBB63_16
.LBB63_20:                              ;   Parent Loop BB63_17 Depth=1
                                        ; =>  This Loop Header: Depth=2
                                        ;       Child Loop BB63_22 Depth 3
	v_lshlrev_b64 v[0:1], 3, v[10:11]
	v_mov_b32_e32 v3, s17
	v_add_co_u32_e32 v2, vcc, s16, v0
	v_addc_co_u32_e32 v3, vcc, v3, v1, vcc
	global_load_dwordx2 v[2:3], v[2:3], off
	s_waitcnt vmcnt(0)
	v_subrev_co_u32_e32 v2, vcc, s2, v2
	v_subb_co_u32_e32 v3, vcc, v3, v22, vcc
	v_cmp_ne_u64_e32 vcc, v[2:3], v[6:7]
	s_and_saveexec_b64 s[10:11], vcc
	s_cbranch_execz .LBB63_19
; %bb.21:                               ;   in Loop: Header=BB63_20 Depth=2
	v_mov_b32_e32 v14, s19
	v_add_co_u32_e32 v0, vcc, s18, v0
	v_addc_co_u32_e32 v1, vcc, v14, v1, vcc
	v_lshlrev_b64 v[2:3], 3, v[2:3]
	v_mov_b32_e32 v15, s23
	v_add_co_u32_e32 v14, vcc, s22, v2
	global_load_dwordx2 v[0:1], v[0:1], off
	v_addc_co_u32_e32 v15, vcc, v15, v3, vcc
	global_load_dwordx2 v[2:3], v[14:15], off
	s_mov_b64 s[24:25], 0
	s_waitcnt vmcnt(1)
	v_mul_f64 v[16:17], v[12:13], v[0:1]
.LBB63_22:                              ;   Parent Loop BB63_17 Depth=1
                                        ;     Parent Loop BB63_20 Depth=2
                                        ; =>    This Inner Loop Header: Depth=3
	s_waitcnt vmcnt(0)
	v_add_f64 v[0:1], v[2:3], v[16:17]
	global_atomic_cmpswap_x2 v[0:1], v[14:15], v[0:3], off glc
	s_waitcnt vmcnt(0)
	v_cmp_eq_u64_e32 vcc, v[0:1], v[2:3]
	s_or_b64 s[24:25], vcc, s[24:25]
	v_pk_mov_b32 v[2:3], v[0:1], v[0:1] op_sel:[0,1]
	s_andn2_b64 exec, exec, s[24:25]
	s_cbranch_execnz .LBB63_22
	s_branch .LBB63_19
.LBB63_23:
	s_endpgm
	.section	.rodata,"a",@progbits
	.p2align	6, 0x0
	.amdhsa_kernel _ZN9rocsparseL21csrmvt_general_kernelILj256ELj16EllddddEEvbbT2_NS_24const_host_device_scalarIT6_EEPKT1_S7_PKS1_PKT3_PKT4_PT5_21rocsparse_index_base_b
		.amdhsa_group_segment_fixed_size 0
		.amdhsa_private_segment_fixed_size 0
		.amdhsa_kernarg_size 336
		.amdhsa_user_sgpr_count 6
		.amdhsa_user_sgpr_private_segment_buffer 1
		.amdhsa_user_sgpr_dispatch_ptr 0
		.amdhsa_user_sgpr_queue_ptr 0
		.amdhsa_user_sgpr_kernarg_segment_ptr 1
		.amdhsa_user_sgpr_dispatch_id 0
		.amdhsa_user_sgpr_flat_scratch_init 0
		.amdhsa_user_sgpr_kernarg_preload_length 0
		.amdhsa_user_sgpr_kernarg_preload_offset 0
		.amdhsa_user_sgpr_private_segment_size 0
		.amdhsa_uses_dynamic_stack 0
		.amdhsa_system_sgpr_private_segment_wavefront_offset 0
		.amdhsa_system_sgpr_workgroup_id_x 1
		.amdhsa_system_sgpr_workgroup_id_y 0
		.amdhsa_system_sgpr_workgroup_id_z 0
		.amdhsa_system_sgpr_workgroup_info 0
		.amdhsa_system_vgpr_workitem_id 0
		.amdhsa_next_free_vgpr 26
		.amdhsa_next_free_sgpr 28
		.amdhsa_accum_offset 28
		.amdhsa_reserve_vcc 1
		.amdhsa_reserve_flat_scratch 0
		.amdhsa_float_round_mode_32 0
		.amdhsa_float_round_mode_16_64 0
		.amdhsa_float_denorm_mode_32 3
		.amdhsa_float_denorm_mode_16_64 3
		.amdhsa_dx10_clamp 1
		.amdhsa_ieee_mode 1
		.amdhsa_fp16_overflow 0
		.amdhsa_tg_split 0
		.amdhsa_exception_fp_ieee_invalid_op 0
		.amdhsa_exception_fp_denorm_src 0
		.amdhsa_exception_fp_ieee_div_zero 0
		.amdhsa_exception_fp_ieee_overflow 0
		.amdhsa_exception_fp_ieee_underflow 0
		.amdhsa_exception_fp_ieee_inexact 0
		.amdhsa_exception_int_div_zero 0
	.end_amdhsa_kernel
	.section	.text._ZN9rocsparseL21csrmvt_general_kernelILj256ELj16EllddddEEvbbT2_NS_24const_host_device_scalarIT6_EEPKT1_S7_PKS1_PKT3_PKT4_PT5_21rocsparse_index_base_b,"axG",@progbits,_ZN9rocsparseL21csrmvt_general_kernelILj256ELj16EllddddEEvbbT2_NS_24const_host_device_scalarIT6_EEPKT1_S7_PKS1_PKT3_PKT4_PT5_21rocsparse_index_base_b,comdat
.Lfunc_end63:
	.size	_ZN9rocsparseL21csrmvt_general_kernelILj256ELj16EllddddEEvbbT2_NS_24const_host_device_scalarIT6_EEPKT1_S7_PKS1_PKT3_PKT4_PT5_21rocsparse_index_base_b, .Lfunc_end63-_ZN9rocsparseL21csrmvt_general_kernelILj256ELj16EllddddEEvbbT2_NS_24const_host_device_scalarIT6_EEPKT1_S7_PKS1_PKT3_PKT4_PT5_21rocsparse_index_base_b
                                        ; -- End function
	.section	.AMDGPU.csdata,"",@progbits
; Kernel info:
; codeLenInByte = 932
; NumSgprs: 32
; NumVgprs: 26
; NumAgprs: 0
; TotalNumVgprs: 26
; ScratchSize: 0
; MemoryBound: 0
; FloatMode: 240
; IeeeMode: 1
; LDSByteSize: 0 bytes/workgroup (compile time only)
; SGPRBlocks: 3
; VGPRBlocks: 3
; NumSGPRsForWavesPerEU: 32
; NumVGPRsForWavesPerEU: 26
; AccumOffset: 28
; Occupancy: 8
; WaveLimiterHint : 1
; COMPUTE_PGM_RSRC2:SCRATCH_EN: 0
; COMPUTE_PGM_RSRC2:USER_SGPR: 6
; COMPUTE_PGM_RSRC2:TRAP_HANDLER: 0
; COMPUTE_PGM_RSRC2:TGID_X_EN: 1
; COMPUTE_PGM_RSRC2:TGID_Y_EN: 0
; COMPUTE_PGM_RSRC2:TGID_Z_EN: 0
; COMPUTE_PGM_RSRC2:TIDIG_COMP_CNT: 0
; COMPUTE_PGM_RSRC3_GFX90A:ACCUM_OFFSET: 6
; COMPUTE_PGM_RSRC3_GFX90A:TG_SPLIT: 0
	.section	.text._ZN9rocsparseL21csrmvt_general_kernelILj256ELj32EllddddEEvbbT2_NS_24const_host_device_scalarIT6_EEPKT1_S7_PKS1_PKT3_PKT4_PT5_21rocsparse_index_base_b,"axG",@progbits,_ZN9rocsparseL21csrmvt_general_kernelILj256ELj32EllddddEEvbbT2_NS_24const_host_device_scalarIT6_EEPKT1_S7_PKS1_PKT3_PKT4_PT5_21rocsparse_index_base_b,comdat
	.globl	_ZN9rocsparseL21csrmvt_general_kernelILj256ELj32EllddddEEvbbT2_NS_24const_host_device_scalarIT6_EEPKT1_S7_PKS1_PKT3_PKT4_PT5_21rocsparse_index_base_b ; -- Begin function _ZN9rocsparseL21csrmvt_general_kernelILj256ELj32EllddddEEvbbT2_NS_24const_host_device_scalarIT6_EEPKT1_S7_PKS1_PKT3_PKT4_PT5_21rocsparse_index_base_b
	.p2align	8
	.type	_ZN9rocsparseL21csrmvt_general_kernelILj256ELj32EllddddEEvbbT2_NS_24const_host_device_scalarIT6_EEPKT1_S7_PKS1_PKT3_PKT4_PT5_21rocsparse_index_base_b,@function
_ZN9rocsparseL21csrmvt_general_kernelILj256ELj32EllddddEEvbbT2_NS_24const_host_device_scalarIT6_EEPKT1_S7_PKS1_PKT3_PKT4_PT5_21rocsparse_index_base_b: ; @_ZN9rocsparseL21csrmvt_general_kernelILj256ELj32EllddddEEvbbT2_NS_24const_host_device_scalarIT6_EEPKT1_S7_PKS1_PKT3_PKT4_PT5_21rocsparse_index_base_b
; %bb.0:
	s_load_dwordx2 s[2:3], s[4:5], 0x48
	s_load_dwordx8 s[8:15], s[4:5], 0x8
	s_waitcnt lgkmcnt(0)
	s_bitcmp1_b32 s3, 0
	s_cselect_b64 s[0:1], -1, 0
	s_and_b64 vcc, exec, s[0:1]
	v_pk_mov_b32 v[4:5], s[10:11], s[10:11] op_sel:[0,1]
	s_cbranch_vccnz .LBB64_2
; %bb.1:
	v_pk_mov_b32 v[2:3], s[10:11], s[10:11] op_sel:[0,1]
	flat_load_dwordx2 v[4:5], v[2:3]
.LBB64_2:
	s_waitcnt vmcnt(0) lgkmcnt(0)
	v_cmp_neq_f64_e32 vcc, 0, v[4:5]
	s_and_saveexec_b64 s[0:1], vcc
	s_cbranch_execz .LBB64_23
; %bb.3:
	s_load_dword s0, s[4:5], 0x0
	s_load_dword s1, s[4:5], 0x50
	s_load_dwordx8 s[16:23], s[4:5], 0x28
	v_and_b32_e32 v20, 31, v0
	v_lshl_or_b32 v0, s6, 8, v0
	s_waitcnt lgkmcnt(0)
	s_and_b32 s0, s0, 1
	s_lshl_b32 s3, s1, 3
	v_lshrrev_b32_e32 v6, 5, v0
	v_mov_b32_e32 v7, 0
	s_cmp_eq_u32 s0, 0
	v_cmp_gt_i64_e64 s[0:1], s[8:9], v[6:7]
	s_mov_b64 s[4:5], -1
	s_cbranch_scc0 .LBB64_13
; %bb.4:
	s_and_saveexec_b64 s[4:5], s[0:1]
	s_cbranch_execz .LBB64_12
; %bb.5:
	v_subrev_co_u32_e32 v21, vcc, s2, v20
	s_mov_b32 s10, 0
	v_subb_co_u32_e64 v22, s[6:7], 0, 0, vcc
	s_mov_b64 s[6:7], 0
	v_mov_b32_e32 v23, s13
	v_mov_b32_e32 v24, s15
	;; [unrolled: 1-line block ×3, first 2 shown]
	v_pk_mov_b32 v[8:9], v[6:7], v[6:7] op_sel:[0,1]
	s_branch .LBB64_7
.LBB64_6:                               ;   in Loop: Header=BB64_7 Depth=1
	s_or_b64 exec, exec, s[10:11]
	v_add_co_u32_e32 v8, vcc, s3, v8
	v_addc_co_u32_e32 v9, vcc, 0, v9, vcc
	v_cmp_le_i64_e32 vcc, s[8:9], v[8:9]
	s_or_b64 s[6:7], vcc, s[6:7]
	s_andn2_b64 exec, exec, s[6:7]
	s_cbranch_execz .LBB64_12
.LBB64_7:                               ; =>This Loop Header: Depth=1
                                        ;     Child Loop BB64_9 Depth 2
                                        ;       Child Loop BB64_10 Depth 3
	v_lshlrev_b64 v[0:1], 3, v[8:9]
	v_add_co_u32_e32 v2, vcc, s14, v0
	v_addc_co_u32_e32 v3, vcc, v24, v1, vcc
	global_load_dwordx2 v[2:3], v[2:3], off
	v_add_co_u32_e32 v10, vcc, s12, v0
	v_addc_co_u32_e32 v11, vcc, v23, v1, vcc
	global_load_dwordx2 v[12:13], v[10:11], off
	s_waitcnt vmcnt(1)
	v_subrev_co_u32_e32 v10, vcc, s2, v2
	v_subb_co_u32_e32 v11, vcc, v3, v25, vcc
	s_waitcnt vmcnt(0)
	v_add_co_u32_e32 v12, vcc, v12, v21
	v_addc_co_u32_e32 v13, vcc, v13, v22, vcc
	v_cmp_lt_i64_e32 vcc, v[12:13], v[10:11]
	s_and_saveexec_b64 s[10:11], vcc
	s_cbranch_execz .LBB64_6
; %bb.8:                                ;   in Loop: Header=BB64_7 Depth=1
	v_mov_b32_e32 v2, s21
	v_add_co_u32_e32 v0, vcc, s20, v0
	v_addc_co_u32_e32 v1, vcc, v2, v1, vcc
	global_load_dwordx2 v[0:1], v[0:1], off
	s_mov_b64 s[24:25], 0
	s_waitcnt vmcnt(0)
	v_mul_f64 v[14:15], v[4:5], v[0:1]
.LBB64_9:                               ;   Parent Loop BB64_7 Depth=1
                                        ; =>  This Loop Header: Depth=2
                                        ;       Child Loop BB64_10 Depth 3
	v_lshlrev_b64 v[0:1], 3, v[12:13]
	v_mov_b32_e32 v3, s17
	v_add_co_u32_e32 v2, vcc, s16, v0
	v_addc_co_u32_e32 v3, vcc, v3, v1, vcc
	global_load_dwordx2 v[2:3], v[2:3], off
	v_mov_b32_e32 v16, s19
	v_add_co_u32_e32 v0, vcc, s18, v0
	v_addc_co_u32_e32 v1, vcc, v16, v1, vcc
	v_mov_b32_e32 v17, s23
	global_load_dwordx2 v[0:1], v[0:1], off
	s_mov_b64 s[26:27], 0
	s_waitcnt vmcnt(1)
	v_subrev_co_u32_e32 v2, vcc, s2, v2
	v_subb_co_u32_e32 v3, vcc, v3, v25, vcc
	v_lshlrev_b64 v[2:3], 3, v[2:3]
	v_add_co_u32_e32 v16, vcc, s22, v2
	v_addc_co_u32_e32 v17, vcc, v17, v3, vcc
	global_load_dwordx2 v[2:3], v[16:17], off
	s_waitcnt vmcnt(1)
	v_mul_f64 v[18:19], v[14:15], v[0:1]
.LBB64_10:                              ;   Parent Loop BB64_7 Depth=1
                                        ;     Parent Loop BB64_9 Depth=2
                                        ; =>    This Inner Loop Header: Depth=3
	s_waitcnt vmcnt(0)
	v_add_f64 v[0:1], v[2:3], v[18:19]
	global_atomic_cmpswap_x2 v[0:1], v[16:17], v[0:3], off glc
	s_waitcnt vmcnt(0)
	v_cmp_eq_u64_e32 vcc, v[0:1], v[2:3]
	s_or_b64 s[26:27], vcc, s[26:27]
	v_pk_mov_b32 v[2:3], v[0:1], v[0:1] op_sel:[0,1]
	s_andn2_b64 exec, exec, s[26:27]
	s_cbranch_execnz .LBB64_10
; %bb.11:                               ;   in Loop: Header=BB64_9 Depth=2
	s_or_b64 exec, exec, s[26:27]
	v_add_co_u32_e32 v12, vcc, 32, v12
	v_addc_co_u32_e32 v13, vcc, 0, v13, vcc
	v_cmp_ge_i64_e32 vcc, v[12:13], v[10:11]
	s_or_b64 s[24:25], vcc, s[24:25]
	s_andn2_b64 exec, exec, s[24:25]
	s_cbranch_execnz .LBB64_9
	s_branch .LBB64_6
.LBB64_12:
	s_or_b64 exec, exec, s[4:5]
	s_mov_b64 s[4:5], 0
.LBB64_13:
	s_andn2_b64 vcc, exec, s[4:5]
	s_cbranch_vccnz .LBB64_23
; %bb.14:
	s_and_b64 exec, exec, s[0:1]
	s_cbranch_execz .LBB64_23
; %bb.15:
	v_subrev_co_u32_e32 v18, vcc, s2, v20
	s_mov_b32 s4, 0
	v_subb_co_u32_e64 v19, s[0:1], 0, 0, vcc
	s_mov_b64 s[0:1], 0
	v_mov_b32_e32 v20, s13
	v_mov_b32_e32 v21, s15
	;; [unrolled: 1-line block ×3, first 2 shown]
	s_branch .LBB64_17
.LBB64_16:                              ;   in Loop: Header=BB64_17 Depth=1
	s_or_b64 exec, exec, s[4:5]
	v_add_co_u32_e32 v6, vcc, s3, v6
	v_addc_co_u32_e32 v7, vcc, 0, v7, vcc
	v_cmp_le_i64_e32 vcc, s[8:9], v[6:7]
	s_or_b64 s[0:1], vcc, s[0:1]
	s_andn2_b64 exec, exec, s[0:1]
	s_cbranch_execz .LBB64_23
.LBB64_17:                              ; =>This Loop Header: Depth=1
                                        ;     Child Loop BB64_20 Depth 2
                                        ;       Child Loop BB64_22 Depth 3
	v_lshlrev_b64 v[0:1], 3, v[6:7]
	v_add_co_u32_e32 v2, vcc, s14, v0
	v_addc_co_u32_e32 v3, vcc, v21, v1, vcc
	global_load_dwordx2 v[2:3], v[2:3], off
	v_add_co_u32_e32 v8, vcc, s12, v0
	v_addc_co_u32_e32 v9, vcc, v20, v1, vcc
	global_load_dwordx2 v[10:11], v[8:9], off
	s_waitcnt vmcnt(1)
	v_subrev_co_u32_e32 v8, vcc, s2, v2
	v_subb_co_u32_e32 v9, vcc, v3, v22, vcc
	s_waitcnt vmcnt(0)
	v_add_co_u32_e32 v10, vcc, v10, v18
	v_addc_co_u32_e32 v11, vcc, v11, v19, vcc
	v_cmp_lt_i64_e32 vcc, v[10:11], v[8:9]
	s_and_saveexec_b64 s[4:5], vcc
	s_cbranch_execz .LBB64_16
; %bb.18:                               ;   in Loop: Header=BB64_17 Depth=1
	v_mov_b32_e32 v2, s21
	v_add_co_u32_e32 v0, vcc, s20, v0
	v_addc_co_u32_e32 v1, vcc, v2, v1, vcc
	global_load_dwordx2 v[0:1], v[0:1], off
	s_mov_b64 s[6:7], 0
	s_waitcnt vmcnt(0)
	v_mul_f64 v[12:13], v[4:5], v[0:1]
	s_branch .LBB64_20
.LBB64_19:                              ;   in Loop: Header=BB64_20 Depth=2
	s_or_b64 exec, exec, s[10:11]
	v_add_co_u32_e32 v10, vcc, 32, v10
	v_addc_co_u32_e32 v11, vcc, 0, v11, vcc
	v_cmp_ge_i64_e32 vcc, v[10:11], v[8:9]
	s_or_b64 s[6:7], vcc, s[6:7]
	s_andn2_b64 exec, exec, s[6:7]
	s_cbranch_execz .LBB64_16
.LBB64_20:                              ;   Parent Loop BB64_17 Depth=1
                                        ; =>  This Loop Header: Depth=2
                                        ;       Child Loop BB64_22 Depth 3
	v_lshlrev_b64 v[0:1], 3, v[10:11]
	v_mov_b32_e32 v3, s17
	v_add_co_u32_e32 v2, vcc, s16, v0
	v_addc_co_u32_e32 v3, vcc, v3, v1, vcc
	global_load_dwordx2 v[2:3], v[2:3], off
	s_waitcnt vmcnt(0)
	v_subrev_co_u32_e32 v2, vcc, s2, v2
	v_subb_co_u32_e32 v3, vcc, v3, v22, vcc
	v_cmp_ne_u64_e32 vcc, v[2:3], v[6:7]
	s_and_saveexec_b64 s[10:11], vcc
	s_cbranch_execz .LBB64_19
; %bb.21:                               ;   in Loop: Header=BB64_20 Depth=2
	v_mov_b32_e32 v14, s19
	v_add_co_u32_e32 v0, vcc, s18, v0
	v_addc_co_u32_e32 v1, vcc, v14, v1, vcc
	v_lshlrev_b64 v[2:3], 3, v[2:3]
	v_mov_b32_e32 v15, s23
	v_add_co_u32_e32 v14, vcc, s22, v2
	global_load_dwordx2 v[0:1], v[0:1], off
	v_addc_co_u32_e32 v15, vcc, v15, v3, vcc
	global_load_dwordx2 v[2:3], v[14:15], off
	s_mov_b64 s[24:25], 0
	s_waitcnt vmcnt(1)
	v_mul_f64 v[16:17], v[12:13], v[0:1]
.LBB64_22:                              ;   Parent Loop BB64_17 Depth=1
                                        ;     Parent Loop BB64_20 Depth=2
                                        ; =>    This Inner Loop Header: Depth=3
	s_waitcnt vmcnt(0)
	v_add_f64 v[0:1], v[2:3], v[16:17]
	global_atomic_cmpswap_x2 v[0:1], v[14:15], v[0:3], off glc
	s_waitcnt vmcnt(0)
	v_cmp_eq_u64_e32 vcc, v[0:1], v[2:3]
	s_or_b64 s[24:25], vcc, s[24:25]
	v_pk_mov_b32 v[2:3], v[0:1], v[0:1] op_sel:[0,1]
	s_andn2_b64 exec, exec, s[24:25]
	s_cbranch_execnz .LBB64_22
	s_branch .LBB64_19
.LBB64_23:
	s_endpgm
	.section	.rodata,"a",@progbits
	.p2align	6, 0x0
	.amdhsa_kernel _ZN9rocsparseL21csrmvt_general_kernelILj256ELj32EllddddEEvbbT2_NS_24const_host_device_scalarIT6_EEPKT1_S7_PKS1_PKT3_PKT4_PT5_21rocsparse_index_base_b
		.amdhsa_group_segment_fixed_size 0
		.amdhsa_private_segment_fixed_size 0
		.amdhsa_kernarg_size 336
		.amdhsa_user_sgpr_count 6
		.amdhsa_user_sgpr_private_segment_buffer 1
		.amdhsa_user_sgpr_dispatch_ptr 0
		.amdhsa_user_sgpr_queue_ptr 0
		.amdhsa_user_sgpr_kernarg_segment_ptr 1
		.amdhsa_user_sgpr_dispatch_id 0
		.amdhsa_user_sgpr_flat_scratch_init 0
		.amdhsa_user_sgpr_kernarg_preload_length 0
		.amdhsa_user_sgpr_kernarg_preload_offset 0
		.amdhsa_user_sgpr_private_segment_size 0
		.amdhsa_uses_dynamic_stack 0
		.amdhsa_system_sgpr_private_segment_wavefront_offset 0
		.amdhsa_system_sgpr_workgroup_id_x 1
		.amdhsa_system_sgpr_workgroup_id_y 0
		.amdhsa_system_sgpr_workgroup_id_z 0
		.amdhsa_system_sgpr_workgroup_info 0
		.amdhsa_system_vgpr_workitem_id 0
		.amdhsa_next_free_vgpr 26
		.amdhsa_next_free_sgpr 28
		.amdhsa_accum_offset 28
		.amdhsa_reserve_vcc 1
		.amdhsa_reserve_flat_scratch 0
		.amdhsa_float_round_mode_32 0
		.amdhsa_float_round_mode_16_64 0
		.amdhsa_float_denorm_mode_32 3
		.amdhsa_float_denorm_mode_16_64 3
		.amdhsa_dx10_clamp 1
		.amdhsa_ieee_mode 1
		.amdhsa_fp16_overflow 0
		.amdhsa_tg_split 0
		.amdhsa_exception_fp_ieee_invalid_op 0
		.amdhsa_exception_fp_denorm_src 0
		.amdhsa_exception_fp_ieee_div_zero 0
		.amdhsa_exception_fp_ieee_overflow 0
		.amdhsa_exception_fp_ieee_underflow 0
		.amdhsa_exception_fp_ieee_inexact 0
		.amdhsa_exception_int_div_zero 0
	.end_amdhsa_kernel
	.section	.text._ZN9rocsparseL21csrmvt_general_kernelILj256ELj32EllddddEEvbbT2_NS_24const_host_device_scalarIT6_EEPKT1_S7_PKS1_PKT3_PKT4_PT5_21rocsparse_index_base_b,"axG",@progbits,_ZN9rocsparseL21csrmvt_general_kernelILj256ELj32EllddddEEvbbT2_NS_24const_host_device_scalarIT6_EEPKT1_S7_PKS1_PKT3_PKT4_PT5_21rocsparse_index_base_b,comdat
.Lfunc_end64:
	.size	_ZN9rocsparseL21csrmvt_general_kernelILj256ELj32EllddddEEvbbT2_NS_24const_host_device_scalarIT6_EEPKT1_S7_PKS1_PKT3_PKT4_PT5_21rocsparse_index_base_b, .Lfunc_end64-_ZN9rocsparseL21csrmvt_general_kernelILj256ELj32EllddddEEvbbT2_NS_24const_host_device_scalarIT6_EEPKT1_S7_PKS1_PKT3_PKT4_PT5_21rocsparse_index_base_b
                                        ; -- End function
	.section	.AMDGPU.csdata,"",@progbits
; Kernel info:
; codeLenInByte = 932
; NumSgprs: 32
; NumVgprs: 26
; NumAgprs: 0
; TotalNumVgprs: 26
; ScratchSize: 0
; MemoryBound: 0
; FloatMode: 240
; IeeeMode: 1
; LDSByteSize: 0 bytes/workgroup (compile time only)
; SGPRBlocks: 3
; VGPRBlocks: 3
; NumSGPRsForWavesPerEU: 32
; NumVGPRsForWavesPerEU: 26
; AccumOffset: 28
; Occupancy: 8
; WaveLimiterHint : 1
; COMPUTE_PGM_RSRC2:SCRATCH_EN: 0
; COMPUTE_PGM_RSRC2:USER_SGPR: 6
; COMPUTE_PGM_RSRC2:TRAP_HANDLER: 0
; COMPUTE_PGM_RSRC2:TGID_X_EN: 1
; COMPUTE_PGM_RSRC2:TGID_Y_EN: 0
; COMPUTE_PGM_RSRC2:TGID_Z_EN: 0
; COMPUTE_PGM_RSRC2:TIDIG_COMP_CNT: 0
; COMPUTE_PGM_RSRC3_GFX90A:ACCUM_OFFSET: 6
; COMPUTE_PGM_RSRC3_GFX90A:TG_SPLIT: 0
	.section	.text._ZN9rocsparseL21csrmvt_general_kernelILj256ELj64EllddddEEvbbT2_NS_24const_host_device_scalarIT6_EEPKT1_S7_PKS1_PKT3_PKT4_PT5_21rocsparse_index_base_b,"axG",@progbits,_ZN9rocsparseL21csrmvt_general_kernelILj256ELj64EllddddEEvbbT2_NS_24const_host_device_scalarIT6_EEPKT1_S7_PKS1_PKT3_PKT4_PT5_21rocsparse_index_base_b,comdat
	.globl	_ZN9rocsparseL21csrmvt_general_kernelILj256ELj64EllddddEEvbbT2_NS_24const_host_device_scalarIT6_EEPKT1_S7_PKS1_PKT3_PKT4_PT5_21rocsparse_index_base_b ; -- Begin function _ZN9rocsparseL21csrmvt_general_kernelILj256ELj64EllddddEEvbbT2_NS_24const_host_device_scalarIT6_EEPKT1_S7_PKS1_PKT3_PKT4_PT5_21rocsparse_index_base_b
	.p2align	8
	.type	_ZN9rocsparseL21csrmvt_general_kernelILj256ELj64EllddddEEvbbT2_NS_24const_host_device_scalarIT6_EEPKT1_S7_PKS1_PKT3_PKT4_PT5_21rocsparse_index_base_b,@function
_ZN9rocsparseL21csrmvt_general_kernelILj256ELj64EllddddEEvbbT2_NS_24const_host_device_scalarIT6_EEPKT1_S7_PKS1_PKT3_PKT4_PT5_21rocsparse_index_base_b: ; @_ZN9rocsparseL21csrmvt_general_kernelILj256ELj64EllddddEEvbbT2_NS_24const_host_device_scalarIT6_EEPKT1_S7_PKS1_PKT3_PKT4_PT5_21rocsparse_index_base_b
; %bb.0:
	s_load_dwordx2 s[2:3], s[4:5], 0x48
	s_load_dwordx8 s[8:15], s[4:5], 0x8
	s_waitcnt lgkmcnt(0)
	s_bitcmp1_b32 s3, 0
	s_cselect_b64 s[0:1], -1, 0
	s_and_b64 vcc, exec, s[0:1]
	v_pk_mov_b32 v[4:5], s[10:11], s[10:11] op_sel:[0,1]
	s_cbranch_vccnz .LBB65_2
; %bb.1:
	v_pk_mov_b32 v[2:3], s[10:11], s[10:11] op_sel:[0,1]
	flat_load_dwordx2 v[4:5], v[2:3]
.LBB65_2:
	s_waitcnt vmcnt(0) lgkmcnt(0)
	v_cmp_neq_f64_e32 vcc, 0, v[4:5]
	s_and_saveexec_b64 s[0:1], vcc
	s_cbranch_execz .LBB65_23
; %bb.3:
	s_load_dword s0, s[4:5], 0x0
	s_load_dword s1, s[4:5], 0x50
	s_load_dwordx8 s[16:23], s[4:5], 0x28
	v_and_b32_e32 v20, 63, v0
	v_lshl_or_b32 v0, s6, 8, v0
	s_waitcnt lgkmcnt(0)
	s_and_b32 s0, s0, 1
	s_lshl_b32 s3, s1, 2
	v_lshrrev_b32_e32 v6, 6, v0
	v_mov_b32_e32 v7, 0
	s_cmp_eq_u32 s0, 0
	v_cmp_gt_i64_e64 s[0:1], s[8:9], v[6:7]
	s_mov_b64 s[4:5], -1
	s_cbranch_scc0 .LBB65_13
; %bb.4:
	s_and_saveexec_b64 s[4:5], s[0:1]
	s_cbranch_execz .LBB65_12
; %bb.5:
	v_subrev_co_u32_e32 v21, vcc, s2, v20
	s_mov_b32 s10, 0
	v_subb_co_u32_e64 v22, s[6:7], 0, 0, vcc
	s_mov_b64 s[6:7], 0
	v_mov_b32_e32 v23, s13
	v_mov_b32_e32 v24, s15
	;; [unrolled: 1-line block ×3, first 2 shown]
	v_pk_mov_b32 v[8:9], v[6:7], v[6:7] op_sel:[0,1]
	s_branch .LBB65_7
.LBB65_6:                               ;   in Loop: Header=BB65_7 Depth=1
	s_or_b64 exec, exec, s[10:11]
	v_add_co_u32_e32 v8, vcc, s3, v8
	v_addc_co_u32_e32 v9, vcc, 0, v9, vcc
	v_cmp_le_i64_e32 vcc, s[8:9], v[8:9]
	s_or_b64 s[6:7], vcc, s[6:7]
	s_andn2_b64 exec, exec, s[6:7]
	s_cbranch_execz .LBB65_12
.LBB65_7:                               ; =>This Loop Header: Depth=1
                                        ;     Child Loop BB65_9 Depth 2
                                        ;       Child Loop BB65_10 Depth 3
	v_lshlrev_b64 v[0:1], 3, v[8:9]
	v_add_co_u32_e32 v2, vcc, s14, v0
	v_addc_co_u32_e32 v3, vcc, v24, v1, vcc
	global_load_dwordx2 v[2:3], v[2:3], off
	v_add_co_u32_e32 v10, vcc, s12, v0
	v_addc_co_u32_e32 v11, vcc, v23, v1, vcc
	global_load_dwordx2 v[12:13], v[10:11], off
	s_waitcnt vmcnt(1)
	v_subrev_co_u32_e32 v10, vcc, s2, v2
	v_subb_co_u32_e32 v11, vcc, v3, v25, vcc
	s_waitcnt vmcnt(0)
	v_add_co_u32_e32 v12, vcc, v12, v21
	v_addc_co_u32_e32 v13, vcc, v13, v22, vcc
	v_cmp_lt_i64_e32 vcc, v[12:13], v[10:11]
	s_and_saveexec_b64 s[10:11], vcc
	s_cbranch_execz .LBB65_6
; %bb.8:                                ;   in Loop: Header=BB65_7 Depth=1
	v_mov_b32_e32 v2, s21
	v_add_co_u32_e32 v0, vcc, s20, v0
	v_addc_co_u32_e32 v1, vcc, v2, v1, vcc
	global_load_dwordx2 v[0:1], v[0:1], off
	s_mov_b64 s[24:25], 0
	s_waitcnt vmcnt(0)
	v_mul_f64 v[14:15], v[4:5], v[0:1]
.LBB65_9:                               ;   Parent Loop BB65_7 Depth=1
                                        ; =>  This Loop Header: Depth=2
                                        ;       Child Loop BB65_10 Depth 3
	v_lshlrev_b64 v[0:1], 3, v[12:13]
	v_mov_b32_e32 v3, s17
	v_add_co_u32_e32 v2, vcc, s16, v0
	v_addc_co_u32_e32 v3, vcc, v3, v1, vcc
	global_load_dwordx2 v[2:3], v[2:3], off
	v_mov_b32_e32 v16, s19
	v_add_co_u32_e32 v0, vcc, s18, v0
	v_addc_co_u32_e32 v1, vcc, v16, v1, vcc
	v_mov_b32_e32 v17, s23
	global_load_dwordx2 v[0:1], v[0:1], off
	s_mov_b64 s[26:27], 0
	s_waitcnt vmcnt(1)
	v_subrev_co_u32_e32 v2, vcc, s2, v2
	v_subb_co_u32_e32 v3, vcc, v3, v25, vcc
	v_lshlrev_b64 v[2:3], 3, v[2:3]
	v_add_co_u32_e32 v16, vcc, s22, v2
	v_addc_co_u32_e32 v17, vcc, v17, v3, vcc
	global_load_dwordx2 v[2:3], v[16:17], off
	s_waitcnt vmcnt(1)
	v_mul_f64 v[18:19], v[14:15], v[0:1]
.LBB65_10:                              ;   Parent Loop BB65_7 Depth=1
                                        ;     Parent Loop BB65_9 Depth=2
                                        ; =>    This Inner Loop Header: Depth=3
	s_waitcnt vmcnt(0)
	v_add_f64 v[0:1], v[2:3], v[18:19]
	global_atomic_cmpswap_x2 v[0:1], v[16:17], v[0:3], off glc
	s_waitcnt vmcnt(0)
	v_cmp_eq_u64_e32 vcc, v[0:1], v[2:3]
	s_or_b64 s[26:27], vcc, s[26:27]
	v_pk_mov_b32 v[2:3], v[0:1], v[0:1] op_sel:[0,1]
	s_andn2_b64 exec, exec, s[26:27]
	s_cbranch_execnz .LBB65_10
; %bb.11:                               ;   in Loop: Header=BB65_9 Depth=2
	s_or_b64 exec, exec, s[26:27]
	v_add_co_u32_e32 v12, vcc, 64, v12
	v_addc_co_u32_e32 v13, vcc, 0, v13, vcc
	v_cmp_ge_i64_e32 vcc, v[12:13], v[10:11]
	s_or_b64 s[24:25], vcc, s[24:25]
	s_andn2_b64 exec, exec, s[24:25]
	s_cbranch_execnz .LBB65_9
	s_branch .LBB65_6
.LBB65_12:
	s_or_b64 exec, exec, s[4:5]
	s_mov_b64 s[4:5], 0
.LBB65_13:
	s_andn2_b64 vcc, exec, s[4:5]
	s_cbranch_vccnz .LBB65_23
; %bb.14:
	s_and_b64 exec, exec, s[0:1]
	s_cbranch_execz .LBB65_23
; %bb.15:
	v_subrev_co_u32_e32 v18, vcc, s2, v20
	s_mov_b32 s4, 0
	v_subb_co_u32_e64 v19, s[0:1], 0, 0, vcc
	s_mov_b64 s[0:1], 0
	v_mov_b32_e32 v20, s13
	v_mov_b32_e32 v21, s15
	;; [unrolled: 1-line block ×3, first 2 shown]
	s_branch .LBB65_17
.LBB65_16:                              ;   in Loop: Header=BB65_17 Depth=1
	s_or_b64 exec, exec, s[4:5]
	v_add_co_u32_e32 v6, vcc, s3, v6
	v_addc_co_u32_e32 v7, vcc, 0, v7, vcc
	v_cmp_le_i64_e32 vcc, s[8:9], v[6:7]
	s_or_b64 s[0:1], vcc, s[0:1]
	s_andn2_b64 exec, exec, s[0:1]
	s_cbranch_execz .LBB65_23
.LBB65_17:                              ; =>This Loop Header: Depth=1
                                        ;     Child Loop BB65_20 Depth 2
                                        ;       Child Loop BB65_22 Depth 3
	v_lshlrev_b64 v[0:1], 3, v[6:7]
	v_add_co_u32_e32 v2, vcc, s14, v0
	v_addc_co_u32_e32 v3, vcc, v21, v1, vcc
	global_load_dwordx2 v[2:3], v[2:3], off
	v_add_co_u32_e32 v8, vcc, s12, v0
	v_addc_co_u32_e32 v9, vcc, v20, v1, vcc
	global_load_dwordx2 v[10:11], v[8:9], off
	s_waitcnt vmcnt(1)
	v_subrev_co_u32_e32 v8, vcc, s2, v2
	v_subb_co_u32_e32 v9, vcc, v3, v22, vcc
	s_waitcnt vmcnt(0)
	v_add_co_u32_e32 v10, vcc, v10, v18
	v_addc_co_u32_e32 v11, vcc, v11, v19, vcc
	v_cmp_lt_i64_e32 vcc, v[10:11], v[8:9]
	s_and_saveexec_b64 s[4:5], vcc
	s_cbranch_execz .LBB65_16
; %bb.18:                               ;   in Loop: Header=BB65_17 Depth=1
	v_mov_b32_e32 v2, s21
	v_add_co_u32_e32 v0, vcc, s20, v0
	v_addc_co_u32_e32 v1, vcc, v2, v1, vcc
	global_load_dwordx2 v[0:1], v[0:1], off
	s_mov_b64 s[6:7], 0
	s_waitcnt vmcnt(0)
	v_mul_f64 v[12:13], v[4:5], v[0:1]
	s_branch .LBB65_20
.LBB65_19:                              ;   in Loop: Header=BB65_20 Depth=2
	s_or_b64 exec, exec, s[10:11]
	v_add_co_u32_e32 v10, vcc, 64, v10
	v_addc_co_u32_e32 v11, vcc, 0, v11, vcc
	v_cmp_ge_i64_e32 vcc, v[10:11], v[8:9]
	s_or_b64 s[6:7], vcc, s[6:7]
	s_andn2_b64 exec, exec, s[6:7]
	s_cbranch_execz .LBB65_16
.LBB65_20:                              ;   Parent Loop BB65_17 Depth=1
                                        ; =>  This Loop Header: Depth=2
                                        ;       Child Loop BB65_22 Depth 3
	v_lshlrev_b64 v[0:1], 3, v[10:11]
	v_mov_b32_e32 v3, s17
	v_add_co_u32_e32 v2, vcc, s16, v0
	v_addc_co_u32_e32 v3, vcc, v3, v1, vcc
	global_load_dwordx2 v[2:3], v[2:3], off
	s_waitcnt vmcnt(0)
	v_subrev_co_u32_e32 v2, vcc, s2, v2
	v_subb_co_u32_e32 v3, vcc, v3, v22, vcc
	v_cmp_ne_u64_e32 vcc, v[2:3], v[6:7]
	s_and_saveexec_b64 s[10:11], vcc
	s_cbranch_execz .LBB65_19
; %bb.21:                               ;   in Loop: Header=BB65_20 Depth=2
	v_mov_b32_e32 v14, s19
	v_add_co_u32_e32 v0, vcc, s18, v0
	v_addc_co_u32_e32 v1, vcc, v14, v1, vcc
	v_lshlrev_b64 v[2:3], 3, v[2:3]
	v_mov_b32_e32 v15, s23
	v_add_co_u32_e32 v14, vcc, s22, v2
	global_load_dwordx2 v[0:1], v[0:1], off
	v_addc_co_u32_e32 v15, vcc, v15, v3, vcc
	global_load_dwordx2 v[2:3], v[14:15], off
	s_mov_b64 s[24:25], 0
	s_waitcnt vmcnt(1)
	v_mul_f64 v[16:17], v[12:13], v[0:1]
.LBB65_22:                              ;   Parent Loop BB65_17 Depth=1
                                        ;     Parent Loop BB65_20 Depth=2
                                        ; =>    This Inner Loop Header: Depth=3
	s_waitcnt vmcnt(0)
	v_add_f64 v[0:1], v[2:3], v[16:17]
	global_atomic_cmpswap_x2 v[0:1], v[14:15], v[0:3], off glc
	s_waitcnt vmcnt(0)
	v_cmp_eq_u64_e32 vcc, v[0:1], v[2:3]
	s_or_b64 s[24:25], vcc, s[24:25]
	v_pk_mov_b32 v[2:3], v[0:1], v[0:1] op_sel:[0,1]
	s_andn2_b64 exec, exec, s[24:25]
	s_cbranch_execnz .LBB65_22
	s_branch .LBB65_19
.LBB65_23:
	s_endpgm
	.section	.rodata,"a",@progbits
	.p2align	6, 0x0
	.amdhsa_kernel _ZN9rocsparseL21csrmvt_general_kernelILj256ELj64EllddddEEvbbT2_NS_24const_host_device_scalarIT6_EEPKT1_S7_PKS1_PKT3_PKT4_PT5_21rocsparse_index_base_b
		.amdhsa_group_segment_fixed_size 0
		.amdhsa_private_segment_fixed_size 0
		.amdhsa_kernarg_size 336
		.amdhsa_user_sgpr_count 6
		.amdhsa_user_sgpr_private_segment_buffer 1
		.amdhsa_user_sgpr_dispatch_ptr 0
		.amdhsa_user_sgpr_queue_ptr 0
		.amdhsa_user_sgpr_kernarg_segment_ptr 1
		.amdhsa_user_sgpr_dispatch_id 0
		.amdhsa_user_sgpr_flat_scratch_init 0
		.amdhsa_user_sgpr_kernarg_preload_length 0
		.amdhsa_user_sgpr_kernarg_preload_offset 0
		.amdhsa_user_sgpr_private_segment_size 0
		.amdhsa_uses_dynamic_stack 0
		.amdhsa_system_sgpr_private_segment_wavefront_offset 0
		.amdhsa_system_sgpr_workgroup_id_x 1
		.amdhsa_system_sgpr_workgroup_id_y 0
		.amdhsa_system_sgpr_workgroup_id_z 0
		.amdhsa_system_sgpr_workgroup_info 0
		.amdhsa_system_vgpr_workitem_id 0
		.amdhsa_next_free_vgpr 26
		.amdhsa_next_free_sgpr 28
		.amdhsa_accum_offset 28
		.amdhsa_reserve_vcc 1
		.amdhsa_reserve_flat_scratch 0
		.amdhsa_float_round_mode_32 0
		.amdhsa_float_round_mode_16_64 0
		.amdhsa_float_denorm_mode_32 3
		.amdhsa_float_denorm_mode_16_64 3
		.amdhsa_dx10_clamp 1
		.amdhsa_ieee_mode 1
		.amdhsa_fp16_overflow 0
		.amdhsa_tg_split 0
		.amdhsa_exception_fp_ieee_invalid_op 0
		.amdhsa_exception_fp_denorm_src 0
		.amdhsa_exception_fp_ieee_div_zero 0
		.amdhsa_exception_fp_ieee_overflow 0
		.amdhsa_exception_fp_ieee_underflow 0
		.amdhsa_exception_fp_ieee_inexact 0
		.amdhsa_exception_int_div_zero 0
	.end_amdhsa_kernel
	.section	.text._ZN9rocsparseL21csrmvt_general_kernelILj256ELj64EllddddEEvbbT2_NS_24const_host_device_scalarIT6_EEPKT1_S7_PKS1_PKT3_PKT4_PT5_21rocsparse_index_base_b,"axG",@progbits,_ZN9rocsparseL21csrmvt_general_kernelILj256ELj64EllddddEEvbbT2_NS_24const_host_device_scalarIT6_EEPKT1_S7_PKS1_PKT3_PKT4_PT5_21rocsparse_index_base_b,comdat
.Lfunc_end65:
	.size	_ZN9rocsparseL21csrmvt_general_kernelILj256ELj64EllddddEEvbbT2_NS_24const_host_device_scalarIT6_EEPKT1_S7_PKS1_PKT3_PKT4_PT5_21rocsparse_index_base_b, .Lfunc_end65-_ZN9rocsparseL21csrmvt_general_kernelILj256ELj64EllddddEEvbbT2_NS_24const_host_device_scalarIT6_EEPKT1_S7_PKS1_PKT3_PKT4_PT5_21rocsparse_index_base_b
                                        ; -- End function
	.section	.AMDGPU.csdata,"",@progbits
; Kernel info:
; codeLenInByte = 932
; NumSgprs: 32
; NumVgprs: 26
; NumAgprs: 0
; TotalNumVgprs: 26
; ScratchSize: 0
; MemoryBound: 0
; FloatMode: 240
; IeeeMode: 1
; LDSByteSize: 0 bytes/workgroup (compile time only)
; SGPRBlocks: 3
; VGPRBlocks: 3
; NumSGPRsForWavesPerEU: 32
; NumVGPRsForWavesPerEU: 26
; AccumOffset: 28
; Occupancy: 8
; WaveLimiterHint : 1
; COMPUTE_PGM_RSRC2:SCRATCH_EN: 0
; COMPUTE_PGM_RSRC2:USER_SGPR: 6
; COMPUTE_PGM_RSRC2:TRAP_HANDLER: 0
; COMPUTE_PGM_RSRC2:TGID_X_EN: 1
; COMPUTE_PGM_RSRC2:TGID_Y_EN: 0
; COMPUTE_PGM_RSRC2:TGID_Z_EN: 0
; COMPUTE_PGM_RSRC2:TIDIG_COMP_CNT: 0
; COMPUTE_PGM_RSRC3_GFX90A:ACCUM_OFFSET: 6
; COMPUTE_PGM_RSRC3_GFX90A:TG_SPLIT: 0
	.section	.text._ZN9rocsparseL21csrmvn_general_kernelILj256ELj2Eii21rocsparse_complex_numIfES2_S2_S2_EEvbT2_NS_24const_host_device_scalarIT6_EEPKT1_S9_PKS3_PKT3_PKT4_S6_PT5_21rocsparse_index_base_b,"axG",@progbits,_ZN9rocsparseL21csrmvn_general_kernelILj256ELj2Eii21rocsparse_complex_numIfES2_S2_S2_EEvbT2_NS_24const_host_device_scalarIT6_EEPKT1_S9_PKS3_PKT3_PKT4_S6_PT5_21rocsparse_index_base_b,comdat
	.globl	_ZN9rocsparseL21csrmvn_general_kernelILj256ELj2Eii21rocsparse_complex_numIfES2_S2_S2_EEvbT2_NS_24const_host_device_scalarIT6_EEPKT1_S9_PKS3_PKT3_PKT4_S6_PT5_21rocsparse_index_base_b ; -- Begin function _ZN9rocsparseL21csrmvn_general_kernelILj256ELj2Eii21rocsparse_complex_numIfES2_S2_S2_EEvbT2_NS_24const_host_device_scalarIT6_EEPKT1_S9_PKS3_PKT3_PKT4_S6_PT5_21rocsparse_index_base_b
	.p2align	8
	.type	_ZN9rocsparseL21csrmvn_general_kernelILj256ELj2Eii21rocsparse_complex_numIfES2_S2_S2_EEvbT2_NS_24const_host_device_scalarIT6_EEPKT1_S9_PKS3_PKT3_PKT4_S6_PT5_21rocsparse_index_base_b,@function
_ZN9rocsparseL21csrmvn_general_kernelILj256ELj2Eii21rocsparse_complex_numIfES2_S2_S2_EEvbT2_NS_24const_host_device_scalarIT6_EEPKT1_S9_PKS3_PKT3_PKT4_S6_PT5_21rocsparse_index_base_b: ; @_ZN9rocsparseL21csrmvn_general_kernelILj256ELj2Eii21rocsparse_complex_numIfES2_S2_S2_EEvbT2_NS_24const_host_device_scalarIT6_EEPKT1_S9_PKS3_PKT3_PKT4_S6_PT5_21rocsparse_index_base_b
; %bb.0:
	s_load_dwordx2 s[20:21], s[4:5], 0x48
	s_load_dwordx4 s[16:19], s[4:5], 0x8
	s_load_dwordx2 s[2:3], s[4:5], 0x38
	s_waitcnt lgkmcnt(0)
	s_bitcmp1_b32 s21, 0
	s_cselect_b64 s[0:1], -1, 0
	s_xor_b64 s[8:9], s[0:1], -1
	s_and_b64 vcc, exec, s[0:1]
	v_mov_b32_e32 v2, s16
	s_cbranch_vccnz .LBB66_2
; %bb.1:
	v_pk_mov_b32 v[2:3], s[16:17], s[16:17] op_sel:[0,1]
	flat_load_dword v2, v[2:3]
.LBB66_2:
	v_cndmask_b32_e64 v1, 0, 1, s[8:9]
	v_cmp_ne_u32_e64 s[0:1], 1, v1
	s_andn2_b64 vcc, exec, s[8:9]
	v_mov_b32_e32 v3, s17
	s_cbranch_vccz .LBB66_21
; %bb.3:
	s_and_b64 vcc, exec, s[0:1]
	v_mov_b32_e32 v4, s2
	s_cbranch_vccz .LBB66_22
.LBB66_4:
	s_and_b64 vcc, exec, s[0:1]
	v_mov_b32_e32 v5, s3
	s_cbranch_vccnz .LBB66_6
.LBB66_5:
	v_pk_mov_b32 v[6:7], s[2:3], s[2:3] op_sel:[0,1]
	flat_load_dword v5, v[6:7] offset:4
.LBB66_6:
	s_waitcnt vmcnt(0) lgkmcnt(0)
	v_and_b32_e32 v1, 0x7fffffff, v2
	v_cmp_eq_u32_e32 vcc, 0, v1
	v_cmp_eq_f32_e64 s[0:1], 0, v3
	s_and_b64 s[8:9], vcc, s[0:1]
	s_mov_b64 s[0:1], -1
	s_and_saveexec_b64 s[2:3], s[8:9]
; %bb.7:
	v_and_b32_e32 v1, 0x7fffffff, v5
	v_cmp_neq_f32_e32 vcc, 1.0, v4
	v_cmp_ne_u32_e64 s[0:1], 0, v1
	s_or_b64 s[0:1], vcc, s[0:1]
	s_orn2_b64 s[0:1], s[0:1], exec
; %bb.8:
	s_or_b64 exec, exec, s[2:3]
	s_and_saveexec_b64 s[2:3], s[0:1]
	s_cbranch_execz .LBB66_20
; %bb.9:
	s_load_dwordx2 s[16:17], s[4:5], 0x0
	v_lshl_or_b32 v1, s6, 8, v0
	v_lshrrev_b32_e32 v6, 1, v1
	s_waitcnt lgkmcnt(0)
	v_cmp_gt_i32_e32 vcc, s17, v6
	s_and_b64 exec, exec, vcc
	s_cbranch_execz .LBB66_20
; %bb.10:
	s_load_dword s0, s[4:5], 0x50
	s_load_dwordx2 s[6:7], s[4:5], 0x40
	s_load_dwordx8 s[8:15], s[4:5], 0x18
	v_and_b32_e32 v1, 1, v0
	v_subrev_u32_e32 v14, s20, v1
	s_waitcnt lgkmcnt(0)
	s_lshl_b32 s26, s0, 7
	s_bitcmp1_b32 s16, 0
	s_cselect_b64 s[4:5], -1, 0
	s_ashr_i32 s21, s20, 31
	s_lshl_b64 s[0:1], s[20:21], 3
	s_sub_u32 s16, s14, s0
	v_cmp_eq_u32_e32 vcc, 1, v1
	v_and_b32_e32 v1, 0x7fffffff, v4
	s_subb_u32 s21, s15, s1
	v_cmp_ne_u32_e64 s[0:1], 0, v1
	v_cmp_neq_f32_e64 s[2:3], 0, v5
	v_xor_b32_e32 v0, 0x80000000, v3
	s_or_b64 s[2:3], s[0:1], s[2:3]
	v_xor_b32_e32 v8, 0x80000000, v5
	v_mov_b32_e32 v9, v4
	v_mov_b32_e32 v1, v2
	s_mov_b64 s[14:15], 0
	v_mov_b32_e32 v15, s19
	v_mov_b32_e32 v16, s9
	s_branch .LBB66_13
.LBB66_11:                              ;   in Loop: Header=BB66_13 Depth=1
	s_or_b64 exec, exec, s[0:1]
	global_store_dwordx2 v[12:13], v[10:11], off
.LBB66_12:                              ;   in Loop: Header=BB66_13 Depth=1
	s_or_b64 exec, exec, s[22:23]
	v_add_u32_e32 v6, s26, v6
	v_cmp_le_i32_e64 s[0:1], s17, v6
	s_or_b64 s[14:15], s[0:1], s[14:15]
	s_andn2_b64 exec, exec, s[14:15]
	s_cbranch_execz .LBB66_20
.LBB66_13:                              ; =>This Loop Header: Depth=1
                                        ;     Child Loop BB66_15 Depth 2
	v_ashrrev_i32_e32 v7, 31, v6
	v_lshlrev_b64 v[10:11], 2, v[6:7]
	v_add_co_u32_e64 v12, s[0:1], s18, v10
	v_addc_co_u32_e64 v13, s[0:1], v15, v11, s[0:1]
	v_add_co_u32_e64 v10, s[0:1], s8, v10
	v_addc_co_u32_e64 v11, s[0:1], v16, v11, s[0:1]
	global_load_dword v17, v[10:11], off
	global_load_dword v18, v[12:13], off
	v_mov_b32_e32 v11, 0
	v_mov_b32_e32 v10, v11
	s_waitcnt vmcnt(1)
	v_subrev_u32_e32 v17, s20, v17
	s_waitcnt vmcnt(0)
	v_add_u32_e32 v12, v18, v14
	v_cmp_lt_i32_e64 s[0:1], v12, v17
	s_and_saveexec_b64 s[22:23], s[0:1]
	s_cbranch_execz .LBB66_17
; %bb.14:                               ;   in Loop: Header=BB66_13 Depth=1
	v_mov_b32_e32 v10, 0
	s_mov_b64 s[24:25], 0
	v_mov_b32_e32 v11, v10
.LBB66_15:                              ;   Parent Loop BB66_13 Depth=1
                                        ; =>  This Inner Loop Header: Depth=2
	v_ashrrev_i32_e32 v13, 31, v12
	v_lshlrev_b64 v[18:19], 2, v[12:13]
	v_mov_b32_e32 v20, s11
	v_add_co_u32_e64 v18, s[0:1], s10, v18
	v_addc_co_u32_e64 v19, s[0:1], v20, v19, s[0:1]
	global_load_dword v18, v[18:19], off
	v_lshlrev_b64 v[20:21], 3, v[12:13]
	v_mov_b32_e32 v19, s13
	v_add_co_u32_e64 v20, s[0:1], s12, v20
	v_addc_co_u32_e64 v21, s[0:1], v19, v21, s[0:1]
	global_load_dwordx2 v[20:21], v[20:21], off
	v_mov_b32_e32 v22, s21
	v_add_u32_e32 v12, 2, v12
	s_waitcnt vmcnt(1)
	v_ashrrev_i32_e32 v19, 31, v18
	v_lshlrev_b64 v[18:19], 3, v[18:19]
	v_add_co_u32_e64 v18, s[0:1], s16, v18
	v_addc_co_u32_e64 v19, s[0:1], v22, v19, s[0:1]
	global_load_dwordx2 v[18:19], v[18:19], off
	s_waitcnt vmcnt(1)
	v_cndmask_b32_e64 v22, v21, -v21, s[4:5]
	v_pk_mul_f32 v[22:23], v[22:23], v[0:1] op_sel_hi:[0,1]
	v_pk_fma_f32 v[20:21], v[2:3], v[20:21], v[22:23] op_sel_hi:[1,0,1]
	v_cmp_ge_i32_e64 s[0:1], v12, v17
	s_or_b64 s[24:25], s[0:1], s[24:25]
	s_waitcnt vmcnt(0)
	v_pk_fma_f32 v[10:11], v[20:21], v[18:19], v[10:11] op_sel_hi:[1,0,1]
	v_pk_fma_f32 v[10:11], v[20:21], v[18:19], v[10:11] op_sel:[1,1,0] op_sel_hi:[0,1,1] neg_lo:[1,0,0]
	s_andn2_b64 exec, exec, s[24:25]
	s_cbranch_execnz .LBB66_15
; %bb.16:                               ;   in Loop: Header=BB66_13 Depth=1
	s_or_b64 exec, exec, s[24:25]
.LBB66_17:                              ;   in Loop: Header=BB66_13 Depth=1
	s_or_b64 exec, exec, s[22:23]
	v_mov_b32_dpp v12, v10 row_shr:1 row_mask:0xf bank_mask:0xf
	v_mov_b32_dpp v13, v11 row_shr:1 row_mask:0xf bank_mask:0xf
	s_and_saveexec_b64 s[22:23], vcc
	s_cbranch_execz .LBB66_12
; %bb.18:                               ;   in Loop: Header=BB66_13 Depth=1
	v_pk_add_f32 v[10:11], v[10:11], v[12:13]
	v_lshlrev_b64 v[12:13], 3, v[6:7]
	v_mov_b32_e32 v7, s7
	v_add_co_u32_e64 v12, s[0:1], s6, v12
	v_addc_co_u32_e64 v13, s[0:1], v7, v13, s[0:1]
	s_and_saveexec_b64 s[0:1], s[2:3]
	s_cbranch_execz .LBB66_11
; %bb.19:                               ;   in Loop: Header=BB66_13 Depth=1
	global_load_dwordx2 v[18:19], v[12:13], off
	s_waitcnt vmcnt(0)
	v_pk_fma_f32 v[10:11], v[4:5], v[18:19], v[10:11] op_sel_hi:[1,0,1]
	v_pk_fma_f32 v[10:11], v[8:9], v[18:19], v[10:11] op_sel:[0,1,0]
	s_branch .LBB66_11
.LBB66_20:
	s_endpgm
.LBB66_21:
	v_pk_mov_b32 v[4:5], s[16:17], s[16:17] op_sel:[0,1]
	flat_load_dword v3, v[4:5] offset:4
	s_and_b64 vcc, exec, s[0:1]
	v_mov_b32_e32 v4, s2
	s_cbranch_vccnz .LBB66_4
.LBB66_22:
	v_pk_mov_b32 v[4:5], s[2:3], s[2:3] op_sel:[0,1]
	flat_load_dword v4, v[4:5]
	s_and_b64 vcc, exec, s[0:1]
	v_mov_b32_e32 v5, s3
	s_cbranch_vccz .LBB66_5
	s_branch .LBB66_6
	.section	.rodata,"a",@progbits
	.p2align	6, 0x0
	.amdhsa_kernel _ZN9rocsparseL21csrmvn_general_kernelILj256ELj2Eii21rocsparse_complex_numIfES2_S2_S2_EEvbT2_NS_24const_host_device_scalarIT6_EEPKT1_S9_PKS3_PKT3_PKT4_S6_PT5_21rocsparse_index_base_b
		.amdhsa_group_segment_fixed_size 0
		.amdhsa_private_segment_fixed_size 0
		.amdhsa_kernarg_size 336
		.amdhsa_user_sgpr_count 6
		.amdhsa_user_sgpr_private_segment_buffer 1
		.amdhsa_user_sgpr_dispatch_ptr 0
		.amdhsa_user_sgpr_queue_ptr 0
		.amdhsa_user_sgpr_kernarg_segment_ptr 1
		.amdhsa_user_sgpr_dispatch_id 0
		.amdhsa_user_sgpr_flat_scratch_init 0
		.amdhsa_user_sgpr_kernarg_preload_length 0
		.amdhsa_user_sgpr_kernarg_preload_offset 0
		.amdhsa_user_sgpr_private_segment_size 0
		.amdhsa_uses_dynamic_stack 0
		.amdhsa_system_sgpr_private_segment_wavefront_offset 0
		.amdhsa_system_sgpr_workgroup_id_x 1
		.amdhsa_system_sgpr_workgroup_id_y 0
		.amdhsa_system_sgpr_workgroup_id_z 0
		.amdhsa_system_sgpr_workgroup_info 0
		.amdhsa_system_vgpr_workitem_id 0
		.amdhsa_next_free_vgpr 24
		.amdhsa_next_free_sgpr 27
		.amdhsa_accum_offset 24
		.amdhsa_reserve_vcc 1
		.amdhsa_reserve_flat_scratch 0
		.amdhsa_float_round_mode_32 0
		.amdhsa_float_round_mode_16_64 0
		.amdhsa_float_denorm_mode_32 3
		.amdhsa_float_denorm_mode_16_64 3
		.amdhsa_dx10_clamp 1
		.amdhsa_ieee_mode 1
		.amdhsa_fp16_overflow 0
		.amdhsa_tg_split 0
		.amdhsa_exception_fp_ieee_invalid_op 0
		.amdhsa_exception_fp_denorm_src 0
		.amdhsa_exception_fp_ieee_div_zero 0
		.amdhsa_exception_fp_ieee_overflow 0
		.amdhsa_exception_fp_ieee_underflow 0
		.amdhsa_exception_fp_ieee_inexact 0
		.amdhsa_exception_int_div_zero 0
	.end_amdhsa_kernel
	.section	.text._ZN9rocsparseL21csrmvn_general_kernelILj256ELj2Eii21rocsparse_complex_numIfES2_S2_S2_EEvbT2_NS_24const_host_device_scalarIT6_EEPKT1_S9_PKS3_PKT3_PKT4_S6_PT5_21rocsparse_index_base_b,"axG",@progbits,_ZN9rocsparseL21csrmvn_general_kernelILj256ELj2Eii21rocsparse_complex_numIfES2_S2_S2_EEvbT2_NS_24const_host_device_scalarIT6_EEPKT1_S9_PKS3_PKT3_PKT4_S6_PT5_21rocsparse_index_base_b,comdat
.Lfunc_end66:
	.size	_ZN9rocsparseL21csrmvn_general_kernelILj256ELj2Eii21rocsparse_complex_numIfES2_S2_S2_EEvbT2_NS_24const_host_device_scalarIT6_EEPKT1_S9_PKS3_PKT3_PKT4_S6_PT5_21rocsparse_index_base_b, .Lfunc_end66-_ZN9rocsparseL21csrmvn_general_kernelILj256ELj2Eii21rocsparse_complex_numIfES2_S2_S2_EEvbT2_NS_24const_host_device_scalarIT6_EEPKT1_S9_PKS3_PKT3_PKT4_S6_PT5_21rocsparse_index_base_b
                                        ; -- End function
	.section	.AMDGPU.csdata,"",@progbits
; Kernel info:
; codeLenInByte = 900
; NumSgprs: 31
; NumVgprs: 24
; NumAgprs: 0
; TotalNumVgprs: 24
; ScratchSize: 0
; MemoryBound: 0
; FloatMode: 240
; IeeeMode: 1
; LDSByteSize: 0 bytes/workgroup (compile time only)
; SGPRBlocks: 3
; VGPRBlocks: 2
; NumSGPRsForWavesPerEU: 31
; NumVGPRsForWavesPerEU: 24
; AccumOffset: 24
; Occupancy: 8
; WaveLimiterHint : 1
; COMPUTE_PGM_RSRC2:SCRATCH_EN: 0
; COMPUTE_PGM_RSRC2:USER_SGPR: 6
; COMPUTE_PGM_RSRC2:TRAP_HANDLER: 0
; COMPUTE_PGM_RSRC2:TGID_X_EN: 1
; COMPUTE_PGM_RSRC2:TGID_Y_EN: 0
; COMPUTE_PGM_RSRC2:TGID_Z_EN: 0
; COMPUTE_PGM_RSRC2:TIDIG_COMP_CNT: 0
; COMPUTE_PGM_RSRC3_GFX90A:ACCUM_OFFSET: 5
; COMPUTE_PGM_RSRC3_GFX90A:TG_SPLIT: 0
	.section	.text._ZN9rocsparseL21csrmvn_general_kernelILj256ELj4Eii21rocsparse_complex_numIfES2_S2_S2_EEvbT2_NS_24const_host_device_scalarIT6_EEPKT1_S9_PKS3_PKT3_PKT4_S6_PT5_21rocsparse_index_base_b,"axG",@progbits,_ZN9rocsparseL21csrmvn_general_kernelILj256ELj4Eii21rocsparse_complex_numIfES2_S2_S2_EEvbT2_NS_24const_host_device_scalarIT6_EEPKT1_S9_PKS3_PKT3_PKT4_S6_PT5_21rocsparse_index_base_b,comdat
	.globl	_ZN9rocsparseL21csrmvn_general_kernelILj256ELj4Eii21rocsparse_complex_numIfES2_S2_S2_EEvbT2_NS_24const_host_device_scalarIT6_EEPKT1_S9_PKS3_PKT3_PKT4_S6_PT5_21rocsparse_index_base_b ; -- Begin function _ZN9rocsparseL21csrmvn_general_kernelILj256ELj4Eii21rocsparse_complex_numIfES2_S2_S2_EEvbT2_NS_24const_host_device_scalarIT6_EEPKT1_S9_PKS3_PKT3_PKT4_S6_PT5_21rocsparse_index_base_b
	.p2align	8
	.type	_ZN9rocsparseL21csrmvn_general_kernelILj256ELj4Eii21rocsparse_complex_numIfES2_S2_S2_EEvbT2_NS_24const_host_device_scalarIT6_EEPKT1_S9_PKS3_PKT3_PKT4_S6_PT5_21rocsparse_index_base_b,@function
_ZN9rocsparseL21csrmvn_general_kernelILj256ELj4Eii21rocsparse_complex_numIfES2_S2_S2_EEvbT2_NS_24const_host_device_scalarIT6_EEPKT1_S9_PKS3_PKT3_PKT4_S6_PT5_21rocsparse_index_base_b: ; @_ZN9rocsparseL21csrmvn_general_kernelILj256ELj4Eii21rocsparse_complex_numIfES2_S2_S2_EEvbT2_NS_24const_host_device_scalarIT6_EEPKT1_S9_PKS3_PKT3_PKT4_S6_PT5_21rocsparse_index_base_b
; %bb.0:
	s_load_dwordx2 s[20:21], s[4:5], 0x48
	s_load_dwordx4 s[16:19], s[4:5], 0x8
	s_load_dwordx2 s[2:3], s[4:5], 0x38
	s_waitcnt lgkmcnt(0)
	s_bitcmp1_b32 s21, 0
	s_cselect_b64 s[0:1], -1, 0
	s_xor_b64 s[8:9], s[0:1], -1
	s_and_b64 vcc, exec, s[0:1]
	v_mov_b32_e32 v2, s16
	s_cbranch_vccnz .LBB67_2
; %bb.1:
	v_pk_mov_b32 v[2:3], s[16:17], s[16:17] op_sel:[0,1]
	flat_load_dword v2, v[2:3]
.LBB67_2:
	v_cndmask_b32_e64 v1, 0, 1, s[8:9]
	v_cmp_ne_u32_e64 s[0:1], 1, v1
	s_andn2_b64 vcc, exec, s[8:9]
	v_mov_b32_e32 v3, s17
	s_cbranch_vccz .LBB67_21
; %bb.3:
	s_and_b64 vcc, exec, s[0:1]
	v_mov_b32_e32 v4, s2
	s_cbranch_vccz .LBB67_22
.LBB67_4:
	s_and_b64 vcc, exec, s[0:1]
	v_mov_b32_e32 v5, s3
	s_cbranch_vccnz .LBB67_6
.LBB67_5:
	v_pk_mov_b32 v[6:7], s[2:3], s[2:3] op_sel:[0,1]
	flat_load_dword v5, v[6:7] offset:4
.LBB67_6:
	s_waitcnt vmcnt(0) lgkmcnt(0)
	v_and_b32_e32 v1, 0x7fffffff, v2
	v_cmp_eq_u32_e32 vcc, 0, v1
	v_cmp_eq_f32_e64 s[0:1], 0, v3
	s_and_b64 s[8:9], vcc, s[0:1]
	s_mov_b64 s[0:1], -1
	s_and_saveexec_b64 s[2:3], s[8:9]
; %bb.7:
	v_and_b32_e32 v1, 0x7fffffff, v5
	v_cmp_neq_f32_e32 vcc, 1.0, v4
	v_cmp_ne_u32_e64 s[0:1], 0, v1
	s_or_b64 s[0:1], vcc, s[0:1]
	s_orn2_b64 s[0:1], s[0:1], exec
; %bb.8:
	s_or_b64 exec, exec, s[2:3]
	s_and_saveexec_b64 s[2:3], s[0:1]
	s_cbranch_execz .LBB67_20
; %bb.9:
	s_load_dwordx2 s[16:17], s[4:5], 0x0
	v_lshl_or_b32 v1, s6, 8, v0
	v_lshrrev_b32_e32 v6, 2, v1
	s_waitcnt lgkmcnt(0)
	v_cmp_gt_i32_e32 vcc, s17, v6
	s_and_b64 exec, exec, vcc
	s_cbranch_execz .LBB67_20
; %bb.10:
	s_load_dword s0, s[4:5], 0x50
	s_load_dwordx2 s[6:7], s[4:5], 0x40
	s_load_dwordx8 s[8:15], s[4:5], 0x18
	v_and_b32_e32 v1, 3, v0
	v_subrev_u32_e32 v14, s20, v1
	s_waitcnt lgkmcnt(0)
	s_lshl_b32 s26, s0, 6
	s_bitcmp1_b32 s16, 0
	s_cselect_b64 s[4:5], -1, 0
	s_ashr_i32 s21, s20, 31
	s_lshl_b64 s[0:1], s[20:21], 3
	s_sub_u32 s16, s14, s0
	v_cmp_eq_u32_e32 vcc, 3, v1
	v_and_b32_e32 v1, 0x7fffffff, v4
	s_subb_u32 s21, s15, s1
	v_cmp_ne_u32_e64 s[0:1], 0, v1
	v_cmp_neq_f32_e64 s[2:3], 0, v5
	v_xor_b32_e32 v0, 0x80000000, v3
	s_or_b64 s[2:3], s[0:1], s[2:3]
	v_xor_b32_e32 v8, 0x80000000, v5
	v_mov_b32_e32 v9, v4
	v_mov_b32_e32 v1, v2
	s_mov_b64 s[14:15], 0
	v_mov_b32_e32 v15, s19
	v_mov_b32_e32 v16, s9
	s_branch .LBB67_13
.LBB67_11:                              ;   in Loop: Header=BB67_13 Depth=1
	s_or_b64 exec, exec, s[0:1]
	global_store_dwordx2 v[12:13], v[10:11], off
.LBB67_12:                              ;   in Loop: Header=BB67_13 Depth=1
	s_or_b64 exec, exec, s[22:23]
	v_add_u32_e32 v6, s26, v6
	v_cmp_le_i32_e64 s[0:1], s17, v6
	s_or_b64 s[14:15], s[0:1], s[14:15]
	s_andn2_b64 exec, exec, s[14:15]
	s_cbranch_execz .LBB67_20
.LBB67_13:                              ; =>This Loop Header: Depth=1
                                        ;     Child Loop BB67_15 Depth 2
	v_ashrrev_i32_e32 v7, 31, v6
	v_lshlrev_b64 v[10:11], 2, v[6:7]
	v_add_co_u32_e64 v12, s[0:1], s18, v10
	v_addc_co_u32_e64 v13, s[0:1], v15, v11, s[0:1]
	v_add_co_u32_e64 v10, s[0:1], s8, v10
	v_addc_co_u32_e64 v11, s[0:1], v16, v11, s[0:1]
	global_load_dword v17, v[10:11], off
	global_load_dword v18, v[12:13], off
	v_mov_b32_e32 v11, 0
	v_mov_b32_e32 v10, v11
	s_waitcnt vmcnt(1)
	v_subrev_u32_e32 v17, s20, v17
	s_waitcnt vmcnt(0)
	v_add_u32_e32 v12, v18, v14
	v_cmp_lt_i32_e64 s[0:1], v12, v17
	s_and_saveexec_b64 s[22:23], s[0:1]
	s_cbranch_execz .LBB67_17
; %bb.14:                               ;   in Loop: Header=BB67_13 Depth=1
	v_mov_b32_e32 v10, 0
	s_mov_b64 s[24:25], 0
	v_mov_b32_e32 v11, v10
.LBB67_15:                              ;   Parent Loop BB67_13 Depth=1
                                        ; =>  This Inner Loop Header: Depth=2
	v_ashrrev_i32_e32 v13, 31, v12
	v_lshlrev_b64 v[18:19], 2, v[12:13]
	v_mov_b32_e32 v20, s11
	v_add_co_u32_e64 v18, s[0:1], s10, v18
	v_addc_co_u32_e64 v19, s[0:1], v20, v19, s[0:1]
	global_load_dword v18, v[18:19], off
	v_lshlrev_b64 v[20:21], 3, v[12:13]
	v_mov_b32_e32 v19, s13
	v_add_co_u32_e64 v20, s[0:1], s12, v20
	v_addc_co_u32_e64 v21, s[0:1], v19, v21, s[0:1]
	global_load_dwordx2 v[20:21], v[20:21], off
	v_mov_b32_e32 v22, s21
	v_add_u32_e32 v12, 4, v12
	s_waitcnt vmcnt(1)
	v_ashrrev_i32_e32 v19, 31, v18
	v_lshlrev_b64 v[18:19], 3, v[18:19]
	v_add_co_u32_e64 v18, s[0:1], s16, v18
	v_addc_co_u32_e64 v19, s[0:1], v22, v19, s[0:1]
	global_load_dwordx2 v[18:19], v[18:19], off
	s_waitcnt vmcnt(1)
	v_cndmask_b32_e64 v22, v21, -v21, s[4:5]
	v_pk_mul_f32 v[22:23], v[22:23], v[0:1] op_sel_hi:[0,1]
	v_pk_fma_f32 v[20:21], v[2:3], v[20:21], v[22:23] op_sel_hi:[1,0,1]
	v_cmp_ge_i32_e64 s[0:1], v12, v17
	s_or_b64 s[24:25], s[0:1], s[24:25]
	s_waitcnt vmcnt(0)
	v_pk_fma_f32 v[10:11], v[20:21], v[18:19], v[10:11] op_sel_hi:[1,0,1]
	v_pk_fma_f32 v[10:11], v[20:21], v[18:19], v[10:11] op_sel:[1,1,0] op_sel_hi:[0,1,1] neg_lo:[1,0,0]
	s_andn2_b64 exec, exec, s[24:25]
	s_cbranch_execnz .LBB67_15
; %bb.16:                               ;   in Loop: Header=BB67_13 Depth=1
	s_or_b64 exec, exec, s[24:25]
.LBB67_17:                              ;   in Loop: Header=BB67_13 Depth=1
	s_or_b64 exec, exec, s[22:23]
	v_mov_b32_dpp v12, v10 row_shr:1 row_mask:0xf bank_mask:0xf
	v_mov_b32_dpp v13, v11 row_shr:1 row_mask:0xf bank_mask:0xf
	v_pk_add_f32 v[10:11], v[10:11], v[12:13]
	s_nop 1
	v_mov_b32_dpp v12, v10 row_shr:2 row_mask:0xf bank_mask:0xf
	v_mov_b32_dpp v13, v11 row_shr:2 row_mask:0xf bank_mask:0xf
	s_and_saveexec_b64 s[22:23], vcc
	s_cbranch_execz .LBB67_12
; %bb.18:                               ;   in Loop: Header=BB67_13 Depth=1
	v_pk_add_f32 v[10:11], v[10:11], v[12:13]
	v_lshlrev_b64 v[12:13], 3, v[6:7]
	v_mov_b32_e32 v7, s7
	v_add_co_u32_e64 v12, s[0:1], s6, v12
	v_addc_co_u32_e64 v13, s[0:1], v7, v13, s[0:1]
	s_and_saveexec_b64 s[0:1], s[2:3]
	s_cbranch_execz .LBB67_11
; %bb.19:                               ;   in Loop: Header=BB67_13 Depth=1
	global_load_dwordx2 v[18:19], v[12:13], off
	s_waitcnt vmcnt(0)
	v_pk_fma_f32 v[10:11], v[4:5], v[18:19], v[10:11] op_sel_hi:[1,0,1]
	v_pk_fma_f32 v[10:11], v[8:9], v[18:19], v[10:11] op_sel:[0,1,0]
	s_branch .LBB67_11
.LBB67_20:
	s_endpgm
.LBB67_21:
	v_pk_mov_b32 v[4:5], s[16:17], s[16:17] op_sel:[0,1]
	flat_load_dword v3, v[4:5] offset:4
	s_and_b64 vcc, exec, s[0:1]
	v_mov_b32_e32 v4, s2
	s_cbranch_vccnz .LBB67_4
.LBB67_22:
	v_pk_mov_b32 v[4:5], s[2:3], s[2:3] op_sel:[0,1]
	flat_load_dword v4, v[4:5]
	s_and_b64 vcc, exec, s[0:1]
	v_mov_b32_e32 v5, s3
	s_cbranch_vccz .LBB67_5
	s_branch .LBB67_6
	.section	.rodata,"a",@progbits
	.p2align	6, 0x0
	.amdhsa_kernel _ZN9rocsparseL21csrmvn_general_kernelILj256ELj4Eii21rocsparse_complex_numIfES2_S2_S2_EEvbT2_NS_24const_host_device_scalarIT6_EEPKT1_S9_PKS3_PKT3_PKT4_S6_PT5_21rocsparse_index_base_b
		.amdhsa_group_segment_fixed_size 0
		.amdhsa_private_segment_fixed_size 0
		.amdhsa_kernarg_size 336
		.amdhsa_user_sgpr_count 6
		.amdhsa_user_sgpr_private_segment_buffer 1
		.amdhsa_user_sgpr_dispatch_ptr 0
		.amdhsa_user_sgpr_queue_ptr 0
		.amdhsa_user_sgpr_kernarg_segment_ptr 1
		.amdhsa_user_sgpr_dispatch_id 0
		.amdhsa_user_sgpr_flat_scratch_init 0
		.amdhsa_user_sgpr_kernarg_preload_length 0
		.amdhsa_user_sgpr_kernarg_preload_offset 0
		.amdhsa_user_sgpr_private_segment_size 0
		.amdhsa_uses_dynamic_stack 0
		.amdhsa_system_sgpr_private_segment_wavefront_offset 0
		.amdhsa_system_sgpr_workgroup_id_x 1
		.amdhsa_system_sgpr_workgroup_id_y 0
		.amdhsa_system_sgpr_workgroup_id_z 0
		.amdhsa_system_sgpr_workgroup_info 0
		.amdhsa_system_vgpr_workitem_id 0
		.amdhsa_next_free_vgpr 24
		.amdhsa_next_free_sgpr 27
		.amdhsa_accum_offset 24
		.amdhsa_reserve_vcc 1
		.amdhsa_reserve_flat_scratch 0
		.amdhsa_float_round_mode_32 0
		.amdhsa_float_round_mode_16_64 0
		.amdhsa_float_denorm_mode_32 3
		.amdhsa_float_denorm_mode_16_64 3
		.amdhsa_dx10_clamp 1
		.amdhsa_ieee_mode 1
		.amdhsa_fp16_overflow 0
		.amdhsa_tg_split 0
		.amdhsa_exception_fp_ieee_invalid_op 0
		.amdhsa_exception_fp_denorm_src 0
		.amdhsa_exception_fp_ieee_div_zero 0
		.amdhsa_exception_fp_ieee_overflow 0
		.amdhsa_exception_fp_ieee_underflow 0
		.amdhsa_exception_fp_ieee_inexact 0
		.amdhsa_exception_int_div_zero 0
	.end_amdhsa_kernel
	.section	.text._ZN9rocsparseL21csrmvn_general_kernelILj256ELj4Eii21rocsparse_complex_numIfES2_S2_S2_EEvbT2_NS_24const_host_device_scalarIT6_EEPKT1_S9_PKS3_PKT3_PKT4_S6_PT5_21rocsparse_index_base_b,"axG",@progbits,_ZN9rocsparseL21csrmvn_general_kernelILj256ELj4Eii21rocsparse_complex_numIfES2_S2_S2_EEvbT2_NS_24const_host_device_scalarIT6_EEPKT1_S9_PKS3_PKT3_PKT4_S6_PT5_21rocsparse_index_base_b,comdat
.Lfunc_end67:
	.size	_ZN9rocsparseL21csrmvn_general_kernelILj256ELj4Eii21rocsparse_complex_numIfES2_S2_S2_EEvbT2_NS_24const_host_device_scalarIT6_EEPKT1_S9_PKS3_PKT3_PKT4_S6_PT5_21rocsparse_index_base_b, .Lfunc_end67-_ZN9rocsparseL21csrmvn_general_kernelILj256ELj4Eii21rocsparse_complex_numIfES2_S2_S2_EEvbT2_NS_24const_host_device_scalarIT6_EEPKT1_S9_PKS3_PKT3_PKT4_S6_PT5_21rocsparse_index_base_b
                                        ; -- End function
	.section	.AMDGPU.csdata,"",@progbits
; Kernel info:
; codeLenInByte = 928
; NumSgprs: 31
; NumVgprs: 24
; NumAgprs: 0
; TotalNumVgprs: 24
; ScratchSize: 0
; MemoryBound: 0
; FloatMode: 240
; IeeeMode: 1
; LDSByteSize: 0 bytes/workgroup (compile time only)
; SGPRBlocks: 3
; VGPRBlocks: 2
; NumSGPRsForWavesPerEU: 31
; NumVGPRsForWavesPerEU: 24
; AccumOffset: 24
; Occupancy: 8
; WaveLimiterHint : 1
; COMPUTE_PGM_RSRC2:SCRATCH_EN: 0
; COMPUTE_PGM_RSRC2:USER_SGPR: 6
; COMPUTE_PGM_RSRC2:TRAP_HANDLER: 0
; COMPUTE_PGM_RSRC2:TGID_X_EN: 1
; COMPUTE_PGM_RSRC2:TGID_Y_EN: 0
; COMPUTE_PGM_RSRC2:TGID_Z_EN: 0
; COMPUTE_PGM_RSRC2:TIDIG_COMP_CNT: 0
; COMPUTE_PGM_RSRC3_GFX90A:ACCUM_OFFSET: 5
; COMPUTE_PGM_RSRC3_GFX90A:TG_SPLIT: 0
	.section	.text._ZN9rocsparseL21csrmvn_general_kernelILj256ELj8Eii21rocsparse_complex_numIfES2_S2_S2_EEvbT2_NS_24const_host_device_scalarIT6_EEPKT1_S9_PKS3_PKT3_PKT4_S6_PT5_21rocsparse_index_base_b,"axG",@progbits,_ZN9rocsparseL21csrmvn_general_kernelILj256ELj8Eii21rocsparse_complex_numIfES2_S2_S2_EEvbT2_NS_24const_host_device_scalarIT6_EEPKT1_S9_PKS3_PKT3_PKT4_S6_PT5_21rocsparse_index_base_b,comdat
	.globl	_ZN9rocsparseL21csrmvn_general_kernelILj256ELj8Eii21rocsparse_complex_numIfES2_S2_S2_EEvbT2_NS_24const_host_device_scalarIT6_EEPKT1_S9_PKS3_PKT3_PKT4_S6_PT5_21rocsparse_index_base_b ; -- Begin function _ZN9rocsparseL21csrmvn_general_kernelILj256ELj8Eii21rocsparse_complex_numIfES2_S2_S2_EEvbT2_NS_24const_host_device_scalarIT6_EEPKT1_S9_PKS3_PKT3_PKT4_S6_PT5_21rocsparse_index_base_b
	.p2align	8
	.type	_ZN9rocsparseL21csrmvn_general_kernelILj256ELj8Eii21rocsparse_complex_numIfES2_S2_S2_EEvbT2_NS_24const_host_device_scalarIT6_EEPKT1_S9_PKS3_PKT3_PKT4_S6_PT5_21rocsparse_index_base_b,@function
_ZN9rocsparseL21csrmvn_general_kernelILj256ELj8Eii21rocsparse_complex_numIfES2_S2_S2_EEvbT2_NS_24const_host_device_scalarIT6_EEPKT1_S9_PKS3_PKT3_PKT4_S6_PT5_21rocsparse_index_base_b: ; @_ZN9rocsparseL21csrmvn_general_kernelILj256ELj8Eii21rocsparse_complex_numIfES2_S2_S2_EEvbT2_NS_24const_host_device_scalarIT6_EEPKT1_S9_PKS3_PKT3_PKT4_S6_PT5_21rocsparse_index_base_b
; %bb.0:
	s_load_dwordx2 s[20:21], s[4:5], 0x48
	s_load_dwordx4 s[16:19], s[4:5], 0x8
	s_load_dwordx2 s[2:3], s[4:5], 0x38
	s_waitcnt lgkmcnt(0)
	s_bitcmp1_b32 s21, 0
	s_cselect_b64 s[0:1], -1, 0
	s_xor_b64 s[8:9], s[0:1], -1
	s_and_b64 vcc, exec, s[0:1]
	v_mov_b32_e32 v2, s16
	s_cbranch_vccnz .LBB68_2
; %bb.1:
	v_pk_mov_b32 v[2:3], s[16:17], s[16:17] op_sel:[0,1]
	flat_load_dword v2, v[2:3]
.LBB68_2:
	v_cndmask_b32_e64 v1, 0, 1, s[8:9]
	v_cmp_ne_u32_e64 s[0:1], 1, v1
	s_andn2_b64 vcc, exec, s[8:9]
	v_mov_b32_e32 v3, s17
	s_cbranch_vccz .LBB68_21
; %bb.3:
	s_and_b64 vcc, exec, s[0:1]
	v_mov_b32_e32 v4, s2
	s_cbranch_vccz .LBB68_22
.LBB68_4:
	s_and_b64 vcc, exec, s[0:1]
	v_mov_b32_e32 v5, s3
	s_cbranch_vccnz .LBB68_6
.LBB68_5:
	v_pk_mov_b32 v[6:7], s[2:3], s[2:3] op_sel:[0,1]
	flat_load_dword v5, v[6:7] offset:4
.LBB68_6:
	s_waitcnt vmcnt(0) lgkmcnt(0)
	v_and_b32_e32 v1, 0x7fffffff, v2
	v_cmp_eq_u32_e32 vcc, 0, v1
	v_cmp_eq_f32_e64 s[0:1], 0, v3
	s_and_b64 s[8:9], vcc, s[0:1]
	s_mov_b64 s[0:1], -1
	s_and_saveexec_b64 s[2:3], s[8:9]
; %bb.7:
	v_and_b32_e32 v1, 0x7fffffff, v5
	v_cmp_neq_f32_e32 vcc, 1.0, v4
	v_cmp_ne_u32_e64 s[0:1], 0, v1
	s_or_b64 s[0:1], vcc, s[0:1]
	s_orn2_b64 s[0:1], s[0:1], exec
; %bb.8:
	s_or_b64 exec, exec, s[2:3]
	s_and_saveexec_b64 s[2:3], s[0:1]
	s_cbranch_execz .LBB68_20
; %bb.9:
	s_load_dwordx2 s[16:17], s[4:5], 0x0
	v_lshl_or_b32 v1, s6, 8, v0
	v_lshrrev_b32_e32 v6, 3, v1
	s_waitcnt lgkmcnt(0)
	v_cmp_gt_i32_e32 vcc, s17, v6
	s_and_b64 exec, exec, vcc
	s_cbranch_execz .LBB68_20
; %bb.10:
	s_load_dword s0, s[4:5], 0x50
	s_load_dwordx2 s[6:7], s[4:5], 0x40
	s_load_dwordx8 s[8:15], s[4:5], 0x18
	v_and_b32_e32 v1, 7, v0
	v_subrev_u32_e32 v14, s20, v1
	s_waitcnt lgkmcnt(0)
	s_lshl_b32 s26, s0, 5
	s_bitcmp1_b32 s16, 0
	s_cselect_b64 s[4:5], -1, 0
	s_ashr_i32 s21, s20, 31
	s_lshl_b64 s[0:1], s[20:21], 3
	s_sub_u32 s16, s14, s0
	v_cmp_eq_u32_e32 vcc, 7, v1
	v_and_b32_e32 v1, 0x7fffffff, v4
	s_subb_u32 s21, s15, s1
	v_cmp_ne_u32_e64 s[0:1], 0, v1
	v_cmp_neq_f32_e64 s[2:3], 0, v5
	v_xor_b32_e32 v0, 0x80000000, v3
	s_or_b64 s[2:3], s[0:1], s[2:3]
	v_xor_b32_e32 v8, 0x80000000, v5
	v_mov_b32_e32 v9, v4
	v_mov_b32_e32 v1, v2
	s_mov_b64 s[14:15], 0
	v_mov_b32_e32 v15, s19
	v_mov_b32_e32 v16, s9
	s_branch .LBB68_13
.LBB68_11:                              ;   in Loop: Header=BB68_13 Depth=1
	s_or_b64 exec, exec, s[0:1]
	global_store_dwordx2 v[12:13], v[10:11], off
.LBB68_12:                              ;   in Loop: Header=BB68_13 Depth=1
	s_or_b64 exec, exec, s[22:23]
	v_add_u32_e32 v6, s26, v6
	v_cmp_le_i32_e64 s[0:1], s17, v6
	s_or_b64 s[14:15], s[0:1], s[14:15]
	s_andn2_b64 exec, exec, s[14:15]
	s_cbranch_execz .LBB68_20
.LBB68_13:                              ; =>This Loop Header: Depth=1
                                        ;     Child Loop BB68_15 Depth 2
	v_ashrrev_i32_e32 v7, 31, v6
	v_lshlrev_b64 v[10:11], 2, v[6:7]
	v_add_co_u32_e64 v12, s[0:1], s18, v10
	v_addc_co_u32_e64 v13, s[0:1], v15, v11, s[0:1]
	v_add_co_u32_e64 v10, s[0:1], s8, v10
	v_addc_co_u32_e64 v11, s[0:1], v16, v11, s[0:1]
	global_load_dword v17, v[10:11], off
	global_load_dword v18, v[12:13], off
	v_mov_b32_e32 v11, 0
	v_mov_b32_e32 v10, v11
	s_waitcnt vmcnt(1)
	v_subrev_u32_e32 v17, s20, v17
	s_waitcnt vmcnt(0)
	v_add_u32_e32 v12, v18, v14
	v_cmp_lt_i32_e64 s[0:1], v12, v17
	s_and_saveexec_b64 s[22:23], s[0:1]
	s_cbranch_execz .LBB68_17
; %bb.14:                               ;   in Loop: Header=BB68_13 Depth=1
	v_mov_b32_e32 v10, 0
	s_mov_b64 s[24:25], 0
	v_mov_b32_e32 v11, v10
.LBB68_15:                              ;   Parent Loop BB68_13 Depth=1
                                        ; =>  This Inner Loop Header: Depth=2
	v_ashrrev_i32_e32 v13, 31, v12
	v_lshlrev_b64 v[18:19], 2, v[12:13]
	v_mov_b32_e32 v20, s11
	v_add_co_u32_e64 v18, s[0:1], s10, v18
	v_addc_co_u32_e64 v19, s[0:1], v20, v19, s[0:1]
	global_load_dword v18, v[18:19], off
	v_lshlrev_b64 v[20:21], 3, v[12:13]
	v_mov_b32_e32 v19, s13
	v_add_co_u32_e64 v20, s[0:1], s12, v20
	v_addc_co_u32_e64 v21, s[0:1], v19, v21, s[0:1]
	global_load_dwordx2 v[20:21], v[20:21], off
	v_mov_b32_e32 v22, s21
	v_add_u32_e32 v12, 8, v12
	s_waitcnt vmcnt(1)
	v_ashrrev_i32_e32 v19, 31, v18
	v_lshlrev_b64 v[18:19], 3, v[18:19]
	v_add_co_u32_e64 v18, s[0:1], s16, v18
	v_addc_co_u32_e64 v19, s[0:1], v22, v19, s[0:1]
	global_load_dwordx2 v[18:19], v[18:19], off
	s_waitcnt vmcnt(1)
	v_cndmask_b32_e64 v22, v21, -v21, s[4:5]
	v_pk_mul_f32 v[22:23], v[22:23], v[0:1] op_sel_hi:[0,1]
	v_pk_fma_f32 v[20:21], v[2:3], v[20:21], v[22:23] op_sel_hi:[1,0,1]
	v_cmp_ge_i32_e64 s[0:1], v12, v17
	s_or_b64 s[24:25], s[0:1], s[24:25]
	s_waitcnt vmcnt(0)
	v_pk_fma_f32 v[10:11], v[20:21], v[18:19], v[10:11] op_sel_hi:[1,0,1]
	v_pk_fma_f32 v[10:11], v[20:21], v[18:19], v[10:11] op_sel:[1,1,0] op_sel_hi:[0,1,1] neg_lo:[1,0,0]
	s_andn2_b64 exec, exec, s[24:25]
	s_cbranch_execnz .LBB68_15
; %bb.16:                               ;   in Loop: Header=BB68_13 Depth=1
	s_or_b64 exec, exec, s[24:25]
.LBB68_17:                              ;   in Loop: Header=BB68_13 Depth=1
	s_or_b64 exec, exec, s[22:23]
	v_mov_b32_dpp v12, v10 row_shr:1 row_mask:0xf bank_mask:0xf
	v_mov_b32_dpp v13, v11 row_shr:1 row_mask:0xf bank_mask:0xf
	v_pk_add_f32 v[10:11], v[10:11], v[12:13]
	s_nop 1
	v_mov_b32_dpp v12, v10 row_shr:2 row_mask:0xf bank_mask:0xf
	v_mov_b32_dpp v13, v11 row_shr:2 row_mask:0xf bank_mask:0xf
	v_pk_add_f32 v[10:11], v[10:11], v[12:13]
	s_nop 1
	v_mov_b32_dpp v12, v10 row_shr:4 row_mask:0xf bank_mask:0xe
	v_mov_b32_dpp v13, v11 row_shr:4 row_mask:0xf bank_mask:0xe
	s_and_saveexec_b64 s[22:23], vcc
	s_cbranch_execz .LBB68_12
; %bb.18:                               ;   in Loop: Header=BB68_13 Depth=1
	v_pk_add_f32 v[10:11], v[10:11], v[12:13]
	v_lshlrev_b64 v[12:13], 3, v[6:7]
	v_mov_b32_e32 v7, s7
	v_add_co_u32_e64 v12, s[0:1], s6, v12
	v_addc_co_u32_e64 v13, s[0:1], v7, v13, s[0:1]
	s_and_saveexec_b64 s[0:1], s[2:3]
	s_cbranch_execz .LBB68_11
; %bb.19:                               ;   in Loop: Header=BB68_13 Depth=1
	global_load_dwordx2 v[18:19], v[12:13], off
	s_waitcnt vmcnt(0)
	v_pk_fma_f32 v[10:11], v[4:5], v[18:19], v[10:11] op_sel_hi:[1,0,1]
	v_pk_fma_f32 v[10:11], v[8:9], v[18:19], v[10:11] op_sel:[0,1,0]
	s_branch .LBB68_11
.LBB68_20:
	s_endpgm
.LBB68_21:
	v_pk_mov_b32 v[4:5], s[16:17], s[16:17] op_sel:[0,1]
	flat_load_dword v3, v[4:5] offset:4
	s_and_b64 vcc, exec, s[0:1]
	v_mov_b32_e32 v4, s2
	s_cbranch_vccnz .LBB68_4
.LBB68_22:
	v_pk_mov_b32 v[4:5], s[2:3], s[2:3] op_sel:[0,1]
	flat_load_dword v4, v[4:5]
	s_and_b64 vcc, exec, s[0:1]
	v_mov_b32_e32 v5, s3
	s_cbranch_vccz .LBB68_5
	s_branch .LBB68_6
	.section	.rodata,"a",@progbits
	.p2align	6, 0x0
	.amdhsa_kernel _ZN9rocsparseL21csrmvn_general_kernelILj256ELj8Eii21rocsparse_complex_numIfES2_S2_S2_EEvbT2_NS_24const_host_device_scalarIT6_EEPKT1_S9_PKS3_PKT3_PKT4_S6_PT5_21rocsparse_index_base_b
		.amdhsa_group_segment_fixed_size 0
		.amdhsa_private_segment_fixed_size 0
		.amdhsa_kernarg_size 336
		.amdhsa_user_sgpr_count 6
		.amdhsa_user_sgpr_private_segment_buffer 1
		.amdhsa_user_sgpr_dispatch_ptr 0
		.amdhsa_user_sgpr_queue_ptr 0
		.amdhsa_user_sgpr_kernarg_segment_ptr 1
		.amdhsa_user_sgpr_dispatch_id 0
		.amdhsa_user_sgpr_flat_scratch_init 0
		.amdhsa_user_sgpr_kernarg_preload_length 0
		.amdhsa_user_sgpr_kernarg_preload_offset 0
		.amdhsa_user_sgpr_private_segment_size 0
		.amdhsa_uses_dynamic_stack 0
		.amdhsa_system_sgpr_private_segment_wavefront_offset 0
		.amdhsa_system_sgpr_workgroup_id_x 1
		.amdhsa_system_sgpr_workgroup_id_y 0
		.amdhsa_system_sgpr_workgroup_id_z 0
		.amdhsa_system_sgpr_workgroup_info 0
		.amdhsa_system_vgpr_workitem_id 0
		.amdhsa_next_free_vgpr 24
		.amdhsa_next_free_sgpr 27
		.amdhsa_accum_offset 24
		.amdhsa_reserve_vcc 1
		.amdhsa_reserve_flat_scratch 0
		.amdhsa_float_round_mode_32 0
		.amdhsa_float_round_mode_16_64 0
		.amdhsa_float_denorm_mode_32 3
		.amdhsa_float_denorm_mode_16_64 3
		.amdhsa_dx10_clamp 1
		.amdhsa_ieee_mode 1
		.amdhsa_fp16_overflow 0
		.amdhsa_tg_split 0
		.amdhsa_exception_fp_ieee_invalid_op 0
		.amdhsa_exception_fp_denorm_src 0
		.amdhsa_exception_fp_ieee_div_zero 0
		.amdhsa_exception_fp_ieee_overflow 0
		.amdhsa_exception_fp_ieee_underflow 0
		.amdhsa_exception_fp_ieee_inexact 0
		.amdhsa_exception_int_div_zero 0
	.end_amdhsa_kernel
	.section	.text._ZN9rocsparseL21csrmvn_general_kernelILj256ELj8Eii21rocsparse_complex_numIfES2_S2_S2_EEvbT2_NS_24const_host_device_scalarIT6_EEPKT1_S9_PKS3_PKT3_PKT4_S6_PT5_21rocsparse_index_base_b,"axG",@progbits,_ZN9rocsparseL21csrmvn_general_kernelILj256ELj8Eii21rocsparse_complex_numIfES2_S2_S2_EEvbT2_NS_24const_host_device_scalarIT6_EEPKT1_S9_PKS3_PKT3_PKT4_S6_PT5_21rocsparse_index_base_b,comdat
.Lfunc_end68:
	.size	_ZN9rocsparseL21csrmvn_general_kernelILj256ELj8Eii21rocsparse_complex_numIfES2_S2_S2_EEvbT2_NS_24const_host_device_scalarIT6_EEPKT1_S9_PKS3_PKT3_PKT4_S6_PT5_21rocsparse_index_base_b, .Lfunc_end68-_ZN9rocsparseL21csrmvn_general_kernelILj256ELj8Eii21rocsparse_complex_numIfES2_S2_S2_EEvbT2_NS_24const_host_device_scalarIT6_EEPKT1_S9_PKS3_PKT3_PKT4_S6_PT5_21rocsparse_index_base_b
                                        ; -- End function
	.section	.AMDGPU.csdata,"",@progbits
; Kernel info:
; codeLenInByte = 956
; NumSgprs: 31
; NumVgprs: 24
; NumAgprs: 0
; TotalNumVgprs: 24
; ScratchSize: 0
; MemoryBound: 0
; FloatMode: 240
; IeeeMode: 1
; LDSByteSize: 0 bytes/workgroup (compile time only)
; SGPRBlocks: 3
; VGPRBlocks: 2
; NumSGPRsForWavesPerEU: 31
; NumVGPRsForWavesPerEU: 24
; AccumOffset: 24
; Occupancy: 8
; WaveLimiterHint : 1
; COMPUTE_PGM_RSRC2:SCRATCH_EN: 0
; COMPUTE_PGM_RSRC2:USER_SGPR: 6
; COMPUTE_PGM_RSRC2:TRAP_HANDLER: 0
; COMPUTE_PGM_RSRC2:TGID_X_EN: 1
; COMPUTE_PGM_RSRC2:TGID_Y_EN: 0
; COMPUTE_PGM_RSRC2:TGID_Z_EN: 0
; COMPUTE_PGM_RSRC2:TIDIG_COMP_CNT: 0
; COMPUTE_PGM_RSRC3_GFX90A:ACCUM_OFFSET: 5
; COMPUTE_PGM_RSRC3_GFX90A:TG_SPLIT: 0
	.section	.text._ZN9rocsparseL21csrmvn_general_kernelILj256ELj16Eii21rocsparse_complex_numIfES2_S2_S2_EEvbT2_NS_24const_host_device_scalarIT6_EEPKT1_S9_PKS3_PKT3_PKT4_S6_PT5_21rocsparse_index_base_b,"axG",@progbits,_ZN9rocsparseL21csrmvn_general_kernelILj256ELj16Eii21rocsparse_complex_numIfES2_S2_S2_EEvbT2_NS_24const_host_device_scalarIT6_EEPKT1_S9_PKS3_PKT3_PKT4_S6_PT5_21rocsparse_index_base_b,comdat
	.globl	_ZN9rocsparseL21csrmvn_general_kernelILj256ELj16Eii21rocsparse_complex_numIfES2_S2_S2_EEvbT2_NS_24const_host_device_scalarIT6_EEPKT1_S9_PKS3_PKT3_PKT4_S6_PT5_21rocsparse_index_base_b ; -- Begin function _ZN9rocsparseL21csrmvn_general_kernelILj256ELj16Eii21rocsparse_complex_numIfES2_S2_S2_EEvbT2_NS_24const_host_device_scalarIT6_EEPKT1_S9_PKS3_PKT3_PKT4_S6_PT5_21rocsparse_index_base_b
	.p2align	8
	.type	_ZN9rocsparseL21csrmvn_general_kernelILj256ELj16Eii21rocsparse_complex_numIfES2_S2_S2_EEvbT2_NS_24const_host_device_scalarIT6_EEPKT1_S9_PKS3_PKT3_PKT4_S6_PT5_21rocsparse_index_base_b,@function
_ZN9rocsparseL21csrmvn_general_kernelILj256ELj16Eii21rocsparse_complex_numIfES2_S2_S2_EEvbT2_NS_24const_host_device_scalarIT6_EEPKT1_S9_PKS3_PKT3_PKT4_S6_PT5_21rocsparse_index_base_b: ; @_ZN9rocsparseL21csrmvn_general_kernelILj256ELj16Eii21rocsparse_complex_numIfES2_S2_S2_EEvbT2_NS_24const_host_device_scalarIT6_EEPKT1_S9_PKS3_PKT3_PKT4_S6_PT5_21rocsparse_index_base_b
; %bb.0:
	s_load_dwordx2 s[20:21], s[4:5], 0x48
	s_load_dwordx4 s[16:19], s[4:5], 0x8
	s_load_dwordx2 s[2:3], s[4:5], 0x38
	s_waitcnt lgkmcnt(0)
	s_bitcmp1_b32 s21, 0
	s_cselect_b64 s[0:1], -1, 0
	s_xor_b64 s[8:9], s[0:1], -1
	s_and_b64 vcc, exec, s[0:1]
	v_mov_b32_e32 v2, s16
	s_cbranch_vccnz .LBB69_2
; %bb.1:
	v_pk_mov_b32 v[2:3], s[16:17], s[16:17] op_sel:[0,1]
	flat_load_dword v2, v[2:3]
.LBB69_2:
	v_cndmask_b32_e64 v1, 0, 1, s[8:9]
	v_cmp_ne_u32_e64 s[0:1], 1, v1
	s_andn2_b64 vcc, exec, s[8:9]
	v_mov_b32_e32 v3, s17
	s_cbranch_vccz .LBB69_21
; %bb.3:
	s_and_b64 vcc, exec, s[0:1]
	v_mov_b32_e32 v4, s2
	s_cbranch_vccz .LBB69_22
.LBB69_4:
	s_and_b64 vcc, exec, s[0:1]
	v_mov_b32_e32 v5, s3
	s_cbranch_vccnz .LBB69_6
.LBB69_5:
	v_pk_mov_b32 v[6:7], s[2:3], s[2:3] op_sel:[0,1]
	flat_load_dword v5, v[6:7] offset:4
.LBB69_6:
	s_waitcnt vmcnt(0) lgkmcnt(0)
	v_and_b32_e32 v1, 0x7fffffff, v2
	v_cmp_eq_u32_e32 vcc, 0, v1
	v_cmp_eq_f32_e64 s[0:1], 0, v3
	s_and_b64 s[8:9], vcc, s[0:1]
	s_mov_b64 s[0:1], -1
	s_and_saveexec_b64 s[2:3], s[8:9]
; %bb.7:
	v_and_b32_e32 v1, 0x7fffffff, v5
	v_cmp_neq_f32_e32 vcc, 1.0, v4
	v_cmp_ne_u32_e64 s[0:1], 0, v1
	s_or_b64 s[0:1], vcc, s[0:1]
	s_orn2_b64 s[0:1], s[0:1], exec
; %bb.8:
	s_or_b64 exec, exec, s[2:3]
	s_and_saveexec_b64 s[2:3], s[0:1]
	s_cbranch_execz .LBB69_20
; %bb.9:
	s_load_dwordx2 s[16:17], s[4:5], 0x0
	v_lshl_or_b32 v1, s6, 8, v0
	v_lshrrev_b32_e32 v6, 4, v1
	s_waitcnt lgkmcnt(0)
	v_cmp_gt_i32_e32 vcc, s17, v6
	s_and_b64 exec, exec, vcc
	s_cbranch_execz .LBB69_20
; %bb.10:
	s_load_dword s0, s[4:5], 0x50
	s_load_dwordx2 s[6:7], s[4:5], 0x40
	s_load_dwordx8 s[8:15], s[4:5], 0x18
	v_and_b32_e32 v1, 15, v0
	v_subrev_u32_e32 v14, s20, v1
	s_waitcnt lgkmcnt(0)
	s_lshl_b32 s26, s0, 4
	s_bitcmp1_b32 s16, 0
	s_cselect_b64 s[4:5], -1, 0
	s_ashr_i32 s21, s20, 31
	s_lshl_b64 s[0:1], s[20:21], 3
	s_sub_u32 s16, s14, s0
	v_cmp_eq_u32_e32 vcc, 15, v1
	v_and_b32_e32 v1, 0x7fffffff, v4
	s_subb_u32 s21, s15, s1
	v_cmp_ne_u32_e64 s[0:1], 0, v1
	v_cmp_neq_f32_e64 s[2:3], 0, v5
	v_xor_b32_e32 v0, 0x80000000, v3
	s_or_b64 s[2:3], s[0:1], s[2:3]
	v_xor_b32_e32 v8, 0x80000000, v5
	v_mov_b32_e32 v9, v4
	v_mov_b32_e32 v1, v2
	s_mov_b64 s[14:15], 0
	v_mov_b32_e32 v15, s19
	v_mov_b32_e32 v16, s9
	s_branch .LBB69_13
.LBB69_11:                              ;   in Loop: Header=BB69_13 Depth=1
	s_or_b64 exec, exec, s[0:1]
	global_store_dwordx2 v[12:13], v[10:11], off
.LBB69_12:                              ;   in Loop: Header=BB69_13 Depth=1
	s_or_b64 exec, exec, s[22:23]
	v_add_u32_e32 v6, s26, v6
	v_cmp_le_i32_e64 s[0:1], s17, v6
	s_or_b64 s[14:15], s[0:1], s[14:15]
	s_andn2_b64 exec, exec, s[14:15]
	s_cbranch_execz .LBB69_20
.LBB69_13:                              ; =>This Loop Header: Depth=1
                                        ;     Child Loop BB69_15 Depth 2
	v_ashrrev_i32_e32 v7, 31, v6
	v_lshlrev_b64 v[10:11], 2, v[6:7]
	v_add_co_u32_e64 v12, s[0:1], s18, v10
	v_addc_co_u32_e64 v13, s[0:1], v15, v11, s[0:1]
	v_add_co_u32_e64 v10, s[0:1], s8, v10
	v_addc_co_u32_e64 v11, s[0:1], v16, v11, s[0:1]
	global_load_dword v17, v[10:11], off
	global_load_dword v18, v[12:13], off
	v_mov_b32_e32 v11, 0
	v_mov_b32_e32 v10, v11
	s_waitcnt vmcnt(1)
	v_subrev_u32_e32 v17, s20, v17
	s_waitcnt vmcnt(0)
	v_add_u32_e32 v12, v18, v14
	v_cmp_lt_i32_e64 s[0:1], v12, v17
	s_and_saveexec_b64 s[22:23], s[0:1]
	s_cbranch_execz .LBB69_17
; %bb.14:                               ;   in Loop: Header=BB69_13 Depth=1
	v_mov_b32_e32 v10, 0
	s_mov_b64 s[24:25], 0
	v_mov_b32_e32 v11, v10
.LBB69_15:                              ;   Parent Loop BB69_13 Depth=1
                                        ; =>  This Inner Loop Header: Depth=2
	v_ashrrev_i32_e32 v13, 31, v12
	v_lshlrev_b64 v[18:19], 2, v[12:13]
	v_mov_b32_e32 v20, s11
	v_add_co_u32_e64 v18, s[0:1], s10, v18
	v_addc_co_u32_e64 v19, s[0:1], v20, v19, s[0:1]
	global_load_dword v18, v[18:19], off
	v_lshlrev_b64 v[20:21], 3, v[12:13]
	v_mov_b32_e32 v19, s13
	v_add_co_u32_e64 v20, s[0:1], s12, v20
	v_addc_co_u32_e64 v21, s[0:1], v19, v21, s[0:1]
	global_load_dwordx2 v[20:21], v[20:21], off
	v_mov_b32_e32 v22, s21
	v_add_u32_e32 v12, 16, v12
	s_waitcnt vmcnt(1)
	v_ashrrev_i32_e32 v19, 31, v18
	v_lshlrev_b64 v[18:19], 3, v[18:19]
	v_add_co_u32_e64 v18, s[0:1], s16, v18
	v_addc_co_u32_e64 v19, s[0:1], v22, v19, s[0:1]
	global_load_dwordx2 v[18:19], v[18:19], off
	s_waitcnt vmcnt(1)
	v_cndmask_b32_e64 v22, v21, -v21, s[4:5]
	v_pk_mul_f32 v[22:23], v[22:23], v[0:1] op_sel_hi:[0,1]
	v_pk_fma_f32 v[20:21], v[2:3], v[20:21], v[22:23] op_sel_hi:[1,0,1]
	v_cmp_ge_i32_e64 s[0:1], v12, v17
	s_or_b64 s[24:25], s[0:1], s[24:25]
	s_waitcnt vmcnt(0)
	v_pk_fma_f32 v[10:11], v[20:21], v[18:19], v[10:11] op_sel_hi:[1,0,1]
	v_pk_fma_f32 v[10:11], v[20:21], v[18:19], v[10:11] op_sel:[1,1,0] op_sel_hi:[0,1,1] neg_lo:[1,0,0]
	s_andn2_b64 exec, exec, s[24:25]
	s_cbranch_execnz .LBB69_15
; %bb.16:                               ;   in Loop: Header=BB69_13 Depth=1
	s_or_b64 exec, exec, s[24:25]
.LBB69_17:                              ;   in Loop: Header=BB69_13 Depth=1
	s_or_b64 exec, exec, s[22:23]
	v_mov_b32_dpp v12, v10 row_shr:1 row_mask:0xf bank_mask:0xf
	v_mov_b32_dpp v13, v11 row_shr:1 row_mask:0xf bank_mask:0xf
	v_pk_add_f32 v[10:11], v[10:11], v[12:13]
	s_nop 1
	v_mov_b32_dpp v12, v10 row_shr:2 row_mask:0xf bank_mask:0xf
	v_mov_b32_dpp v13, v11 row_shr:2 row_mask:0xf bank_mask:0xf
	v_pk_add_f32 v[10:11], v[10:11], v[12:13]
	s_nop 1
	;; [unrolled: 4-line block ×3, first 2 shown]
	v_mov_b32_dpp v12, v10 row_shr:8 row_mask:0xf bank_mask:0xc
	v_mov_b32_dpp v13, v11 row_shr:8 row_mask:0xf bank_mask:0xc
	s_and_saveexec_b64 s[22:23], vcc
	s_cbranch_execz .LBB69_12
; %bb.18:                               ;   in Loop: Header=BB69_13 Depth=1
	v_pk_add_f32 v[10:11], v[10:11], v[12:13]
	v_lshlrev_b64 v[12:13], 3, v[6:7]
	v_mov_b32_e32 v7, s7
	v_add_co_u32_e64 v12, s[0:1], s6, v12
	v_addc_co_u32_e64 v13, s[0:1], v7, v13, s[0:1]
	s_and_saveexec_b64 s[0:1], s[2:3]
	s_cbranch_execz .LBB69_11
; %bb.19:                               ;   in Loop: Header=BB69_13 Depth=1
	global_load_dwordx2 v[18:19], v[12:13], off
	s_waitcnt vmcnt(0)
	v_pk_fma_f32 v[10:11], v[4:5], v[18:19], v[10:11] op_sel_hi:[1,0,1]
	v_pk_fma_f32 v[10:11], v[8:9], v[18:19], v[10:11] op_sel:[0,1,0]
	s_branch .LBB69_11
.LBB69_20:
	s_endpgm
.LBB69_21:
	v_pk_mov_b32 v[4:5], s[16:17], s[16:17] op_sel:[0,1]
	flat_load_dword v3, v[4:5] offset:4
	s_and_b64 vcc, exec, s[0:1]
	v_mov_b32_e32 v4, s2
	s_cbranch_vccnz .LBB69_4
.LBB69_22:
	v_pk_mov_b32 v[4:5], s[2:3], s[2:3] op_sel:[0,1]
	flat_load_dword v4, v[4:5]
	s_and_b64 vcc, exec, s[0:1]
	v_mov_b32_e32 v5, s3
	s_cbranch_vccz .LBB69_5
	s_branch .LBB69_6
	.section	.rodata,"a",@progbits
	.p2align	6, 0x0
	.amdhsa_kernel _ZN9rocsparseL21csrmvn_general_kernelILj256ELj16Eii21rocsparse_complex_numIfES2_S2_S2_EEvbT2_NS_24const_host_device_scalarIT6_EEPKT1_S9_PKS3_PKT3_PKT4_S6_PT5_21rocsparse_index_base_b
		.amdhsa_group_segment_fixed_size 0
		.amdhsa_private_segment_fixed_size 0
		.amdhsa_kernarg_size 336
		.amdhsa_user_sgpr_count 6
		.amdhsa_user_sgpr_private_segment_buffer 1
		.amdhsa_user_sgpr_dispatch_ptr 0
		.amdhsa_user_sgpr_queue_ptr 0
		.amdhsa_user_sgpr_kernarg_segment_ptr 1
		.amdhsa_user_sgpr_dispatch_id 0
		.amdhsa_user_sgpr_flat_scratch_init 0
		.amdhsa_user_sgpr_kernarg_preload_length 0
		.amdhsa_user_sgpr_kernarg_preload_offset 0
		.amdhsa_user_sgpr_private_segment_size 0
		.amdhsa_uses_dynamic_stack 0
		.amdhsa_system_sgpr_private_segment_wavefront_offset 0
		.amdhsa_system_sgpr_workgroup_id_x 1
		.amdhsa_system_sgpr_workgroup_id_y 0
		.amdhsa_system_sgpr_workgroup_id_z 0
		.amdhsa_system_sgpr_workgroup_info 0
		.amdhsa_system_vgpr_workitem_id 0
		.amdhsa_next_free_vgpr 24
		.amdhsa_next_free_sgpr 27
		.amdhsa_accum_offset 24
		.amdhsa_reserve_vcc 1
		.amdhsa_reserve_flat_scratch 0
		.amdhsa_float_round_mode_32 0
		.amdhsa_float_round_mode_16_64 0
		.amdhsa_float_denorm_mode_32 3
		.amdhsa_float_denorm_mode_16_64 3
		.amdhsa_dx10_clamp 1
		.amdhsa_ieee_mode 1
		.amdhsa_fp16_overflow 0
		.amdhsa_tg_split 0
		.amdhsa_exception_fp_ieee_invalid_op 0
		.amdhsa_exception_fp_denorm_src 0
		.amdhsa_exception_fp_ieee_div_zero 0
		.amdhsa_exception_fp_ieee_overflow 0
		.amdhsa_exception_fp_ieee_underflow 0
		.amdhsa_exception_fp_ieee_inexact 0
		.amdhsa_exception_int_div_zero 0
	.end_amdhsa_kernel
	.section	.text._ZN9rocsparseL21csrmvn_general_kernelILj256ELj16Eii21rocsparse_complex_numIfES2_S2_S2_EEvbT2_NS_24const_host_device_scalarIT6_EEPKT1_S9_PKS3_PKT3_PKT4_S6_PT5_21rocsparse_index_base_b,"axG",@progbits,_ZN9rocsparseL21csrmvn_general_kernelILj256ELj16Eii21rocsparse_complex_numIfES2_S2_S2_EEvbT2_NS_24const_host_device_scalarIT6_EEPKT1_S9_PKS3_PKT3_PKT4_S6_PT5_21rocsparse_index_base_b,comdat
.Lfunc_end69:
	.size	_ZN9rocsparseL21csrmvn_general_kernelILj256ELj16Eii21rocsparse_complex_numIfES2_S2_S2_EEvbT2_NS_24const_host_device_scalarIT6_EEPKT1_S9_PKS3_PKT3_PKT4_S6_PT5_21rocsparse_index_base_b, .Lfunc_end69-_ZN9rocsparseL21csrmvn_general_kernelILj256ELj16Eii21rocsparse_complex_numIfES2_S2_S2_EEvbT2_NS_24const_host_device_scalarIT6_EEPKT1_S9_PKS3_PKT3_PKT4_S6_PT5_21rocsparse_index_base_b
                                        ; -- End function
	.section	.AMDGPU.csdata,"",@progbits
; Kernel info:
; codeLenInByte = 984
; NumSgprs: 31
; NumVgprs: 24
; NumAgprs: 0
; TotalNumVgprs: 24
; ScratchSize: 0
; MemoryBound: 0
; FloatMode: 240
; IeeeMode: 1
; LDSByteSize: 0 bytes/workgroup (compile time only)
; SGPRBlocks: 3
; VGPRBlocks: 2
; NumSGPRsForWavesPerEU: 31
; NumVGPRsForWavesPerEU: 24
; AccumOffset: 24
; Occupancy: 8
; WaveLimiterHint : 1
; COMPUTE_PGM_RSRC2:SCRATCH_EN: 0
; COMPUTE_PGM_RSRC2:USER_SGPR: 6
; COMPUTE_PGM_RSRC2:TRAP_HANDLER: 0
; COMPUTE_PGM_RSRC2:TGID_X_EN: 1
; COMPUTE_PGM_RSRC2:TGID_Y_EN: 0
; COMPUTE_PGM_RSRC2:TGID_Z_EN: 0
; COMPUTE_PGM_RSRC2:TIDIG_COMP_CNT: 0
; COMPUTE_PGM_RSRC3_GFX90A:ACCUM_OFFSET: 5
; COMPUTE_PGM_RSRC3_GFX90A:TG_SPLIT: 0
	.section	.text._ZN9rocsparseL21csrmvn_general_kernelILj256ELj32Eii21rocsparse_complex_numIfES2_S2_S2_EEvbT2_NS_24const_host_device_scalarIT6_EEPKT1_S9_PKS3_PKT3_PKT4_S6_PT5_21rocsparse_index_base_b,"axG",@progbits,_ZN9rocsparseL21csrmvn_general_kernelILj256ELj32Eii21rocsparse_complex_numIfES2_S2_S2_EEvbT2_NS_24const_host_device_scalarIT6_EEPKT1_S9_PKS3_PKT3_PKT4_S6_PT5_21rocsparse_index_base_b,comdat
	.globl	_ZN9rocsparseL21csrmvn_general_kernelILj256ELj32Eii21rocsparse_complex_numIfES2_S2_S2_EEvbT2_NS_24const_host_device_scalarIT6_EEPKT1_S9_PKS3_PKT3_PKT4_S6_PT5_21rocsparse_index_base_b ; -- Begin function _ZN9rocsparseL21csrmvn_general_kernelILj256ELj32Eii21rocsparse_complex_numIfES2_S2_S2_EEvbT2_NS_24const_host_device_scalarIT6_EEPKT1_S9_PKS3_PKT3_PKT4_S6_PT5_21rocsparse_index_base_b
	.p2align	8
	.type	_ZN9rocsparseL21csrmvn_general_kernelILj256ELj32Eii21rocsparse_complex_numIfES2_S2_S2_EEvbT2_NS_24const_host_device_scalarIT6_EEPKT1_S9_PKS3_PKT3_PKT4_S6_PT5_21rocsparse_index_base_b,@function
_ZN9rocsparseL21csrmvn_general_kernelILj256ELj32Eii21rocsparse_complex_numIfES2_S2_S2_EEvbT2_NS_24const_host_device_scalarIT6_EEPKT1_S9_PKS3_PKT3_PKT4_S6_PT5_21rocsparse_index_base_b: ; @_ZN9rocsparseL21csrmvn_general_kernelILj256ELj32Eii21rocsparse_complex_numIfES2_S2_S2_EEvbT2_NS_24const_host_device_scalarIT6_EEPKT1_S9_PKS3_PKT3_PKT4_S6_PT5_21rocsparse_index_base_b
; %bb.0:
	s_load_dwordx2 s[20:21], s[4:5], 0x48
	s_load_dwordx4 s[16:19], s[4:5], 0x8
	s_load_dwordx2 s[2:3], s[4:5], 0x38
	s_waitcnt lgkmcnt(0)
	s_bitcmp1_b32 s21, 0
	s_cselect_b64 s[0:1], -1, 0
	s_xor_b64 s[8:9], s[0:1], -1
	s_and_b64 vcc, exec, s[0:1]
	v_mov_b32_e32 v2, s16
	s_cbranch_vccnz .LBB70_2
; %bb.1:
	v_pk_mov_b32 v[2:3], s[16:17], s[16:17] op_sel:[0,1]
	flat_load_dword v2, v[2:3]
.LBB70_2:
	v_cndmask_b32_e64 v1, 0, 1, s[8:9]
	v_cmp_ne_u32_e64 s[0:1], 1, v1
	s_andn2_b64 vcc, exec, s[8:9]
	v_mov_b32_e32 v3, s17
	s_cbranch_vccz .LBB70_21
; %bb.3:
	s_and_b64 vcc, exec, s[0:1]
	v_mov_b32_e32 v4, s2
	s_cbranch_vccz .LBB70_22
.LBB70_4:
	s_and_b64 vcc, exec, s[0:1]
	v_mov_b32_e32 v5, s3
	s_cbranch_vccnz .LBB70_6
.LBB70_5:
	v_pk_mov_b32 v[6:7], s[2:3], s[2:3] op_sel:[0,1]
	flat_load_dword v5, v[6:7] offset:4
.LBB70_6:
	s_waitcnt vmcnt(0) lgkmcnt(0)
	v_and_b32_e32 v1, 0x7fffffff, v2
	v_cmp_eq_u32_e32 vcc, 0, v1
	v_cmp_eq_f32_e64 s[0:1], 0, v3
	s_and_b64 s[8:9], vcc, s[0:1]
	s_mov_b64 s[0:1], -1
	s_and_saveexec_b64 s[2:3], s[8:9]
; %bb.7:
	v_and_b32_e32 v1, 0x7fffffff, v5
	v_cmp_neq_f32_e32 vcc, 1.0, v4
	v_cmp_ne_u32_e64 s[0:1], 0, v1
	s_or_b64 s[0:1], vcc, s[0:1]
	s_orn2_b64 s[0:1], s[0:1], exec
; %bb.8:
	s_or_b64 exec, exec, s[2:3]
	s_and_saveexec_b64 s[2:3], s[0:1]
	s_cbranch_execz .LBB70_20
; %bb.9:
	s_load_dwordx2 s[16:17], s[4:5], 0x0
	v_lshl_or_b32 v1, s6, 8, v0
	v_lshrrev_b32_e32 v6, 5, v1
	s_waitcnt lgkmcnt(0)
	v_cmp_gt_i32_e32 vcc, s17, v6
	s_and_b64 exec, exec, vcc
	s_cbranch_execz .LBB70_20
; %bb.10:
	s_load_dword s0, s[4:5], 0x50
	s_load_dwordx2 s[6:7], s[4:5], 0x40
	s_load_dwordx8 s[8:15], s[4:5], 0x18
	v_and_b32_e32 v1, 31, v0
	v_subrev_u32_e32 v14, s20, v1
	s_waitcnt lgkmcnt(0)
	s_lshl_b32 s26, s0, 3
	s_bitcmp1_b32 s16, 0
	s_cselect_b64 s[4:5], -1, 0
	s_ashr_i32 s21, s20, 31
	s_lshl_b64 s[0:1], s[20:21], 3
	s_sub_u32 s16, s14, s0
	v_cmp_eq_u32_e32 vcc, 31, v1
	v_and_b32_e32 v1, 0x7fffffff, v4
	s_subb_u32 s21, s15, s1
	v_cmp_ne_u32_e64 s[0:1], 0, v1
	v_cmp_neq_f32_e64 s[2:3], 0, v5
	v_xor_b32_e32 v0, 0x80000000, v3
	s_or_b64 s[2:3], s[0:1], s[2:3]
	v_xor_b32_e32 v8, 0x80000000, v5
	v_mov_b32_e32 v9, v4
	v_mov_b32_e32 v1, v2
	s_mov_b64 s[14:15], 0
	v_mov_b32_e32 v15, s19
	v_mov_b32_e32 v16, s9
	s_branch .LBB70_13
.LBB70_11:                              ;   in Loop: Header=BB70_13 Depth=1
	s_or_b64 exec, exec, s[0:1]
	global_store_dwordx2 v[12:13], v[10:11], off
.LBB70_12:                              ;   in Loop: Header=BB70_13 Depth=1
	s_or_b64 exec, exec, s[22:23]
	v_add_u32_e32 v6, s26, v6
	v_cmp_le_i32_e64 s[0:1], s17, v6
	s_or_b64 s[14:15], s[0:1], s[14:15]
	s_andn2_b64 exec, exec, s[14:15]
	s_cbranch_execz .LBB70_20
.LBB70_13:                              ; =>This Loop Header: Depth=1
                                        ;     Child Loop BB70_15 Depth 2
	v_ashrrev_i32_e32 v7, 31, v6
	v_lshlrev_b64 v[10:11], 2, v[6:7]
	v_add_co_u32_e64 v12, s[0:1], s18, v10
	v_addc_co_u32_e64 v13, s[0:1], v15, v11, s[0:1]
	v_add_co_u32_e64 v10, s[0:1], s8, v10
	v_addc_co_u32_e64 v11, s[0:1], v16, v11, s[0:1]
	global_load_dword v17, v[10:11], off
	global_load_dword v18, v[12:13], off
	v_mov_b32_e32 v11, 0
	v_mov_b32_e32 v10, v11
	s_waitcnt vmcnt(1)
	v_subrev_u32_e32 v17, s20, v17
	s_waitcnt vmcnt(0)
	v_add_u32_e32 v12, v18, v14
	v_cmp_lt_i32_e64 s[0:1], v12, v17
	s_and_saveexec_b64 s[22:23], s[0:1]
	s_cbranch_execz .LBB70_17
; %bb.14:                               ;   in Loop: Header=BB70_13 Depth=1
	v_mov_b32_e32 v11, 0
	s_mov_b64 s[24:25], 0
	v_mov_b32_e32 v10, v11
.LBB70_15:                              ;   Parent Loop BB70_13 Depth=1
                                        ; =>  This Inner Loop Header: Depth=2
	v_ashrrev_i32_e32 v13, 31, v12
	v_lshlrev_b64 v[18:19], 2, v[12:13]
	v_mov_b32_e32 v20, s11
	v_add_co_u32_e64 v18, s[0:1], s10, v18
	v_addc_co_u32_e64 v19, s[0:1], v20, v19, s[0:1]
	global_load_dword v18, v[18:19], off
	v_lshlrev_b64 v[20:21], 3, v[12:13]
	v_mov_b32_e32 v19, s13
	v_add_co_u32_e64 v20, s[0:1], s12, v20
	v_addc_co_u32_e64 v21, s[0:1], v19, v21, s[0:1]
	global_load_dwordx2 v[20:21], v[20:21], off
	v_mov_b32_e32 v22, s21
	v_add_u32_e32 v12, 32, v12
	s_waitcnt vmcnt(1)
	v_ashrrev_i32_e32 v19, 31, v18
	v_lshlrev_b64 v[18:19], 3, v[18:19]
	v_add_co_u32_e64 v18, s[0:1], s16, v18
	v_addc_co_u32_e64 v19, s[0:1], v22, v19, s[0:1]
	global_load_dwordx2 v[18:19], v[18:19], off
	s_waitcnt vmcnt(1)
	v_cndmask_b32_e64 v22, v21, -v21, s[4:5]
	v_pk_mul_f32 v[22:23], v[22:23], v[0:1] op_sel_hi:[0,1]
	v_pk_fma_f32 v[20:21], v[2:3], v[20:21], v[22:23] op_sel_hi:[1,0,1]
	v_cmp_ge_i32_e64 s[0:1], v12, v17
	s_or_b64 s[24:25], s[0:1], s[24:25]
	s_waitcnt vmcnt(0)
	v_pk_fma_f32 v[10:11], v[20:21], v[18:19], v[10:11] op_sel_hi:[1,0,1]
	v_pk_fma_f32 v[10:11], v[20:21], v[18:19], v[10:11] op_sel:[1,1,0] op_sel_hi:[0,1,1] neg_lo:[1,0,0]
	s_andn2_b64 exec, exec, s[24:25]
	s_cbranch_execnz .LBB70_15
; %bb.16:                               ;   in Loop: Header=BB70_13 Depth=1
	s_or_b64 exec, exec, s[24:25]
.LBB70_17:                              ;   in Loop: Header=BB70_13 Depth=1
	s_or_b64 exec, exec, s[22:23]
	v_mov_b32_dpp v12, v10 row_shr:1 row_mask:0xf bank_mask:0xf
	v_mov_b32_dpp v13, v11 row_shr:1 row_mask:0xf bank_mask:0xf
	v_pk_add_f32 v[10:11], v[10:11], v[12:13]
	s_nop 1
	v_mov_b32_dpp v12, v10 row_shr:2 row_mask:0xf bank_mask:0xf
	v_mov_b32_dpp v13, v11 row_shr:2 row_mask:0xf bank_mask:0xf
	v_pk_add_f32 v[10:11], v[10:11], v[12:13]
	s_nop 1
	;; [unrolled: 4-line block ×4, first 2 shown]
	v_mov_b32_dpp v12, v10 row_bcast:15 row_mask:0xa bank_mask:0xf
	v_mov_b32_dpp v13, v11 row_bcast:15 row_mask:0xa bank_mask:0xf
	s_and_saveexec_b64 s[22:23], vcc
	s_cbranch_execz .LBB70_12
; %bb.18:                               ;   in Loop: Header=BB70_13 Depth=1
	v_pk_add_f32 v[10:11], v[10:11], v[12:13]
	v_lshlrev_b64 v[12:13], 3, v[6:7]
	v_mov_b32_e32 v7, s7
	v_add_co_u32_e64 v12, s[0:1], s6, v12
	v_addc_co_u32_e64 v13, s[0:1], v7, v13, s[0:1]
	s_and_saveexec_b64 s[0:1], s[2:3]
	s_cbranch_execz .LBB70_11
; %bb.19:                               ;   in Loop: Header=BB70_13 Depth=1
	global_load_dwordx2 v[18:19], v[12:13], off
	s_waitcnt vmcnt(0)
	v_pk_fma_f32 v[10:11], v[4:5], v[18:19], v[10:11] op_sel_hi:[1,0,1]
	v_pk_fma_f32 v[10:11], v[8:9], v[18:19], v[10:11] op_sel:[0,1,0]
	s_branch .LBB70_11
.LBB70_20:
	s_endpgm
.LBB70_21:
	v_pk_mov_b32 v[4:5], s[16:17], s[16:17] op_sel:[0,1]
	flat_load_dword v3, v[4:5] offset:4
	s_and_b64 vcc, exec, s[0:1]
	v_mov_b32_e32 v4, s2
	s_cbranch_vccnz .LBB70_4
.LBB70_22:
	v_pk_mov_b32 v[4:5], s[2:3], s[2:3] op_sel:[0,1]
	flat_load_dword v4, v[4:5]
	s_and_b64 vcc, exec, s[0:1]
	v_mov_b32_e32 v5, s3
	s_cbranch_vccz .LBB70_5
	s_branch .LBB70_6
	.section	.rodata,"a",@progbits
	.p2align	6, 0x0
	.amdhsa_kernel _ZN9rocsparseL21csrmvn_general_kernelILj256ELj32Eii21rocsparse_complex_numIfES2_S2_S2_EEvbT2_NS_24const_host_device_scalarIT6_EEPKT1_S9_PKS3_PKT3_PKT4_S6_PT5_21rocsparse_index_base_b
		.amdhsa_group_segment_fixed_size 0
		.amdhsa_private_segment_fixed_size 0
		.amdhsa_kernarg_size 336
		.amdhsa_user_sgpr_count 6
		.amdhsa_user_sgpr_private_segment_buffer 1
		.amdhsa_user_sgpr_dispatch_ptr 0
		.amdhsa_user_sgpr_queue_ptr 0
		.amdhsa_user_sgpr_kernarg_segment_ptr 1
		.amdhsa_user_sgpr_dispatch_id 0
		.amdhsa_user_sgpr_flat_scratch_init 0
		.amdhsa_user_sgpr_kernarg_preload_length 0
		.amdhsa_user_sgpr_kernarg_preload_offset 0
		.amdhsa_user_sgpr_private_segment_size 0
		.amdhsa_uses_dynamic_stack 0
		.amdhsa_system_sgpr_private_segment_wavefront_offset 0
		.amdhsa_system_sgpr_workgroup_id_x 1
		.amdhsa_system_sgpr_workgroup_id_y 0
		.amdhsa_system_sgpr_workgroup_id_z 0
		.amdhsa_system_sgpr_workgroup_info 0
		.amdhsa_system_vgpr_workitem_id 0
		.amdhsa_next_free_vgpr 24
		.amdhsa_next_free_sgpr 27
		.amdhsa_accum_offset 24
		.amdhsa_reserve_vcc 1
		.amdhsa_reserve_flat_scratch 0
		.amdhsa_float_round_mode_32 0
		.amdhsa_float_round_mode_16_64 0
		.amdhsa_float_denorm_mode_32 3
		.amdhsa_float_denorm_mode_16_64 3
		.amdhsa_dx10_clamp 1
		.amdhsa_ieee_mode 1
		.amdhsa_fp16_overflow 0
		.amdhsa_tg_split 0
		.amdhsa_exception_fp_ieee_invalid_op 0
		.amdhsa_exception_fp_denorm_src 0
		.amdhsa_exception_fp_ieee_div_zero 0
		.amdhsa_exception_fp_ieee_overflow 0
		.amdhsa_exception_fp_ieee_underflow 0
		.amdhsa_exception_fp_ieee_inexact 0
		.amdhsa_exception_int_div_zero 0
	.end_amdhsa_kernel
	.section	.text._ZN9rocsparseL21csrmvn_general_kernelILj256ELj32Eii21rocsparse_complex_numIfES2_S2_S2_EEvbT2_NS_24const_host_device_scalarIT6_EEPKT1_S9_PKS3_PKT3_PKT4_S6_PT5_21rocsparse_index_base_b,"axG",@progbits,_ZN9rocsparseL21csrmvn_general_kernelILj256ELj32Eii21rocsparse_complex_numIfES2_S2_S2_EEvbT2_NS_24const_host_device_scalarIT6_EEPKT1_S9_PKS3_PKT3_PKT4_S6_PT5_21rocsparse_index_base_b,comdat
.Lfunc_end70:
	.size	_ZN9rocsparseL21csrmvn_general_kernelILj256ELj32Eii21rocsparse_complex_numIfES2_S2_S2_EEvbT2_NS_24const_host_device_scalarIT6_EEPKT1_S9_PKS3_PKT3_PKT4_S6_PT5_21rocsparse_index_base_b, .Lfunc_end70-_ZN9rocsparseL21csrmvn_general_kernelILj256ELj32Eii21rocsparse_complex_numIfES2_S2_S2_EEvbT2_NS_24const_host_device_scalarIT6_EEPKT1_S9_PKS3_PKT3_PKT4_S6_PT5_21rocsparse_index_base_b
                                        ; -- End function
	.section	.AMDGPU.csdata,"",@progbits
; Kernel info:
; codeLenInByte = 1012
; NumSgprs: 31
; NumVgprs: 24
; NumAgprs: 0
; TotalNumVgprs: 24
; ScratchSize: 0
; MemoryBound: 0
; FloatMode: 240
; IeeeMode: 1
; LDSByteSize: 0 bytes/workgroup (compile time only)
; SGPRBlocks: 3
; VGPRBlocks: 2
; NumSGPRsForWavesPerEU: 31
; NumVGPRsForWavesPerEU: 24
; AccumOffset: 24
; Occupancy: 8
; WaveLimiterHint : 1
; COMPUTE_PGM_RSRC2:SCRATCH_EN: 0
; COMPUTE_PGM_RSRC2:USER_SGPR: 6
; COMPUTE_PGM_RSRC2:TRAP_HANDLER: 0
; COMPUTE_PGM_RSRC2:TGID_X_EN: 1
; COMPUTE_PGM_RSRC2:TGID_Y_EN: 0
; COMPUTE_PGM_RSRC2:TGID_Z_EN: 0
; COMPUTE_PGM_RSRC2:TIDIG_COMP_CNT: 0
; COMPUTE_PGM_RSRC3_GFX90A:ACCUM_OFFSET: 5
; COMPUTE_PGM_RSRC3_GFX90A:TG_SPLIT: 0
	.section	.text._ZN9rocsparseL21csrmvn_general_kernelILj256ELj64Eii21rocsparse_complex_numIfES2_S2_S2_EEvbT2_NS_24const_host_device_scalarIT6_EEPKT1_S9_PKS3_PKT3_PKT4_S6_PT5_21rocsparse_index_base_b,"axG",@progbits,_ZN9rocsparseL21csrmvn_general_kernelILj256ELj64Eii21rocsparse_complex_numIfES2_S2_S2_EEvbT2_NS_24const_host_device_scalarIT6_EEPKT1_S9_PKS3_PKT3_PKT4_S6_PT5_21rocsparse_index_base_b,comdat
	.globl	_ZN9rocsparseL21csrmvn_general_kernelILj256ELj64Eii21rocsparse_complex_numIfES2_S2_S2_EEvbT2_NS_24const_host_device_scalarIT6_EEPKT1_S9_PKS3_PKT3_PKT4_S6_PT5_21rocsparse_index_base_b ; -- Begin function _ZN9rocsparseL21csrmvn_general_kernelILj256ELj64Eii21rocsparse_complex_numIfES2_S2_S2_EEvbT2_NS_24const_host_device_scalarIT6_EEPKT1_S9_PKS3_PKT3_PKT4_S6_PT5_21rocsparse_index_base_b
	.p2align	8
	.type	_ZN9rocsparseL21csrmvn_general_kernelILj256ELj64Eii21rocsparse_complex_numIfES2_S2_S2_EEvbT2_NS_24const_host_device_scalarIT6_EEPKT1_S9_PKS3_PKT3_PKT4_S6_PT5_21rocsparse_index_base_b,@function
_ZN9rocsparseL21csrmvn_general_kernelILj256ELj64Eii21rocsparse_complex_numIfES2_S2_S2_EEvbT2_NS_24const_host_device_scalarIT6_EEPKT1_S9_PKS3_PKT3_PKT4_S6_PT5_21rocsparse_index_base_b: ; @_ZN9rocsparseL21csrmvn_general_kernelILj256ELj64Eii21rocsparse_complex_numIfES2_S2_S2_EEvbT2_NS_24const_host_device_scalarIT6_EEPKT1_S9_PKS3_PKT3_PKT4_S6_PT5_21rocsparse_index_base_b
; %bb.0:
	s_load_dwordx2 s[20:21], s[4:5], 0x48
	s_load_dwordx4 s[16:19], s[4:5], 0x8
	s_load_dwordx2 s[2:3], s[4:5], 0x38
	s_waitcnt lgkmcnt(0)
	s_bitcmp1_b32 s21, 0
	s_cselect_b64 s[0:1], -1, 0
	s_xor_b64 s[8:9], s[0:1], -1
	s_and_b64 vcc, exec, s[0:1]
	v_mov_b32_e32 v2, s16
	s_cbranch_vccnz .LBB71_2
; %bb.1:
	v_pk_mov_b32 v[2:3], s[16:17], s[16:17] op_sel:[0,1]
	flat_load_dword v2, v[2:3]
.LBB71_2:
	v_cndmask_b32_e64 v1, 0, 1, s[8:9]
	v_cmp_ne_u32_e64 s[0:1], 1, v1
	s_andn2_b64 vcc, exec, s[8:9]
	v_mov_b32_e32 v3, s17
	s_cbranch_vccz .LBB71_21
; %bb.3:
	s_and_b64 vcc, exec, s[0:1]
	v_mov_b32_e32 v4, s2
	s_cbranch_vccz .LBB71_22
.LBB71_4:
	s_and_b64 vcc, exec, s[0:1]
	v_mov_b32_e32 v5, s3
	s_cbranch_vccnz .LBB71_6
.LBB71_5:
	v_pk_mov_b32 v[6:7], s[2:3], s[2:3] op_sel:[0,1]
	flat_load_dword v5, v[6:7] offset:4
.LBB71_6:
	s_waitcnt vmcnt(0) lgkmcnt(0)
	v_and_b32_e32 v1, 0x7fffffff, v2
	v_cmp_eq_u32_e32 vcc, 0, v1
	v_cmp_eq_f32_e64 s[0:1], 0, v3
	s_and_b64 s[8:9], vcc, s[0:1]
	s_mov_b64 s[0:1], -1
	s_and_saveexec_b64 s[2:3], s[8:9]
; %bb.7:
	v_and_b32_e32 v1, 0x7fffffff, v5
	v_cmp_neq_f32_e32 vcc, 1.0, v4
	v_cmp_ne_u32_e64 s[0:1], 0, v1
	s_or_b64 s[0:1], vcc, s[0:1]
	s_orn2_b64 s[0:1], s[0:1], exec
; %bb.8:
	s_or_b64 exec, exec, s[2:3]
	s_and_saveexec_b64 s[2:3], s[0:1]
	s_cbranch_execz .LBB71_20
; %bb.9:
	s_load_dwordx2 s[16:17], s[4:5], 0x0
	v_lshl_or_b32 v1, s6, 8, v0
	v_lshrrev_b32_e32 v6, 6, v1
	s_waitcnt lgkmcnt(0)
	v_cmp_gt_i32_e32 vcc, s17, v6
	s_and_b64 exec, exec, vcc
	s_cbranch_execz .LBB71_20
; %bb.10:
	s_load_dword s0, s[4:5], 0x50
	s_load_dwordx2 s[6:7], s[4:5], 0x40
	s_load_dwordx8 s[8:15], s[4:5], 0x18
	v_and_b32_e32 v1, 63, v0
	v_subrev_u32_e32 v14, s20, v1
	s_waitcnt lgkmcnt(0)
	s_lshl_b32 s26, s0, 2
	s_bitcmp1_b32 s16, 0
	s_cselect_b64 s[4:5], -1, 0
	s_ashr_i32 s21, s20, 31
	s_lshl_b64 s[0:1], s[20:21], 3
	s_sub_u32 s16, s14, s0
	v_cmp_eq_u32_e32 vcc, 63, v1
	v_and_b32_e32 v1, 0x7fffffff, v4
	s_subb_u32 s21, s15, s1
	v_cmp_ne_u32_e64 s[0:1], 0, v1
	v_cmp_neq_f32_e64 s[2:3], 0, v5
	v_xor_b32_e32 v0, 0x80000000, v3
	s_or_b64 s[2:3], s[0:1], s[2:3]
	v_xor_b32_e32 v8, 0x80000000, v5
	v_mov_b32_e32 v9, v4
	v_mov_b32_e32 v1, v2
	s_mov_b64 s[14:15], 0
	v_mov_b32_e32 v15, s19
	v_mov_b32_e32 v16, s9
	s_branch .LBB71_13
.LBB71_11:                              ;   in Loop: Header=BB71_13 Depth=1
	s_or_b64 exec, exec, s[0:1]
	global_store_dwordx2 v[12:13], v[10:11], off
.LBB71_12:                              ;   in Loop: Header=BB71_13 Depth=1
	s_or_b64 exec, exec, s[22:23]
	v_add_u32_e32 v6, s26, v6
	v_cmp_le_i32_e64 s[0:1], s17, v6
	s_or_b64 s[14:15], s[0:1], s[14:15]
	s_andn2_b64 exec, exec, s[14:15]
	s_cbranch_execz .LBB71_20
.LBB71_13:                              ; =>This Loop Header: Depth=1
                                        ;     Child Loop BB71_15 Depth 2
	v_ashrrev_i32_e32 v7, 31, v6
	v_lshlrev_b64 v[10:11], 2, v[6:7]
	v_add_co_u32_e64 v12, s[0:1], s18, v10
	v_addc_co_u32_e64 v13, s[0:1], v15, v11, s[0:1]
	v_add_co_u32_e64 v10, s[0:1], s8, v10
	v_addc_co_u32_e64 v11, s[0:1], v16, v11, s[0:1]
	global_load_dword v17, v[10:11], off
	global_load_dword v18, v[12:13], off
	v_mov_b32_e32 v11, 0
	v_mov_b32_e32 v10, v11
	s_waitcnt vmcnt(1)
	v_subrev_u32_e32 v17, s20, v17
	s_waitcnt vmcnt(0)
	v_add_u32_e32 v12, v18, v14
	v_cmp_lt_i32_e64 s[0:1], v12, v17
	s_and_saveexec_b64 s[22:23], s[0:1]
	s_cbranch_execz .LBB71_17
; %bb.14:                               ;   in Loop: Header=BB71_13 Depth=1
	v_mov_b32_e32 v10, 0
	s_mov_b64 s[24:25], 0
	v_mov_b32_e32 v11, v10
.LBB71_15:                              ;   Parent Loop BB71_13 Depth=1
                                        ; =>  This Inner Loop Header: Depth=2
	v_ashrrev_i32_e32 v13, 31, v12
	v_lshlrev_b64 v[18:19], 2, v[12:13]
	v_mov_b32_e32 v20, s11
	v_add_co_u32_e64 v18, s[0:1], s10, v18
	v_addc_co_u32_e64 v19, s[0:1], v20, v19, s[0:1]
	global_load_dword v18, v[18:19], off
	v_lshlrev_b64 v[20:21], 3, v[12:13]
	v_mov_b32_e32 v19, s13
	v_add_co_u32_e64 v20, s[0:1], s12, v20
	v_addc_co_u32_e64 v21, s[0:1], v19, v21, s[0:1]
	global_load_dwordx2 v[20:21], v[20:21], off
	v_mov_b32_e32 v22, s21
	v_add_u32_e32 v12, 64, v12
	s_waitcnt vmcnt(1)
	v_ashrrev_i32_e32 v19, 31, v18
	v_lshlrev_b64 v[18:19], 3, v[18:19]
	v_add_co_u32_e64 v18, s[0:1], s16, v18
	v_addc_co_u32_e64 v19, s[0:1], v22, v19, s[0:1]
	global_load_dwordx2 v[18:19], v[18:19], off
	s_waitcnt vmcnt(1)
	v_cndmask_b32_e64 v22, v21, -v21, s[4:5]
	v_pk_mul_f32 v[22:23], v[22:23], v[0:1] op_sel_hi:[0,1]
	v_pk_fma_f32 v[20:21], v[2:3], v[20:21], v[22:23] op_sel_hi:[1,0,1]
	v_cmp_ge_i32_e64 s[0:1], v12, v17
	s_or_b64 s[24:25], s[0:1], s[24:25]
	s_waitcnt vmcnt(0)
	v_pk_fma_f32 v[10:11], v[20:21], v[18:19], v[10:11] op_sel_hi:[1,0,1]
	v_pk_fma_f32 v[10:11], v[20:21], v[18:19], v[10:11] op_sel:[1,1,0] op_sel_hi:[0,1,1] neg_lo:[1,0,0]
	s_andn2_b64 exec, exec, s[24:25]
	s_cbranch_execnz .LBB71_15
; %bb.16:                               ;   in Loop: Header=BB71_13 Depth=1
	s_or_b64 exec, exec, s[24:25]
.LBB71_17:                              ;   in Loop: Header=BB71_13 Depth=1
	s_or_b64 exec, exec, s[22:23]
	v_mov_b32_dpp v12, v10 row_shr:1 row_mask:0xf bank_mask:0xf
	v_mov_b32_dpp v13, v11 row_shr:1 row_mask:0xf bank_mask:0xf
	v_pk_add_f32 v[10:11], v[10:11], v[12:13]
	s_nop 1
	v_mov_b32_dpp v12, v10 row_shr:2 row_mask:0xf bank_mask:0xf
	v_mov_b32_dpp v13, v11 row_shr:2 row_mask:0xf bank_mask:0xf
	v_pk_add_f32 v[10:11], v[10:11], v[12:13]
	s_nop 1
	;; [unrolled: 4-line block ×4, first 2 shown]
	v_mov_b32_dpp v12, v10 row_bcast:15 row_mask:0xa bank_mask:0xf
	v_mov_b32_dpp v13, v11 row_bcast:15 row_mask:0xa bank_mask:0xf
	v_pk_add_f32 v[10:11], v[10:11], v[12:13]
	s_nop 1
	v_mov_b32_dpp v12, v10 row_bcast:31 row_mask:0xc bank_mask:0xf
	v_mov_b32_dpp v13, v11 row_bcast:31 row_mask:0xc bank_mask:0xf
	s_and_saveexec_b64 s[22:23], vcc
	s_cbranch_execz .LBB71_12
; %bb.18:                               ;   in Loop: Header=BB71_13 Depth=1
	v_pk_add_f32 v[10:11], v[10:11], v[12:13]
	v_lshlrev_b64 v[12:13], 3, v[6:7]
	v_mov_b32_e32 v7, s7
	v_add_co_u32_e64 v12, s[0:1], s6, v12
	v_addc_co_u32_e64 v13, s[0:1], v7, v13, s[0:1]
	s_and_saveexec_b64 s[0:1], s[2:3]
	s_cbranch_execz .LBB71_11
; %bb.19:                               ;   in Loop: Header=BB71_13 Depth=1
	global_load_dwordx2 v[18:19], v[12:13], off
	s_waitcnt vmcnt(0)
	v_pk_fma_f32 v[10:11], v[4:5], v[18:19], v[10:11] op_sel_hi:[1,0,1]
	v_pk_fma_f32 v[10:11], v[8:9], v[18:19], v[10:11] op_sel:[0,1,0]
	s_branch .LBB71_11
.LBB71_20:
	s_endpgm
.LBB71_21:
	v_pk_mov_b32 v[4:5], s[16:17], s[16:17] op_sel:[0,1]
	flat_load_dword v3, v[4:5] offset:4
	s_and_b64 vcc, exec, s[0:1]
	v_mov_b32_e32 v4, s2
	s_cbranch_vccnz .LBB71_4
.LBB71_22:
	v_pk_mov_b32 v[4:5], s[2:3], s[2:3] op_sel:[0,1]
	flat_load_dword v4, v[4:5]
	s_and_b64 vcc, exec, s[0:1]
	v_mov_b32_e32 v5, s3
	s_cbranch_vccz .LBB71_5
	s_branch .LBB71_6
	.section	.rodata,"a",@progbits
	.p2align	6, 0x0
	.amdhsa_kernel _ZN9rocsparseL21csrmvn_general_kernelILj256ELj64Eii21rocsparse_complex_numIfES2_S2_S2_EEvbT2_NS_24const_host_device_scalarIT6_EEPKT1_S9_PKS3_PKT3_PKT4_S6_PT5_21rocsparse_index_base_b
		.amdhsa_group_segment_fixed_size 0
		.amdhsa_private_segment_fixed_size 0
		.amdhsa_kernarg_size 336
		.amdhsa_user_sgpr_count 6
		.amdhsa_user_sgpr_private_segment_buffer 1
		.amdhsa_user_sgpr_dispatch_ptr 0
		.amdhsa_user_sgpr_queue_ptr 0
		.amdhsa_user_sgpr_kernarg_segment_ptr 1
		.amdhsa_user_sgpr_dispatch_id 0
		.amdhsa_user_sgpr_flat_scratch_init 0
		.amdhsa_user_sgpr_kernarg_preload_length 0
		.amdhsa_user_sgpr_kernarg_preload_offset 0
		.amdhsa_user_sgpr_private_segment_size 0
		.amdhsa_uses_dynamic_stack 0
		.amdhsa_system_sgpr_private_segment_wavefront_offset 0
		.amdhsa_system_sgpr_workgroup_id_x 1
		.amdhsa_system_sgpr_workgroup_id_y 0
		.amdhsa_system_sgpr_workgroup_id_z 0
		.amdhsa_system_sgpr_workgroup_info 0
		.amdhsa_system_vgpr_workitem_id 0
		.amdhsa_next_free_vgpr 24
		.amdhsa_next_free_sgpr 27
		.amdhsa_accum_offset 24
		.amdhsa_reserve_vcc 1
		.amdhsa_reserve_flat_scratch 0
		.amdhsa_float_round_mode_32 0
		.amdhsa_float_round_mode_16_64 0
		.amdhsa_float_denorm_mode_32 3
		.amdhsa_float_denorm_mode_16_64 3
		.amdhsa_dx10_clamp 1
		.amdhsa_ieee_mode 1
		.amdhsa_fp16_overflow 0
		.amdhsa_tg_split 0
		.amdhsa_exception_fp_ieee_invalid_op 0
		.amdhsa_exception_fp_denorm_src 0
		.amdhsa_exception_fp_ieee_div_zero 0
		.amdhsa_exception_fp_ieee_overflow 0
		.amdhsa_exception_fp_ieee_underflow 0
		.amdhsa_exception_fp_ieee_inexact 0
		.amdhsa_exception_int_div_zero 0
	.end_amdhsa_kernel
	.section	.text._ZN9rocsparseL21csrmvn_general_kernelILj256ELj64Eii21rocsparse_complex_numIfES2_S2_S2_EEvbT2_NS_24const_host_device_scalarIT6_EEPKT1_S9_PKS3_PKT3_PKT4_S6_PT5_21rocsparse_index_base_b,"axG",@progbits,_ZN9rocsparseL21csrmvn_general_kernelILj256ELj64Eii21rocsparse_complex_numIfES2_S2_S2_EEvbT2_NS_24const_host_device_scalarIT6_EEPKT1_S9_PKS3_PKT3_PKT4_S6_PT5_21rocsparse_index_base_b,comdat
.Lfunc_end71:
	.size	_ZN9rocsparseL21csrmvn_general_kernelILj256ELj64Eii21rocsparse_complex_numIfES2_S2_S2_EEvbT2_NS_24const_host_device_scalarIT6_EEPKT1_S9_PKS3_PKT3_PKT4_S6_PT5_21rocsparse_index_base_b, .Lfunc_end71-_ZN9rocsparseL21csrmvn_general_kernelILj256ELj64Eii21rocsparse_complex_numIfES2_S2_S2_EEvbT2_NS_24const_host_device_scalarIT6_EEPKT1_S9_PKS3_PKT3_PKT4_S6_PT5_21rocsparse_index_base_b
                                        ; -- End function
	.section	.AMDGPU.csdata,"",@progbits
; Kernel info:
; codeLenInByte = 1040
; NumSgprs: 31
; NumVgprs: 24
; NumAgprs: 0
; TotalNumVgprs: 24
; ScratchSize: 0
; MemoryBound: 0
; FloatMode: 240
; IeeeMode: 1
; LDSByteSize: 0 bytes/workgroup (compile time only)
; SGPRBlocks: 3
; VGPRBlocks: 2
; NumSGPRsForWavesPerEU: 31
; NumVGPRsForWavesPerEU: 24
; AccumOffset: 24
; Occupancy: 8
; WaveLimiterHint : 1
; COMPUTE_PGM_RSRC2:SCRATCH_EN: 0
; COMPUTE_PGM_RSRC2:USER_SGPR: 6
; COMPUTE_PGM_RSRC2:TRAP_HANDLER: 0
; COMPUTE_PGM_RSRC2:TGID_X_EN: 1
; COMPUTE_PGM_RSRC2:TGID_Y_EN: 0
; COMPUTE_PGM_RSRC2:TGID_Z_EN: 0
; COMPUTE_PGM_RSRC2:TIDIG_COMP_CNT: 0
; COMPUTE_PGM_RSRC3_GFX90A:ACCUM_OFFSET: 5
; COMPUTE_PGM_RSRC3_GFX90A:TG_SPLIT: 0
	.section	.text._ZN9rocsparseL21csrmvt_general_kernelILj256ELj4Eii21rocsparse_complex_numIfES2_S2_S2_EEvbbT2_NS_24const_host_device_scalarIT6_EEPKT1_S9_PKS3_PKT3_PKT4_PT5_21rocsparse_index_base_b,"axG",@progbits,_ZN9rocsparseL21csrmvt_general_kernelILj256ELj4Eii21rocsparse_complex_numIfES2_S2_S2_EEvbbT2_NS_24const_host_device_scalarIT6_EEPKT1_S9_PKS3_PKT3_PKT4_PT5_21rocsparse_index_base_b,comdat
	.globl	_ZN9rocsparseL21csrmvt_general_kernelILj256ELj4Eii21rocsparse_complex_numIfES2_S2_S2_EEvbbT2_NS_24const_host_device_scalarIT6_EEPKT1_S9_PKS3_PKT3_PKT4_PT5_21rocsparse_index_base_b ; -- Begin function _ZN9rocsparseL21csrmvt_general_kernelILj256ELj4Eii21rocsparse_complex_numIfES2_S2_S2_EEvbbT2_NS_24const_host_device_scalarIT6_EEPKT1_S9_PKS3_PKT3_PKT4_PT5_21rocsparse_index_base_b
	.p2align	8
	.type	_ZN9rocsparseL21csrmvt_general_kernelILj256ELj4Eii21rocsparse_complex_numIfES2_S2_S2_EEvbbT2_NS_24const_host_device_scalarIT6_EEPKT1_S9_PKS3_PKT3_PKT4_PT5_21rocsparse_index_base_b,@function
_ZN9rocsparseL21csrmvt_general_kernelILj256ELj4Eii21rocsparse_complex_numIfES2_S2_S2_EEvbbT2_NS_24const_host_device_scalarIT6_EEPKT1_S9_PKS3_PKT3_PKT4_PT5_21rocsparse_index_base_b: ; @_ZN9rocsparseL21csrmvt_general_kernelILj256ELj4Eii21rocsparse_complex_numIfES2_S2_S2_EEvbbT2_NS_24const_host_device_scalarIT6_EEPKT1_S9_PKS3_PKT3_PKT4_PT5_21rocsparse_index_base_b
; %bb.0:
	s_load_dwordx2 s[20:21], s[4:5], 0x40
	s_load_dwordx4 s[16:19], s[4:5], 0x0
	s_load_dwordx4 s[0:3], s[4:5], 0x8
	s_waitcnt lgkmcnt(0)
	s_bitcmp1_b32 s21, 0
	s_cselect_b64 s[10:11], -1, 0
	s_xor_b64 s[8:9], s[10:11], -1
	s_and_b64 vcc, exec, s[10:11]
	v_mov_b32_e32 v12, s18
	s_cbranch_vccnz .LBB72_2
; %bb.1:
	v_pk_mov_b32 v[2:3], s[0:1], s[0:1] op_sel:[0,1]
	flat_load_dword v12, v[2:3]
.LBB72_2:
	s_andn2_b64 vcc, exec, s[8:9]
	v_mov_b32_e32 v13, s19
	s_cbranch_vccnz .LBB72_4
; %bb.3:
	v_pk_mov_b32 v[2:3], s[0:1], s[0:1] op_sel:[0,1]
	flat_load_dword v13, v[2:3] offset:4
.LBB72_4:
	s_waitcnt vmcnt(0) lgkmcnt(0)
	v_cmp_neq_f32_e32 vcc, 0, v12
	v_cmp_neq_f32_e64 s[0:1], 0, v13
	s_or_b64 s[0:1], vcc, s[0:1]
	s_and_saveexec_b64 s[8:9], s[0:1]
	s_cbranch_execz .LBB72_29
; %bb.5:
	s_load_dword s0, s[4:5], 0x0
	s_load_dwordx2 s[18:19], s[4:5], 0x38
	s_load_dword s1, s[4:5], 0x48
	s_load_dwordx8 s[8:15], s[4:5], 0x18
	v_and_b32_e32 v1, 3, v0
	s_waitcnt lgkmcnt(0)
	s_and_b32 s0, s0, 1
	s_bitcmp1_b32 s16, 8
	v_lshl_or_b32 v0, s6, 8, v0
	s_cselect_b64 s[4:5], -1, 0
	s_lshl_b32 s16, s1, 6
	v_lshrrev_b32_e32 v0, 2, v0
	s_cmp_eq_u32 s0, 0
	v_cmp_gt_i32_e64 s[0:1], s17, v0
	s_mov_b64 s[6:7], -1
	s_cbranch_scc0 .LBB72_17
; %bb.6:
	s_and_saveexec_b64 s[6:7], s[0:1]
	s_cbranch_execz .LBB72_16
; %bb.7:
	v_subrev_u32_e32 v14, s20, v1
	s_mov_b64 s[22:23], 0
	v_mov_b32_e32 v15, s3
	v_mov_b32_e32 v16, s9
	;; [unrolled: 1-line block ×3, first 2 shown]
	s_branch .LBB72_9
.LBB72_8:                               ;   in Loop: Header=BB72_9 Depth=1
	s_or_b64 exec, exec, s[24:25]
	v_add_u32_e32 v2, s16, v2
	v_cmp_le_i32_e32 vcc, s17, v2
	s_or_b64 s[22:23], vcc, s[22:23]
	s_andn2_b64 exec, exec, s[22:23]
	s_cbranch_execz .LBB72_16
.LBB72_9:                               ; =>This Loop Header: Depth=1
                                        ;     Child Loop BB72_11 Depth 2
                                        ;       Child Loop BB72_12 Depth 3
                                        ;       Child Loop BB72_14 Depth 3
	v_ashrrev_i32_e32 v3, 31, v2
	v_lshlrev_b64 v[4:5], 2, v[2:3]
	v_add_co_u32_e32 v6, vcc, s2, v4
	v_addc_co_u32_e32 v7, vcc, v15, v5, vcc
	v_add_co_u32_e32 v4, vcc, s8, v4
	v_addc_co_u32_e32 v5, vcc, v16, v5, vcc
	global_load_dword v8, v[4:5], off
	global_load_dword v9, v[6:7], off
	s_waitcnt vmcnt(1)
	v_subrev_u32_e32 v17, s20, v8
	s_waitcnt vmcnt(0)
	v_add_u32_e32 v4, v9, v14
	v_cmp_lt_i32_e32 vcc, v4, v17
	s_and_saveexec_b64 s[24:25], vcc
	s_cbranch_execz .LBB72_8
; %bb.10:                               ;   in Loop: Header=BB72_9 Depth=1
	v_lshlrev_b64 v[6:7], 3, v[2:3]
	v_mov_b32_e32 v3, s15
	v_add_co_u32_e32 v6, vcc, s14, v6
	v_addc_co_u32_e32 v7, vcc, v3, v7, vcc
	global_load_dwordx2 v[6:7], v[6:7], off
	s_mov_b64 s[26:27], 0
	s_waitcnt vmcnt(0)
	v_mul_f32_e64 v3, v7, -v13
	v_mul_f32_e32 v18, v12, v7
	v_fmac_f32_e32 v3, v12, v6
	v_fmac_f32_e32 v18, v13, v6
.LBB72_11:                              ;   Parent Loop BB72_9 Depth=1
                                        ; =>  This Loop Header: Depth=2
                                        ;       Child Loop BB72_12 Depth 3
                                        ;       Child Loop BB72_14 Depth 3
	v_ashrrev_i32_e32 v5, 31, v4
	v_lshlrev_b64 v[6:7], 2, v[4:5]
	v_mov_b32_e32 v8, s11
	v_add_co_u32_e32 v6, vcc, s10, v6
	v_addc_co_u32_e32 v7, vcc, v8, v7, vcc
	global_load_dword v10, v[6:7], off
	v_lshlrev_b64 v[6:7], 3, v[4:5]
	v_mov_b32_e32 v8, s13
	v_add_co_u32_e32 v6, vcc, s12, v6
	v_addc_co_u32_e32 v7, vcc, v8, v7, vcc
	global_load_dwordx2 v[8:9], v[6:7], off
	v_mov_b32_e32 v11, s19
	s_mov_b64 s[28:29], 0
	s_waitcnt vmcnt(1)
	v_subrev_u32_e32 v6, s20, v10
	v_ashrrev_i32_e32 v7, 31, v6
	v_lshlrev_b64 v[6:7], 3, v[6:7]
	v_add_co_u32_e32 v6, vcc, s18, v6
	v_addc_co_u32_e32 v7, vcc, v11, v7, vcc
	global_load_dword v11, v[6:7], off
	s_waitcnt vmcnt(1)
	v_cndmask_b32_e64 v5, v9, -v9, s[4:5]
	v_mul_f32_e64 v9, v5, -v18
	v_fmac_f32_e32 v9, v3, v8
.LBB72_12:                              ;   Parent Loop BB72_9 Depth=1
                                        ;     Parent Loop BB72_11 Depth=2
                                        ; =>    This Inner Loop Header: Depth=3
	s_waitcnt vmcnt(0)
	v_add_f32_e32 v10, v11, v9
	global_atomic_cmpswap v10, v[6:7], v[10:11], off glc
	s_waitcnt vmcnt(0)
	v_cmp_eq_u32_e32 vcc, v10, v11
	s_or_b64 s[28:29], vcc, s[28:29]
	v_mov_b32_e32 v11, v10
	s_andn2_b64 exec, exec, s[28:29]
	s_cbranch_execnz .LBB72_12
; %bb.13:                               ;   in Loop: Header=BB72_11 Depth=2
	s_or_b64 exec, exec, s[28:29]
	global_load_dword v9, v[6:7], off offset:4
	v_mul_f32_e32 v5, v3, v5
	v_fmac_f32_e32 v5, v18, v8
	s_mov_b64 s[28:29], 0
.LBB72_14:                              ;   Parent Loop BB72_9 Depth=1
                                        ;     Parent Loop BB72_11 Depth=2
                                        ; =>    This Inner Loop Header: Depth=3
	s_waitcnt vmcnt(0)
	v_add_f32_e32 v8, v9, v5
	global_atomic_cmpswap v8, v[6:7], v[8:9], off offset:4 glc
	s_waitcnt vmcnt(0)
	v_cmp_eq_u32_e32 vcc, v8, v9
	s_or_b64 s[28:29], vcc, s[28:29]
	v_mov_b32_e32 v9, v8
	s_andn2_b64 exec, exec, s[28:29]
	s_cbranch_execnz .LBB72_14
; %bb.15:                               ;   in Loop: Header=BB72_11 Depth=2
	s_or_b64 exec, exec, s[28:29]
	v_add_u32_e32 v4, 4, v4
	v_cmp_ge_i32_e32 vcc, v4, v17
	s_or_b64 s[26:27], vcc, s[26:27]
	s_andn2_b64 exec, exec, s[26:27]
	s_cbranch_execnz .LBB72_11
	s_branch .LBB72_8
.LBB72_16:
	s_or_b64 exec, exec, s[6:7]
	s_mov_b64 s[6:7], 0
.LBB72_17:
	s_andn2_b64 vcc, exec, s[6:7]
	s_cbranch_vccnz .LBB72_29
; %bb.18:
	s_and_b64 exec, exec, s[0:1]
	s_cbranch_execz .LBB72_29
; %bb.19:
	v_subrev_u32_e32 v10, s20, v1
	s_mov_b64 s[0:1], 0
	v_mov_b32_e32 v11, s3
	v_mov_b32_e32 v14, s9
	s_branch .LBB72_21
.LBB72_20:                              ;   in Loop: Header=BB72_21 Depth=1
	s_or_b64 exec, exec, s[6:7]
	v_add_u32_e32 v0, s16, v0
	v_cmp_le_i32_e32 vcc, s17, v0
	s_or_b64 s[0:1], vcc, s[0:1]
	s_andn2_b64 exec, exec, s[0:1]
	s_cbranch_execz .LBB72_29
.LBB72_21:                              ; =>This Loop Header: Depth=1
                                        ;     Child Loop BB72_24 Depth 2
                                        ;       Child Loop BB72_26 Depth 3
                                        ;       Child Loop BB72_28 Depth 3
	v_ashrrev_i32_e32 v1, 31, v0
	v_lshlrev_b64 v[2:3], 2, v[0:1]
	v_add_co_u32_e32 v4, vcc, s2, v2
	v_addc_co_u32_e32 v5, vcc, v11, v3, vcc
	v_add_co_u32_e32 v2, vcc, s8, v2
	v_addc_co_u32_e32 v3, vcc, v14, v3, vcc
	global_load_dword v6, v[2:3], off
	global_load_dword v7, v[4:5], off
	s_waitcnt vmcnt(1)
	v_subrev_u32_e32 v15, s20, v6
	s_waitcnt vmcnt(0)
	v_add_u32_e32 v2, v7, v10
	v_cmp_lt_i32_e32 vcc, v2, v15
	s_and_saveexec_b64 s[6:7], vcc
	s_cbranch_execz .LBB72_20
; %bb.22:                               ;   in Loop: Header=BB72_21 Depth=1
	v_lshlrev_b64 v[4:5], 3, v[0:1]
	v_mov_b32_e32 v1, s15
	v_add_co_u32_e32 v4, vcc, s14, v4
	v_addc_co_u32_e32 v5, vcc, v1, v5, vcc
	global_load_dwordx2 v[4:5], v[4:5], off
	s_mov_b64 s[22:23], 0
	s_waitcnt vmcnt(0)
	v_mul_f32_e64 v1, v5, -v13
	v_mul_f32_e32 v16, v12, v5
	v_fmac_f32_e32 v1, v12, v4
	v_fmac_f32_e32 v16, v13, v4
	s_branch .LBB72_24
.LBB72_23:                              ;   in Loop: Header=BB72_24 Depth=2
	s_or_b64 exec, exec, s[24:25]
	v_add_u32_e32 v2, 4, v2
	v_cmp_ge_i32_e32 vcc, v2, v15
	s_or_b64 s[22:23], vcc, s[22:23]
	s_andn2_b64 exec, exec, s[22:23]
	s_cbranch_execz .LBB72_20
.LBB72_24:                              ;   Parent Loop BB72_21 Depth=1
                                        ; =>  This Loop Header: Depth=2
                                        ;       Child Loop BB72_26 Depth 3
                                        ;       Child Loop BB72_28 Depth 3
	v_ashrrev_i32_e32 v3, 31, v2
	v_lshlrev_b64 v[4:5], 2, v[2:3]
	v_mov_b32_e32 v6, s11
	v_add_co_u32_e32 v4, vcc, s10, v4
	v_addc_co_u32_e32 v5, vcc, v6, v5, vcc
	global_load_dword v4, v[4:5], off
	s_waitcnt vmcnt(0)
	v_subrev_u32_e32 v4, s20, v4
	v_cmp_ne_u32_e32 vcc, v4, v0
	s_and_saveexec_b64 s[24:25], vcc
	s_cbranch_execz .LBB72_23
; %bb.25:                               ;   in Loop: Header=BB72_24 Depth=2
	v_lshlrev_b64 v[6:7], 3, v[2:3]
	v_mov_b32_e32 v3, s13
	v_add_co_u32_e32 v6, vcc, s12, v6
	v_addc_co_u32_e32 v7, vcc, v3, v7, vcc
	v_ashrrev_i32_e32 v5, 31, v4
	global_load_dwordx2 v[6:7], v[6:7], off
	v_lshlrev_b64 v[4:5], 3, v[4:5]
	v_mov_b32_e32 v3, s19
	v_add_co_u32_e32 v4, vcc, s18, v4
	v_addc_co_u32_e32 v5, vcc, v3, v5, vcc
	global_load_dword v9, v[4:5], off
	s_mov_b64 s[26:27], 0
	s_waitcnt vmcnt(1)
	v_cndmask_b32_e64 v3, v7, -v7, s[4:5]
	v_mul_f32_e64 v7, v3, -v16
	v_fmac_f32_e32 v7, v1, v6
.LBB72_26:                              ;   Parent Loop BB72_21 Depth=1
                                        ;     Parent Loop BB72_24 Depth=2
                                        ; =>    This Inner Loop Header: Depth=3
	s_waitcnt vmcnt(0)
	v_add_f32_e32 v8, v9, v7
	global_atomic_cmpswap v8, v[4:5], v[8:9], off glc
	s_waitcnt vmcnt(0)
	v_cmp_eq_u32_e32 vcc, v8, v9
	s_or_b64 s[26:27], vcc, s[26:27]
	v_mov_b32_e32 v9, v8
	s_andn2_b64 exec, exec, s[26:27]
	s_cbranch_execnz .LBB72_26
; %bb.27:                               ;   in Loop: Header=BB72_24 Depth=2
	s_or_b64 exec, exec, s[26:27]
	global_load_dword v7, v[4:5], off offset:4
	v_mul_f32_e32 v3, v1, v3
	v_fmac_f32_e32 v3, v16, v6
	s_mov_b64 s[26:27], 0
.LBB72_28:                              ;   Parent Loop BB72_21 Depth=1
                                        ;     Parent Loop BB72_24 Depth=2
                                        ; =>    This Inner Loop Header: Depth=3
	s_waitcnt vmcnt(0)
	v_add_f32_e32 v6, v7, v3
	global_atomic_cmpswap v6, v[4:5], v[6:7], off offset:4 glc
	s_waitcnt vmcnt(0)
	v_cmp_eq_u32_e32 vcc, v6, v7
	s_or_b64 s[26:27], vcc, s[26:27]
	v_mov_b32_e32 v7, v6
	s_andn2_b64 exec, exec, s[26:27]
	s_cbranch_execnz .LBB72_28
	s_branch .LBB72_23
.LBB72_29:
	s_endpgm
	.section	.rodata,"a",@progbits
	.p2align	6, 0x0
	.amdhsa_kernel _ZN9rocsparseL21csrmvt_general_kernelILj256ELj4Eii21rocsparse_complex_numIfES2_S2_S2_EEvbbT2_NS_24const_host_device_scalarIT6_EEPKT1_S9_PKS3_PKT3_PKT4_PT5_21rocsparse_index_base_b
		.amdhsa_group_segment_fixed_size 0
		.amdhsa_private_segment_fixed_size 0
		.amdhsa_kernarg_size 328
		.amdhsa_user_sgpr_count 6
		.amdhsa_user_sgpr_private_segment_buffer 1
		.amdhsa_user_sgpr_dispatch_ptr 0
		.amdhsa_user_sgpr_queue_ptr 0
		.amdhsa_user_sgpr_kernarg_segment_ptr 1
		.amdhsa_user_sgpr_dispatch_id 0
		.amdhsa_user_sgpr_flat_scratch_init 0
		.amdhsa_user_sgpr_kernarg_preload_length 0
		.amdhsa_user_sgpr_kernarg_preload_offset 0
		.amdhsa_user_sgpr_private_segment_size 0
		.amdhsa_uses_dynamic_stack 0
		.amdhsa_system_sgpr_private_segment_wavefront_offset 0
		.amdhsa_system_sgpr_workgroup_id_x 1
		.amdhsa_system_sgpr_workgroup_id_y 0
		.amdhsa_system_sgpr_workgroup_id_z 0
		.amdhsa_system_sgpr_workgroup_info 0
		.amdhsa_system_vgpr_workitem_id 0
		.amdhsa_next_free_vgpr 19
		.amdhsa_next_free_sgpr 30
		.amdhsa_accum_offset 20
		.amdhsa_reserve_vcc 1
		.amdhsa_reserve_flat_scratch 0
		.amdhsa_float_round_mode_32 0
		.amdhsa_float_round_mode_16_64 0
		.amdhsa_float_denorm_mode_32 3
		.amdhsa_float_denorm_mode_16_64 3
		.amdhsa_dx10_clamp 1
		.amdhsa_ieee_mode 1
		.amdhsa_fp16_overflow 0
		.amdhsa_tg_split 0
		.amdhsa_exception_fp_ieee_invalid_op 0
		.amdhsa_exception_fp_denorm_src 0
		.amdhsa_exception_fp_ieee_div_zero 0
		.amdhsa_exception_fp_ieee_overflow 0
		.amdhsa_exception_fp_ieee_underflow 0
		.amdhsa_exception_fp_ieee_inexact 0
		.amdhsa_exception_int_div_zero 0
	.end_amdhsa_kernel
	.section	.text._ZN9rocsparseL21csrmvt_general_kernelILj256ELj4Eii21rocsparse_complex_numIfES2_S2_S2_EEvbbT2_NS_24const_host_device_scalarIT6_EEPKT1_S9_PKS3_PKT3_PKT4_PT5_21rocsparse_index_base_b,"axG",@progbits,_ZN9rocsparseL21csrmvt_general_kernelILj256ELj4Eii21rocsparse_complex_numIfES2_S2_S2_EEvbbT2_NS_24const_host_device_scalarIT6_EEPKT1_S9_PKS3_PKT3_PKT4_PT5_21rocsparse_index_base_b,comdat
.Lfunc_end72:
	.size	_ZN9rocsparseL21csrmvt_general_kernelILj256ELj4Eii21rocsparse_complex_numIfES2_S2_S2_EEvbbT2_NS_24const_host_device_scalarIT6_EEPKT1_S9_PKS3_PKT3_PKT4_PT5_21rocsparse_index_base_b, .Lfunc_end72-_ZN9rocsparseL21csrmvt_general_kernelILj256ELj4Eii21rocsparse_complex_numIfES2_S2_S2_EEvbbT2_NS_24const_host_device_scalarIT6_EEPKT1_S9_PKS3_PKT3_PKT4_PT5_21rocsparse_index_base_b
                                        ; -- End function
	.section	.AMDGPU.csdata,"",@progbits
; Kernel info:
; codeLenInByte = 1132
; NumSgprs: 34
; NumVgprs: 19
; NumAgprs: 0
; TotalNumVgprs: 19
; ScratchSize: 0
; MemoryBound: 0
; FloatMode: 240
; IeeeMode: 1
; LDSByteSize: 0 bytes/workgroup (compile time only)
; SGPRBlocks: 4
; VGPRBlocks: 2
; NumSGPRsForWavesPerEU: 34
; NumVGPRsForWavesPerEU: 19
; AccumOffset: 20
; Occupancy: 8
; WaveLimiterHint : 1
; COMPUTE_PGM_RSRC2:SCRATCH_EN: 0
; COMPUTE_PGM_RSRC2:USER_SGPR: 6
; COMPUTE_PGM_RSRC2:TRAP_HANDLER: 0
; COMPUTE_PGM_RSRC2:TGID_X_EN: 1
; COMPUTE_PGM_RSRC2:TGID_Y_EN: 0
; COMPUTE_PGM_RSRC2:TGID_Z_EN: 0
; COMPUTE_PGM_RSRC2:TIDIG_COMP_CNT: 0
; COMPUTE_PGM_RSRC3_GFX90A:ACCUM_OFFSET: 4
; COMPUTE_PGM_RSRC3_GFX90A:TG_SPLIT: 0
	.section	.text._ZN9rocsparseL21csrmvt_general_kernelILj256ELj8Eii21rocsparse_complex_numIfES2_S2_S2_EEvbbT2_NS_24const_host_device_scalarIT6_EEPKT1_S9_PKS3_PKT3_PKT4_PT5_21rocsparse_index_base_b,"axG",@progbits,_ZN9rocsparseL21csrmvt_general_kernelILj256ELj8Eii21rocsparse_complex_numIfES2_S2_S2_EEvbbT2_NS_24const_host_device_scalarIT6_EEPKT1_S9_PKS3_PKT3_PKT4_PT5_21rocsparse_index_base_b,comdat
	.globl	_ZN9rocsparseL21csrmvt_general_kernelILj256ELj8Eii21rocsparse_complex_numIfES2_S2_S2_EEvbbT2_NS_24const_host_device_scalarIT6_EEPKT1_S9_PKS3_PKT3_PKT4_PT5_21rocsparse_index_base_b ; -- Begin function _ZN9rocsparseL21csrmvt_general_kernelILj256ELj8Eii21rocsparse_complex_numIfES2_S2_S2_EEvbbT2_NS_24const_host_device_scalarIT6_EEPKT1_S9_PKS3_PKT3_PKT4_PT5_21rocsparse_index_base_b
	.p2align	8
	.type	_ZN9rocsparseL21csrmvt_general_kernelILj256ELj8Eii21rocsparse_complex_numIfES2_S2_S2_EEvbbT2_NS_24const_host_device_scalarIT6_EEPKT1_S9_PKS3_PKT3_PKT4_PT5_21rocsparse_index_base_b,@function
_ZN9rocsparseL21csrmvt_general_kernelILj256ELj8Eii21rocsparse_complex_numIfES2_S2_S2_EEvbbT2_NS_24const_host_device_scalarIT6_EEPKT1_S9_PKS3_PKT3_PKT4_PT5_21rocsparse_index_base_b: ; @_ZN9rocsparseL21csrmvt_general_kernelILj256ELj8Eii21rocsparse_complex_numIfES2_S2_S2_EEvbbT2_NS_24const_host_device_scalarIT6_EEPKT1_S9_PKS3_PKT3_PKT4_PT5_21rocsparse_index_base_b
; %bb.0:
	s_load_dwordx2 s[20:21], s[4:5], 0x40
	s_load_dwordx4 s[16:19], s[4:5], 0x0
	s_load_dwordx4 s[0:3], s[4:5], 0x8
	s_waitcnt lgkmcnt(0)
	s_bitcmp1_b32 s21, 0
	s_cselect_b64 s[10:11], -1, 0
	s_xor_b64 s[8:9], s[10:11], -1
	s_and_b64 vcc, exec, s[10:11]
	v_mov_b32_e32 v12, s18
	s_cbranch_vccnz .LBB73_2
; %bb.1:
	v_pk_mov_b32 v[2:3], s[0:1], s[0:1] op_sel:[0,1]
	flat_load_dword v12, v[2:3]
.LBB73_2:
	s_andn2_b64 vcc, exec, s[8:9]
	v_mov_b32_e32 v13, s19
	s_cbranch_vccnz .LBB73_4
; %bb.3:
	v_pk_mov_b32 v[2:3], s[0:1], s[0:1] op_sel:[0,1]
	flat_load_dword v13, v[2:3] offset:4
.LBB73_4:
	s_waitcnt vmcnt(0) lgkmcnt(0)
	v_cmp_neq_f32_e32 vcc, 0, v12
	v_cmp_neq_f32_e64 s[0:1], 0, v13
	s_or_b64 s[0:1], vcc, s[0:1]
	s_and_saveexec_b64 s[8:9], s[0:1]
	s_cbranch_execz .LBB73_29
; %bb.5:
	s_load_dword s0, s[4:5], 0x0
	s_load_dwordx2 s[18:19], s[4:5], 0x38
	s_load_dword s1, s[4:5], 0x48
	s_load_dwordx8 s[8:15], s[4:5], 0x18
	v_and_b32_e32 v1, 7, v0
	s_waitcnt lgkmcnt(0)
	s_and_b32 s0, s0, 1
	s_bitcmp1_b32 s16, 8
	v_lshl_or_b32 v0, s6, 8, v0
	s_cselect_b64 s[4:5], -1, 0
	s_lshl_b32 s16, s1, 5
	v_lshrrev_b32_e32 v0, 3, v0
	s_cmp_eq_u32 s0, 0
	v_cmp_gt_i32_e64 s[0:1], s17, v0
	s_mov_b64 s[6:7], -1
	s_cbranch_scc0 .LBB73_17
; %bb.6:
	s_and_saveexec_b64 s[6:7], s[0:1]
	s_cbranch_execz .LBB73_16
; %bb.7:
	v_subrev_u32_e32 v14, s20, v1
	s_mov_b64 s[22:23], 0
	v_mov_b32_e32 v15, s3
	v_mov_b32_e32 v16, s9
	;; [unrolled: 1-line block ×3, first 2 shown]
	s_branch .LBB73_9
.LBB73_8:                               ;   in Loop: Header=BB73_9 Depth=1
	s_or_b64 exec, exec, s[24:25]
	v_add_u32_e32 v2, s16, v2
	v_cmp_le_i32_e32 vcc, s17, v2
	s_or_b64 s[22:23], vcc, s[22:23]
	s_andn2_b64 exec, exec, s[22:23]
	s_cbranch_execz .LBB73_16
.LBB73_9:                               ; =>This Loop Header: Depth=1
                                        ;     Child Loop BB73_11 Depth 2
                                        ;       Child Loop BB73_12 Depth 3
                                        ;       Child Loop BB73_14 Depth 3
	v_ashrrev_i32_e32 v3, 31, v2
	v_lshlrev_b64 v[4:5], 2, v[2:3]
	v_add_co_u32_e32 v6, vcc, s2, v4
	v_addc_co_u32_e32 v7, vcc, v15, v5, vcc
	v_add_co_u32_e32 v4, vcc, s8, v4
	v_addc_co_u32_e32 v5, vcc, v16, v5, vcc
	global_load_dword v8, v[4:5], off
	global_load_dword v9, v[6:7], off
	s_waitcnt vmcnt(1)
	v_subrev_u32_e32 v17, s20, v8
	s_waitcnt vmcnt(0)
	v_add_u32_e32 v4, v9, v14
	v_cmp_lt_i32_e32 vcc, v4, v17
	s_and_saveexec_b64 s[24:25], vcc
	s_cbranch_execz .LBB73_8
; %bb.10:                               ;   in Loop: Header=BB73_9 Depth=1
	v_lshlrev_b64 v[6:7], 3, v[2:3]
	v_mov_b32_e32 v3, s15
	v_add_co_u32_e32 v6, vcc, s14, v6
	v_addc_co_u32_e32 v7, vcc, v3, v7, vcc
	global_load_dwordx2 v[6:7], v[6:7], off
	s_mov_b64 s[26:27], 0
	s_waitcnt vmcnt(0)
	v_mul_f32_e64 v3, v7, -v13
	v_mul_f32_e32 v18, v12, v7
	v_fmac_f32_e32 v3, v12, v6
	v_fmac_f32_e32 v18, v13, v6
.LBB73_11:                              ;   Parent Loop BB73_9 Depth=1
                                        ; =>  This Loop Header: Depth=2
                                        ;       Child Loop BB73_12 Depth 3
                                        ;       Child Loop BB73_14 Depth 3
	v_ashrrev_i32_e32 v5, 31, v4
	v_lshlrev_b64 v[6:7], 2, v[4:5]
	v_mov_b32_e32 v8, s11
	v_add_co_u32_e32 v6, vcc, s10, v6
	v_addc_co_u32_e32 v7, vcc, v8, v7, vcc
	global_load_dword v10, v[6:7], off
	v_lshlrev_b64 v[6:7], 3, v[4:5]
	v_mov_b32_e32 v8, s13
	v_add_co_u32_e32 v6, vcc, s12, v6
	v_addc_co_u32_e32 v7, vcc, v8, v7, vcc
	global_load_dwordx2 v[8:9], v[6:7], off
	v_mov_b32_e32 v11, s19
	s_mov_b64 s[28:29], 0
	s_waitcnt vmcnt(1)
	v_subrev_u32_e32 v6, s20, v10
	v_ashrrev_i32_e32 v7, 31, v6
	v_lshlrev_b64 v[6:7], 3, v[6:7]
	v_add_co_u32_e32 v6, vcc, s18, v6
	v_addc_co_u32_e32 v7, vcc, v11, v7, vcc
	global_load_dword v11, v[6:7], off
	s_waitcnt vmcnt(1)
	v_cndmask_b32_e64 v5, v9, -v9, s[4:5]
	v_mul_f32_e64 v9, v5, -v18
	v_fmac_f32_e32 v9, v3, v8
.LBB73_12:                              ;   Parent Loop BB73_9 Depth=1
                                        ;     Parent Loop BB73_11 Depth=2
                                        ; =>    This Inner Loop Header: Depth=3
	s_waitcnt vmcnt(0)
	v_add_f32_e32 v10, v11, v9
	global_atomic_cmpswap v10, v[6:7], v[10:11], off glc
	s_waitcnt vmcnt(0)
	v_cmp_eq_u32_e32 vcc, v10, v11
	s_or_b64 s[28:29], vcc, s[28:29]
	v_mov_b32_e32 v11, v10
	s_andn2_b64 exec, exec, s[28:29]
	s_cbranch_execnz .LBB73_12
; %bb.13:                               ;   in Loop: Header=BB73_11 Depth=2
	s_or_b64 exec, exec, s[28:29]
	global_load_dword v9, v[6:7], off offset:4
	v_mul_f32_e32 v5, v3, v5
	v_fmac_f32_e32 v5, v18, v8
	s_mov_b64 s[28:29], 0
.LBB73_14:                              ;   Parent Loop BB73_9 Depth=1
                                        ;     Parent Loop BB73_11 Depth=2
                                        ; =>    This Inner Loop Header: Depth=3
	s_waitcnt vmcnt(0)
	v_add_f32_e32 v8, v9, v5
	global_atomic_cmpswap v8, v[6:7], v[8:9], off offset:4 glc
	s_waitcnt vmcnt(0)
	v_cmp_eq_u32_e32 vcc, v8, v9
	s_or_b64 s[28:29], vcc, s[28:29]
	v_mov_b32_e32 v9, v8
	s_andn2_b64 exec, exec, s[28:29]
	s_cbranch_execnz .LBB73_14
; %bb.15:                               ;   in Loop: Header=BB73_11 Depth=2
	s_or_b64 exec, exec, s[28:29]
	v_add_u32_e32 v4, 8, v4
	v_cmp_ge_i32_e32 vcc, v4, v17
	s_or_b64 s[26:27], vcc, s[26:27]
	s_andn2_b64 exec, exec, s[26:27]
	s_cbranch_execnz .LBB73_11
	s_branch .LBB73_8
.LBB73_16:
	s_or_b64 exec, exec, s[6:7]
	s_mov_b64 s[6:7], 0
.LBB73_17:
	s_andn2_b64 vcc, exec, s[6:7]
	s_cbranch_vccnz .LBB73_29
; %bb.18:
	s_and_b64 exec, exec, s[0:1]
	s_cbranch_execz .LBB73_29
; %bb.19:
	v_subrev_u32_e32 v10, s20, v1
	s_mov_b64 s[0:1], 0
	v_mov_b32_e32 v11, s3
	v_mov_b32_e32 v14, s9
	s_branch .LBB73_21
.LBB73_20:                              ;   in Loop: Header=BB73_21 Depth=1
	s_or_b64 exec, exec, s[6:7]
	v_add_u32_e32 v0, s16, v0
	v_cmp_le_i32_e32 vcc, s17, v0
	s_or_b64 s[0:1], vcc, s[0:1]
	s_andn2_b64 exec, exec, s[0:1]
	s_cbranch_execz .LBB73_29
.LBB73_21:                              ; =>This Loop Header: Depth=1
                                        ;     Child Loop BB73_24 Depth 2
                                        ;       Child Loop BB73_26 Depth 3
                                        ;       Child Loop BB73_28 Depth 3
	v_ashrrev_i32_e32 v1, 31, v0
	v_lshlrev_b64 v[2:3], 2, v[0:1]
	v_add_co_u32_e32 v4, vcc, s2, v2
	v_addc_co_u32_e32 v5, vcc, v11, v3, vcc
	v_add_co_u32_e32 v2, vcc, s8, v2
	v_addc_co_u32_e32 v3, vcc, v14, v3, vcc
	global_load_dword v6, v[2:3], off
	global_load_dword v7, v[4:5], off
	s_waitcnt vmcnt(1)
	v_subrev_u32_e32 v15, s20, v6
	s_waitcnt vmcnt(0)
	v_add_u32_e32 v2, v7, v10
	v_cmp_lt_i32_e32 vcc, v2, v15
	s_and_saveexec_b64 s[6:7], vcc
	s_cbranch_execz .LBB73_20
; %bb.22:                               ;   in Loop: Header=BB73_21 Depth=1
	v_lshlrev_b64 v[4:5], 3, v[0:1]
	v_mov_b32_e32 v1, s15
	v_add_co_u32_e32 v4, vcc, s14, v4
	v_addc_co_u32_e32 v5, vcc, v1, v5, vcc
	global_load_dwordx2 v[4:5], v[4:5], off
	s_mov_b64 s[22:23], 0
	s_waitcnt vmcnt(0)
	v_mul_f32_e64 v1, v5, -v13
	v_mul_f32_e32 v16, v12, v5
	v_fmac_f32_e32 v1, v12, v4
	v_fmac_f32_e32 v16, v13, v4
	s_branch .LBB73_24
.LBB73_23:                              ;   in Loop: Header=BB73_24 Depth=2
	s_or_b64 exec, exec, s[24:25]
	v_add_u32_e32 v2, 8, v2
	v_cmp_ge_i32_e32 vcc, v2, v15
	s_or_b64 s[22:23], vcc, s[22:23]
	s_andn2_b64 exec, exec, s[22:23]
	s_cbranch_execz .LBB73_20
.LBB73_24:                              ;   Parent Loop BB73_21 Depth=1
                                        ; =>  This Loop Header: Depth=2
                                        ;       Child Loop BB73_26 Depth 3
                                        ;       Child Loop BB73_28 Depth 3
	v_ashrrev_i32_e32 v3, 31, v2
	v_lshlrev_b64 v[4:5], 2, v[2:3]
	v_mov_b32_e32 v6, s11
	v_add_co_u32_e32 v4, vcc, s10, v4
	v_addc_co_u32_e32 v5, vcc, v6, v5, vcc
	global_load_dword v4, v[4:5], off
	s_waitcnt vmcnt(0)
	v_subrev_u32_e32 v4, s20, v4
	v_cmp_ne_u32_e32 vcc, v4, v0
	s_and_saveexec_b64 s[24:25], vcc
	s_cbranch_execz .LBB73_23
; %bb.25:                               ;   in Loop: Header=BB73_24 Depth=2
	v_lshlrev_b64 v[6:7], 3, v[2:3]
	v_mov_b32_e32 v3, s13
	v_add_co_u32_e32 v6, vcc, s12, v6
	v_addc_co_u32_e32 v7, vcc, v3, v7, vcc
	v_ashrrev_i32_e32 v5, 31, v4
	global_load_dwordx2 v[6:7], v[6:7], off
	v_lshlrev_b64 v[4:5], 3, v[4:5]
	v_mov_b32_e32 v3, s19
	v_add_co_u32_e32 v4, vcc, s18, v4
	v_addc_co_u32_e32 v5, vcc, v3, v5, vcc
	global_load_dword v9, v[4:5], off
	s_mov_b64 s[26:27], 0
	s_waitcnt vmcnt(1)
	v_cndmask_b32_e64 v3, v7, -v7, s[4:5]
	v_mul_f32_e64 v7, v3, -v16
	v_fmac_f32_e32 v7, v1, v6
.LBB73_26:                              ;   Parent Loop BB73_21 Depth=1
                                        ;     Parent Loop BB73_24 Depth=2
                                        ; =>    This Inner Loop Header: Depth=3
	s_waitcnt vmcnt(0)
	v_add_f32_e32 v8, v9, v7
	global_atomic_cmpswap v8, v[4:5], v[8:9], off glc
	s_waitcnt vmcnt(0)
	v_cmp_eq_u32_e32 vcc, v8, v9
	s_or_b64 s[26:27], vcc, s[26:27]
	v_mov_b32_e32 v9, v8
	s_andn2_b64 exec, exec, s[26:27]
	s_cbranch_execnz .LBB73_26
; %bb.27:                               ;   in Loop: Header=BB73_24 Depth=2
	s_or_b64 exec, exec, s[26:27]
	global_load_dword v7, v[4:5], off offset:4
	v_mul_f32_e32 v3, v1, v3
	v_fmac_f32_e32 v3, v16, v6
	s_mov_b64 s[26:27], 0
.LBB73_28:                              ;   Parent Loop BB73_21 Depth=1
                                        ;     Parent Loop BB73_24 Depth=2
                                        ; =>    This Inner Loop Header: Depth=3
	s_waitcnt vmcnt(0)
	v_add_f32_e32 v6, v7, v3
	global_atomic_cmpswap v6, v[4:5], v[6:7], off offset:4 glc
	s_waitcnt vmcnt(0)
	v_cmp_eq_u32_e32 vcc, v6, v7
	s_or_b64 s[26:27], vcc, s[26:27]
	v_mov_b32_e32 v7, v6
	s_andn2_b64 exec, exec, s[26:27]
	s_cbranch_execnz .LBB73_28
	s_branch .LBB73_23
.LBB73_29:
	s_endpgm
	.section	.rodata,"a",@progbits
	.p2align	6, 0x0
	.amdhsa_kernel _ZN9rocsparseL21csrmvt_general_kernelILj256ELj8Eii21rocsparse_complex_numIfES2_S2_S2_EEvbbT2_NS_24const_host_device_scalarIT6_EEPKT1_S9_PKS3_PKT3_PKT4_PT5_21rocsparse_index_base_b
		.amdhsa_group_segment_fixed_size 0
		.amdhsa_private_segment_fixed_size 0
		.amdhsa_kernarg_size 328
		.amdhsa_user_sgpr_count 6
		.amdhsa_user_sgpr_private_segment_buffer 1
		.amdhsa_user_sgpr_dispatch_ptr 0
		.amdhsa_user_sgpr_queue_ptr 0
		.amdhsa_user_sgpr_kernarg_segment_ptr 1
		.amdhsa_user_sgpr_dispatch_id 0
		.amdhsa_user_sgpr_flat_scratch_init 0
		.amdhsa_user_sgpr_kernarg_preload_length 0
		.amdhsa_user_sgpr_kernarg_preload_offset 0
		.amdhsa_user_sgpr_private_segment_size 0
		.amdhsa_uses_dynamic_stack 0
		.amdhsa_system_sgpr_private_segment_wavefront_offset 0
		.amdhsa_system_sgpr_workgroup_id_x 1
		.amdhsa_system_sgpr_workgroup_id_y 0
		.amdhsa_system_sgpr_workgroup_id_z 0
		.amdhsa_system_sgpr_workgroup_info 0
		.amdhsa_system_vgpr_workitem_id 0
		.amdhsa_next_free_vgpr 19
		.amdhsa_next_free_sgpr 30
		.amdhsa_accum_offset 20
		.amdhsa_reserve_vcc 1
		.amdhsa_reserve_flat_scratch 0
		.amdhsa_float_round_mode_32 0
		.amdhsa_float_round_mode_16_64 0
		.amdhsa_float_denorm_mode_32 3
		.amdhsa_float_denorm_mode_16_64 3
		.amdhsa_dx10_clamp 1
		.amdhsa_ieee_mode 1
		.amdhsa_fp16_overflow 0
		.amdhsa_tg_split 0
		.amdhsa_exception_fp_ieee_invalid_op 0
		.amdhsa_exception_fp_denorm_src 0
		.amdhsa_exception_fp_ieee_div_zero 0
		.amdhsa_exception_fp_ieee_overflow 0
		.amdhsa_exception_fp_ieee_underflow 0
		.amdhsa_exception_fp_ieee_inexact 0
		.amdhsa_exception_int_div_zero 0
	.end_amdhsa_kernel
	.section	.text._ZN9rocsparseL21csrmvt_general_kernelILj256ELj8Eii21rocsparse_complex_numIfES2_S2_S2_EEvbbT2_NS_24const_host_device_scalarIT6_EEPKT1_S9_PKS3_PKT3_PKT4_PT5_21rocsparse_index_base_b,"axG",@progbits,_ZN9rocsparseL21csrmvt_general_kernelILj256ELj8Eii21rocsparse_complex_numIfES2_S2_S2_EEvbbT2_NS_24const_host_device_scalarIT6_EEPKT1_S9_PKS3_PKT3_PKT4_PT5_21rocsparse_index_base_b,comdat
.Lfunc_end73:
	.size	_ZN9rocsparseL21csrmvt_general_kernelILj256ELj8Eii21rocsparse_complex_numIfES2_S2_S2_EEvbbT2_NS_24const_host_device_scalarIT6_EEPKT1_S9_PKS3_PKT3_PKT4_PT5_21rocsparse_index_base_b, .Lfunc_end73-_ZN9rocsparseL21csrmvt_general_kernelILj256ELj8Eii21rocsparse_complex_numIfES2_S2_S2_EEvbbT2_NS_24const_host_device_scalarIT6_EEPKT1_S9_PKS3_PKT3_PKT4_PT5_21rocsparse_index_base_b
                                        ; -- End function
	.section	.AMDGPU.csdata,"",@progbits
; Kernel info:
; codeLenInByte = 1132
; NumSgprs: 34
; NumVgprs: 19
; NumAgprs: 0
; TotalNumVgprs: 19
; ScratchSize: 0
; MemoryBound: 0
; FloatMode: 240
; IeeeMode: 1
; LDSByteSize: 0 bytes/workgroup (compile time only)
; SGPRBlocks: 4
; VGPRBlocks: 2
; NumSGPRsForWavesPerEU: 34
; NumVGPRsForWavesPerEU: 19
; AccumOffset: 20
; Occupancy: 8
; WaveLimiterHint : 1
; COMPUTE_PGM_RSRC2:SCRATCH_EN: 0
; COMPUTE_PGM_RSRC2:USER_SGPR: 6
; COMPUTE_PGM_RSRC2:TRAP_HANDLER: 0
; COMPUTE_PGM_RSRC2:TGID_X_EN: 1
; COMPUTE_PGM_RSRC2:TGID_Y_EN: 0
; COMPUTE_PGM_RSRC2:TGID_Z_EN: 0
; COMPUTE_PGM_RSRC2:TIDIG_COMP_CNT: 0
; COMPUTE_PGM_RSRC3_GFX90A:ACCUM_OFFSET: 4
; COMPUTE_PGM_RSRC3_GFX90A:TG_SPLIT: 0
	.section	.text._ZN9rocsparseL21csrmvt_general_kernelILj256ELj16Eii21rocsparse_complex_numIfES2_S2_S2_EEvbbT2_NS_24const_host_device_scalarIT6_EEPKT1_S9_PKS3_PKT3_PKT4_PT5_21rocsparse_index_base_b,"axG",@progbits,_ZN9rocsparseL21csrmvt_general_kernelILj256ELj16Eii21rocsparse_complex_numIfES2_S2_S2_EEvbbT2_NS_24const_host_device_scalarIT6_EEPKT1_S9_PKS3_PKT3_PKT4_PT5_21rocsparse_index_base_b,comdat
	.globl	_ZN9rocsparseL21csrmvt_general_kernelILj256ELj16Eii21rocsparse_complex_numIfES2_S2_S2_EEvbbT2_NS_24const_host_device_scalarIT6_EEPKT1_S9_PKS3_PKT3_PKT4_PT5_21rocsparse_index_base_b ; -- Begin function _ZN9rocsparseL21csrmvt_general_kernelILj256ELj16Eii21rocsparse_complex_numIfES2_S2_S2_EEvbbT2_NS_24const_host_device_scalarIT6_EEPKT1_S9_PKS3_PKT3_PKT4_PT5_21rocsparse_index_base_b
	.p2align	8
	.type	_ZN9rocsparseL21csrmvt_general_kernelILj256ELj16Eii21rocsparse_complex_numIfES2_S2_S2_EEvbbT2_NS_24const_host_device_scalarIT6_EEPKT1_S9_PKS3_PKT3_PKT4_PT5_21rocsparse_index_base_b,@function
_ZN9rocsparseL21csrmvt_general_kernelILj256ELj16Eii21rocsparse_complex_numIfES2_S2_S2_EEvbbT2_NS_24const_host_device_scalarIT6_EEPKT1_S9_PKS3_PKT3_PKT4_PT5_21rocsparse_index_base_b: ; @_ZN9rocsparseL21csrmvt_general_kernelILj256ELj16Eii21rocsparse_complex_numIfES2_S2_S2_EEvbbT2_NS_24const_host_device_scalarIT6_EEPKT1_S9_PKS3_PKT3_PKT4_PT5_21rocsparse_index_base_b
; %bb.0:
	s_load_dwordx2 s[20:21], s[4:5], 0x40
	s_load_dwordx4 s[16:19], s[4:5], 0x0
	s_load_dwordx4 s[0:3], s[4:5], 0x8
	s_waitcnt lgkmcnt(0)
	s_bitcmp1_b32 s21, 0
	s_cselect_b64 s[10:11], -1, 0
	s_xor_b64 s[8:9], s[10:11], -1
	s_and_b64 vcc, exec, s[10:11]
	v_mov_b32_e32 v12, s18
	s_cbranch_vccnz .LBB74_2
; %bb.1:
	v_pk_mov_b32 v[2:3], s[0:1], s[0:1] op_sel:[0,1]
	flat_load_dword v12, v[2:3]
.LBB74_2:
	s_andn2_b64 vcc, exec, s[8:9]
	v_mov_b32_e32 v13, s19
	s_cbranch_vccnz .LBB74_4
; %bb.3:
	v_pk_mov_b32 v[2:3], s[0:1], s[0:1] op_sel:[0,1]
	flat_load_dword v13, v[2:3] offset:4
.LBB74_4:
	s_waitcnt vmcnt(0) lgkmcnt(0)
	v_cmp_neq_f32_e32 vcc, 0, v12
	v_cmp_neq_f32_e64 s[0:1], 0, v13
	s_or_b64 s[0:1], vcc, s[0:1]
	s_and_saveexec_b64 s[8:9], s[0:1]
	s_cbranch_execz .LBB74_29
; %bb.5:
	s_load_dword s0, s[4:5], 0x0
	s_load_dwordx2 s[18:19], s[4:5], 0x38
	s_load_dword s1, s[4:5], 0x48
	s_load_dwordx8 s[8:15], s[4:5], 0x18
	v_and_b32_e32 v1, 15, v0
	s_waitcnt lgkmcnt(0)
	s_and_b32 s0, s0, 1
	s_bitcmp1_b32 s16, 8
	v_lshl_or_b32 v0, s6, 8, v0
	s_cselect_b64 s[4:5], -1, 0
	s_lshl_b32 s16, s1, 4
	v_lshrrev_b32_e32 v0, 4, v0
	s_cmp_eq_u32 s0, 0
	v_cmp_gt_i32_e64 s[0:1], s17, v0
	s_mov_b64 s[6:7], -1
	s_cbranch_scc0 .LBB74_17
; %bb.6:
	s_and_saveexec_b64 s[6:7], s[0:1]
	s_cbranch_execz .LBB74_16
; %bb.7:
	v_subrev_u32_e32 v14, s20, v1
	s_mov_b64 s[22:23], 0
	v_mov_b32_e32 v15, s3
	v_mov_b32_e32 v16, s9
	;; [unrolled: 1-line block ×3, first 2 shown]
	s_branch .LBB74_9
.LBB74_8:                               ;   in Loop: Header=BB74_9 Depth=1
	s_or_b64 exec, exec, s[24:25]
	v_add_u32_e32 v2, s16, v2
	v_cmp_le_i32_e32 vcc, s17, v2
	s_or_b64 s[22:23], vcc, s[22:23]
	s_andn2_b64 exec, exec, s[22:23]
	s_cbranch_execz .LBB74_16
.LBB74_9:                               ; =>This Loop Header: Depth=1
                                        ;     Child Loop BB74_11 Depth 2
                                        ;       Child Loop BB74_12 Depth 3
                                        ;       Child Loop BB74_14 Depth 3
	v_ashrrev_i32_e32 v3, 31, v2
	v_lshlrev_b64 v[4:5], 2, v[2:3]
	v_add_co_u32_e32 v6, vcc, s2, v4
	v_addc_co_u32_e32 v7, vcc, v15, v5, vcc
	v_add_co_u32_e32 v4, vcc, s8, v4
	v_addc_co_u32_e32 v5, vcc, v16, v5, vcc
	global_load_dword v8, v[4:5], off
	global_load_dword v9, v[6:7], off
	s_waitcnt vmcnt(1)
	v_subrev_u32_e32 v17, s20, v8
	s_waitcnt vmcnt(0)
	v_add_u32_e32 v4, v9, v14
	v_cmp_lt_i32_e32 vcc, v4, v17
	s_and_saveexec_b64 s[24:25], vcc
	s_cbranch_execz .LBB74_8
; %bb.10:                               ;   in Loop: Header=BB74_9 Depth=1
	v_lshlrev_b64 v[6:7], 3, v[2:3]
	v_mov_b32_e32 v3, s15
	v_add_co_u32_e32 v6, vcc, s14, v6
	v_addc_co_u32_e32 v7, vcc, v3, v7, vcc
	global_load_dwordx2 v[6:7], v[6:7], off
	s_mov_b64 s[26:27], 0
	s_waitcnt vmcnt(0)
	v_mul_f32_e64 v3, v7, -v13
	v_mul_f32_e32 v18, v12, v7
	v_fmac_f32_e32 v3, v12, v6
	v_fmac_f32_e32 v18, v13, v6
.LBB74_11:                              ;   Parent Loop BB74_9 Depth=1
                                        ; =>  This Loop Header: Depth=2
                                        ;       Child Loop BB74_12 Depth 3
                                        ;       Child Loop BB74_14 Depth 3
	v_ashrrev_i32_e32 v5, 31, v4
	v_lshlrev_b64 v[6:7], 2, v[4:5]
	v_mov_b32_e32 v8, s11
	v_add_co_u32_e32 v6, vcc, s10, v6
	v_addc_co_u32_e32 v7, vcc, v8, v7, vcc
	global_load_dword v10, v[6:7], off
	v_lshlrev_b64 v[6:7], 3, v[4:5]
	v_mov_b32_e32 v8, s13
	v_add_co_u32_e32 v6, vcc, s12, v6
	v_addc_co_u32_e32 v7, vcc, v8, v7, vcc
	global_load_dwordx2 v[8:9], v[6:7], off
	v_mov_b32_e32 v11, s19
	s_mov_b64 s[28:29], 0
	s_waitcnt vmcnt(1)
	v_subrev_u32_e32 v6, s20, v10
	v_ashrrev_i32_e32 v7, 31, v6
	v_lshlrev_b64 v[6:7], 3, v[6:7]
	v_add_co_u32_e32 v6, vcc, s18, v6
	v_addc_co_u32_e32 v7, vcc, v11, v7, vcc
	global_load_dword v11, v[6:7], off
	s_waitcnt vmcnt(1)
	v_cndmask_b32_e64 v5, v9, -v9, s[4:5]
	v_mul_f32_e64 v9, v5, -v18
	v_fmac_f32_e32 v9, v3, v8
.LBB74_12:                              ;   Parent Loop BB74_9 Depth=1
                                        ;     Parent Loop BB74_11 Depth=2
                                        ; =>    This Inner Loop Header: Depth=3
	s_waitcnt vmcnt(0)
	v_add_f32_e32 v10, v11, v9
	global_atomic_cmpswap v10, v[6:7], v[10:11], off glc
	s_waitcnt vmcnt(0)
	v_cmp_eq_u32_e32 vcc, v10, v11
	s_or_b64 s[28:29], vcc, s[28:29]
	v_mov_b32_e32 v11, v10
	s_andn2_b64 exec, exec, s[28:29]
	s_cbranch_execnz .LBB74_12
; %bb.13:                               ;   in Loop: Header=BB74_11 Depth=2
	s_or_b64 exec, exec, s[28:29]
	global_load_dword v9, v[6:7], off offset:4
	v_mul_f32_e32 v5, v3, v5
	v_fmac_f32_e32 v5, v18, v8
	s_mov_b64 s[28:29], 0
.LBB74_14:                              ;   Parent Loop BB74_9 Depth=1
                                        ;     Parent Loop BB74_11 Depth=2
                                        ; =>    This Inner Loop Header: Depth=3
	s_waitcnt vmcnt(0)
	v_add_f32_e32 v8, v9, v5
	global_atomic_cmpswap v8, v[6:7], v[8:9], off offset:4 glc
	s_waitcnt vmcnt(0)
	v_cmp_eq_u32_e32 vcc, v8, v9
	s_or_b64 s[28:29], vcc, s[28:29]
	v_mov_b32_e32 v9, v8
	s_andn2_b64 exec, exec, s[28:29]
	s_cbranch_execnz .LBB74_14
; %bb.15:                               ;   in Loop: Header=BB74_11 Depth=2
	s_or_b64 exec, exec, s[28:29]
	v_add_u32_e32 v4, 16, v4
	v_cmp_ge_i32_e32 vcc, v4, v17
	s_or_b64 s[26:27], vcc, s[26:27]
	s_andn2_b64 exec, exec, s[26:27]
	s_cbranch_execnz .LBB74_11
	s_branch .LBB74_8
.LBB74_16:
	s_or_b64 exec, exec, s[6:7]
	s_mov_b64 s[6:7], 0
.LBB74_17:
	s_andn2_b64 vcc, exec, s[6:7]
	s_cbranch_vccnz .LBB74_29
; %bb.18:
	s_and_b64 exec, exec, s[0:1]
	s_cbranch_execz .LBB74_29
; %bb.19:
	v_subrev_u32_e32 v10, s20, v1
	s_mov_b64 s[0:1], 0
	v_mov_b32_e32 v11, s3
	v_mov_b32_e32 v14, s9
	s_branch .LBB74_21
.LBB74_20:                              ;   in Loop: Header=BB74_21 Depth=1
	s_or_b64 exec, exec, s[6:7]
	v_add_u32_e32 v0, s16, v0
	v_cmp_le_i32_e32 vcc, s17, v0
	s_or_b64 s[0:1], vcc, s[0:1]
	s_andn2_b64 exec, exec, s[0:1]
	s_cbranch_execz .LBB74_29
.LBB74_21:                              ; =>This Loop Header: Depth=1
                                        ;     Child Loop BB74_24 Depth 2
                                        ;       Child Loop BB74_26 Depth 3
                                        ;       Child Loop BB74_28 Depth 3
	v_ashrrev_i32_e32 v1, 31, v0
	v_lshlrev_b64 v[2:3], 2, v[0:1]
	v_add_co_u32_e32 v4, vcc, s2, v2
	v_addc_co_u32_e32 v5, vcc, v11, v3, vcc
	v_add_co_u32_e32 v2, vcc, s8, v2
	v_addc_co_u32_e32 v3, vcc, v14, v3, vcc
	global_load_dword v6, v[2:3], off
	global_load_dword v7, v[4:5], off
	s_waitcnt vmcnt(1)
	v_subrev_u32_e32 v15, s20, v6
	s_waitcnt vmcnt(0)
	v_add_u32_e32 v2, v7, v10
	v_cmp_lt_i32_e32 vcc, v2, v15
	s_and_saveexec_b64 s[6:7], vcc
	s_cbranch_execz .LBB74_20
; %bb.22:                               ;   in Loop: Header=BB74_21 Depth=1
	v_lshlrev_b64 v[4:5], 3, v[0:1]
	v_mov_b32_e32 v1, s15
	v_add_co_u32_e32 v4, vcc, s14, v4
	v_addc_co_u32_e32 v5, vcc, v1, v5, vcc
	global_load_dwordx2 v[4:5], v[4:5], off
	s_mov_b64 s[22:23], 0
	s_waitcnt vmcnt(0)
	v_mul_f32_e64 v1, v5, -v13
	v_mul_f32_e32 v16, v12, v5
	v_fmac_f32_e32 v1, v12, v4
	v_fmac_f32_e32 v16, v13, v4
	s_branch .LBB74_24
.LBB74_23:                              ;   in Loop: Header=BB74_24 Depth=2
	s_or_b64 exec, exec, s[24:25]
	v_add_u32_e32 v2, 16, v2
	v_cmp_ge_i32_e32 vcc, v2, v15
	s_or_b64 s[22:23], vcc, s[22:23]
	s_andn2_b64 exec, exec, s[22:23]
	s_cbranch_execz .LBB74_20
.LBB74_24:                              ;   Parent Loop BB74_21 Depth=1
                                        ; =>  This Loop Header: Depth=2
                                        ;       Child Loop BB74_26 Depth 3
                                        ;       Child Loop BB74_28 Depth 3
	v_ashrrev_i32_e32 v3, 31, v2
	v_lshlrev_b64 v[4:5], 2, v[2:3]
	v_mov_b32_e32 v6, s11
	v_add_co_u32_e32 v4, vcc, s10, v4
	v_addc_co_u32_e32 v5, vcc, v6, v5, vcc
	global_load_dword v4, v[4:5], off
	s_waitcnt vmcnt(0)
	v_subrev_u32_e32 v4, s20, v4
	v_cmp_ne_u32_e32 vcc, v4, v0
	s_and_saveexec_b64 s[24:25], vcc
	s_cbranch_execz .LBB74_23
; %bb.25:                               ;   in Loop: Header=BB74_24 Depth=2
	v_lshlrev_b64 v[6:7], 3, v[2:3]
	v_mov_b32_e32 v3, s13
	v_add_co_u32_e32 v6, vcc, s12, v6
	v_addc_co_u32_e32 v7, vcc, v3, v7, vcc
	v_ashrrev_i32_e32 v5, 31, v4
	global_load_dwordx2 v[6:7], v[6:7], off
	v_lshlrev_b64 v[4:5], 3, v[4:5]
	v_mov_b32_e32 v3, s19
	v_add_co_u32_e32 v4, vcc, s18, v4
	v_addc_co_u32_e32 v5, vcc, v3, v5, vcc
	global_load_dword v9, v[4:5], off
	s_mov_b64 s[26:27], 0
	s_waitcnt vmcnt(1)
	v_cndmask_b32_e64 v3, v7, -v7, s[4:5]
	v_mul_f32_e64 v7, v3, -v16
	v_fmac_f32_e32 v7, v1, v6
.LBB74_26:                              ;   Parent Loop BB74_21 Depth=1
                                        ;     Parent Loop BB74_24 Depth=2
                                        ; =>    This Inner Loop Header: Depth=3
	s_waitcnt vmcnt(0)
	v_add_f32_e32 v8, v9, v7
	global_atomic_cmpswap v8, v[4:5], v[8:9], off glc
	s_waitcnt vmcnt(0)
	v_cmp_eq_u32_e32 vcc, v8, v9
	s_or_b64 s[26:27], vcc, s[26:27]
	v_mov_b32_e32 v9, v8
	s_andn2_b64 exec, exec, s[26:27]
	s_cbranch_execnz .LBB74_26
; %bb.27:                               ;   in Loop: Header=BB74_24 Depth=2
	s_or_b64 exec, exec, s[26:27]
	global_load_dword v7, v[4:5], off offset:4
	v_mul_f32_e32 v3, v1, v3
	v_fmac_f32_e32 v3, v16, v6
	s_mov_b64 s[26:27], 0
.LBB74_28:                              ;   Parent Loop BB74_21 Depth=1
                                        ;     Parent Loop BB74_24 Depth=2
                                        ; =>    This Inner Loop Header: Depth=3
	s_waitcnt vmcnt(0)
	v_add_f32_e32 v6, v7, v3
	global_atomic_cmpswap v6, v[4:5], v[6:7], off offset:4 glc
	s_waitcnt vmcnt(0)
	v_cmp_eq_u32_e32 vcc, v6, v7
	s_or_b64 s[26:27], vcc, s[26:27]
	v_mov_b32_e32 v7, v6
	s_andn2_b64 exec, exec, s[26:27]
	s_cbranch_execnz .LBB74_28
	s_branch .LBB74_23
.LBB74_29:
	s_endpgm
	.section	.rodata,"a",@progbits
	.p2align	6, 0x0
	.amdhsa_kernel _ZN9rocsparseL21csrmvt_general_kernelILj256ELj16Eii21rocsparse_complex_numIfES2_S2_S2_EEvbbT2_NS_24const_host_device_scalarIT6_EEPKT1_S9_PKS3_PKT3_PKT4_PT5_21rocsparse_index_base_b
		.amdhsa_group_segment_fixed_size 0
		.amdhsa_private_segment_fixed_size 0
		.amdhsa_kernarg_size 328
		.amdhsa_user_sgpr_count 6
		.amdhsa_user_sgpr_private_segment_buffer 1
		.amdhsa_user_sgpr_dispatch_ptr 0
		.amdhsa_user_sgpr_queue_ptr 0
		.amdhsa_user_sgpr_kernarg_segment_ptr 1
		.amdhsa_user_sgpr_dispatch_id 0
		.amdhsa_user_sgpr_flat_scratch_init 0
		.amdhsa_user_sgpr_kernarg_preload_length 0
		.amdhsa_user_sgpr_kernarg_preload_offset 0
		.amdhsa_user_sgpr_private_segment_size 0
		.amdhsa_uses_dynamic_stack 0
		.amdhsa_system_sgpr_private_segment_wavefront_offset 0
		.amdhsa_system_sgpr_workgroup_id_x 1
		.amdhsa_system_sgpr_workgroup_id_y 0
		.amdhsa_system_sgpr_workgroup_id_z 0
		.amdhsa_system_sgpr_workgroup_info 0
		.amdhsa_system_vgpr_workitem_id 0
		.amdhsa_next_free_vgpr 19
		.amdhsa_next_free_sgpr 30
		.amdhsa_accum_offset 20
		.amdhsa_reserve_vcc 1
		.amdhsa_reserve_flat_scratch 0
		.amdhsa_float_round_mode_32 0
		.amdhsa_float_round_mode_16_64 0
		.amdhsa_float_denorm_mode_32 3
		.amdhsa_float_denorm_mode_16_64 3
		.amdhsa_dx10_clamp 1
		.amdhsa_ieee_mode 1
		.amdhsa_fp16_overflow 0
		.amdhsa_tg_split 0
		.amdhsa_exception_fp_ieee_invalid_op 0
		.amdhsa_exception_fp_denorm_src 0
		.amdhsa_exception_fp_ieee_div_zero 0
		.amdhsa_exception_fp_ieee_overflow 0
		.amdhsa_exception_fp_ieee_underflow 0
		.amdhsa_exception_fp_ieee_inexact 0
		.amdhsa_exception_int_div_zero 0
	.end_amdhsa_kernel
	.section	.text._ZN9rocsparseL21csrmvt_general_kernelILj256ELj16Eii21rocsparse_complex_numIfES2_S2_S2_EEvbbT2_NS_24const_host_device_scalarIT6_EEPKT1_S9_PKS3_PKT3_PKT4_PT5_21rocsparse_index_base_b,"axG",@progbits,_ZN9rocsparseL21csrmvt_general_kernelILj256ELj16Eii21rocsparse_complex_numIfES2_S2_S2_EEvbbT2_NS_24const_host_device_scalarIT6_EEPKT1_S9_PKS3_PKT3_PKT4_PT5_21rocsparse_index_base_b,comdat
.Lfunc_end74:
	.size	_ZN9rocsparseL21csrmvt_general_kernelILj256ELj16Eii21rocsparse_complex_numIfES2_S2_S2_EEvbbT2_NS_24const_host_device_scalarIT6_EEPKT1_S9_PKS3_PKT3_PKT4_PT5_21rocsparse_index_base_b, .Lfunc_end74-_ZN9rocsparseL21csrmvt_general_kernelILj256ELj16Eii21rocsparse_complex_numIfES2_S2_S2_EEvbbT2_NS_24const_host_device_scalarIT6_EEPKT1_S9_PKS3_PKT3_PKT4_PT5_21rocsparse_index_base_b
                                        ; -- End function
	.section	.AMDGPU.csdata,"",@progbits
; Kernel info:
; codeLenInByte = 1132
; NumSgprs: 34
; NumVgprs: 19
; NumAgprs: 0
; TotalNumVgprs: 19
; ScratchSize: 0
; MemoryBound: 0
; FloatMode: 240
; IeeeMode: 1
; LDSByteSize: 0 bytes/workgroup (compile time only)
; SGPRBlocks: 4
; VGPRBlocks: 2
; NumSGPRsForWavesPerEU: 34
; NumVGPRsForWavesPerEU: 19
; AccumOffset: 20
; Occupancy: 8
; WaveLimiterHint : 1
; COMPUTE_PGM_RSRC2:SCRATCH_EN: 0
; COMPUTE_PGM_RSRC2:USER_SGPR: 6
; COMPUTE_PGM_RSRC2:TRAP_HANDLER: 0
; COMPUTE_PGM_RSRC2:TGID_X_EN: 1
; COMPUTE_PGM_RSRC2:TGID_Y_EN: 0
; COMPUTE_PGM_RSRC2:TGID_Z_EN: 0
; COMPUTE_PGM_RSRC2:TIDIG_COMP_CNT: 0
; COMPUTE_PGM_RSRC3_GFX90A:ACCUM_OFFSET: 4
; COMPUTE_PGM_RSRC3_GFX90A:TG_SPLIT: 0
	.section	.text._ZN9rocsparseL21csrmvt_general_kernelILj256ELj32Eii21rocsparse_complex_numIfES2_S2_S2_EEvbbT2_NS_24const_host_device_scalarIT6_EEPKT1_S9_PKS3_PKT3_PKT4_PT5_21rocsparse_index_base_b,"axG",@progbits,_ZN9rocsparseL21csrmvt_general_kernelILj256ELj32Eii21rocsparse_complex_numIfES2_S2_S2_EEvbbT2_NS_24const_host_device_scalarIT6_EEPKT1_S9_PKS3_PKT3_PKT4_PT5_21rocsparse_index_base_b,comdat
	.globl	_ZN9rocsparseL21csrmvt_general_kernelILj256ELj32Eii21rocsparse_complex_numIfES2_S2_S2_EEvbbT2_NS_24const_host_device_scalarIT6_EEPKT1_S9_PKS3_PKT3_PKT4_PT5_21rocsparse_index_base_b ; -- Begin function _ZN9rocsparseL21csrmvt_general_kernelILj256ELj32Eii21rocsparse_complex_numIfES2_S2_S2_EEvbbT2_NS_24const_host_device_scalarIT6_EEPKT1_S9_PKS3_PKT3_PKT4_PT5_21rocsparse_index_base_b
	.p2align	8
	.type	_ZN9rocsparseL21csrmvt_general_kernelILj256ELj32Eii21rocsparse_complex_numIfES2_S2_S2_EEvbbT2_NS_24const_host_device_scalarIT6_EEPKT1_S9_PKS3_PKT3_PKT4_PT5_21rocsparse_index_base_b,@function
_ZN9rocsparseL21csrmvt_general_kernelILj256ELj32Eii21rocsparse_complex_numIfES2_S2_S2_EEvbbT2_NS_24const_host_device_scalarIT6_EEPKT1_S9_PKS3_PKT3_PKT4_PT5_21rocsparse_index_base_b: ; @_ZN9rocsparseL21csrmvt_general_kernelILj256ELj32Eii21rocsparse_complex_numIfES2_S2_S2_EEvbbT2_NS_24const_host_device_scalarIT6_EEPKT1_S9_PKS3_PKT3_PKT4_PT5_21rocsparse_index_base_b
; %bb.0:
	s_load_dwordx2 s[20:21], s[4:5], 0x40
	s_load_dwordx4 s[16:19], s[4:5], 0x0
	s_load_dwordx4 s[0:3], s[4:5], 0x8
	s_waitcnt lgkmcnt(0)
	s_bitcmp1_b32 s21, 0
	s_cselect_b64 s[10:11], -1, 0
	s_xor_b64 s[8:9], s[10:11], -1
	s_and_b64 vcc, exec, s[10:11]
	v_mov_b32_e32 v12, s18
	s_cbranch_vccnz .LBB75_2
; %bb.1:
	v_pk_mov_b32 v[2:3], s[0:1], s[0:1] op_sel:[0,1]
	flat_load_dword v12, v[2:3]
.LBB75_2:
	s_andn2_b64 vcc, exec, s[8:9]
	v_mov_b32_e32 v13, s19
	s_cbranch_vccnz .LBB75_4
; %bb.3:
	v_pk_mov_b32 v[2:3], s[0:1], s[0:1] op_sel:[0,1]
	flat_load_dword v13, v[2:3] offset:4
.LBB75_4:
	s_waitcnt vmcnt(0) lgkmcnt(0)
	v_cmp_neq_f32_e32 vcc, 0, v12
	v_cmp_neq_f32_e64 s[0:1], 0, v13
	s_or_b64 s[0:1], vcc, s[0:1]
	s_and_saveexec_b64 s[8:9], s[0:1]
	s_cbranch_execz .LBB75_29
; %bb.5:
	s_load_dword s0, s[4:5], 0x0
	s_load_dwordx2 s[18:19], s[4:5], 0x38
	s_load_dword s1, s[4:5], 0x48
	s_load_dwordx8 s[8:15], s[4:5], 0x18
	v_and_b32_e32 v1, 31, v0
	s_waitcnt lgkmcnt(0)
	s_and_b32 s0, s0, 1
	s_bitcmp1_b32 s16, 8
	v_lshl_or_b32 v0, s6, 8, v0
	s_cselect_b64 s[4:5], -1, 0
	s_lshl_b32 s16, s1, 3
	v_lshrrev_b32_e32 v0, 5, v0
	s_cmp_eq_u32 s0, 0
	v_cmp_gt_i32_e64 s[0:1], s17, v0
	s_mov_b64 s[6:7], -1
	s_cbranch_scc0 .LBB75_17
; %bb.6:
	s_and_saveexec_b64 s[6:7], s[0:1]
	s_cbranch_execz .LBB75_16
; %bb.7:
	v_subrev_u32_e32 v14, s20, v1
	s_mov_b64 s[22:23], 0
	v_mov_b32_e32 v15, s3
	v_mov_b32_e32 v16, s9
	;; [unrolled: 1-line block ×3, first 2 shown]
	s_branch .LBB75_9
.LBB75_8:                               ;   in Loop: Header=BB75_9 Depth=1
	s_or_b64 exec, exec, s[24:25]
	v_add_u32_e32 v2, s16, v2
	v_cmp_le_i32_e32 vcc, s17, v2
	s_or_b64 s[22:23], vcc, s[22:23]
	s_andn2_b64 exec, exec, s[22:23]
	s_cbranch_execz .LBB75_16
.LBB75_9:                               ; =>This Loop Header: Depth=1
                                        ;     Child Loop BB75_11 Depth 2
                                        ;       Child Loop BB75_12 Depth 3
                                        ;       Child Loop BB75_14 Depth 3
	v_ashrrev_i32_e32 v3, 31, v2
	v_lshlrev_b64 v[4:5], 2, v[2:3]
	v_add_co_u32_e32 v6, vcc, s2, v4
	v_addc_co_u32_e32 v7, vcc, v15, v5, vcc
	v_add_co_u32_e32 v4, vcc, s8, v4
	v_addc_co_u32_e32 v5, vcc, v16, v5, vcc
	global_load_dword v8, v[4:5], off
	global_load_dword v9, v[6:7], off
	s_waitcnt vmcnt(1)
	v_subrev_u32_e32 v17, s20, v8
	s_waitcnt vmcnt(0)
	v_add_u32_e32 v4, v9, v14
	v_cmp_lt_i32_e32 vcc, v4, v17
	s_and_saveexec_b64 s[24:25], vcc
	s_cbranch_execz .LBB75_8
; %bb.10:                               ;   in Loop: Header=BB75_9 Depth=1
	v_lshlrev_b64 v[6:7], 3, v[2:3]
	v_mov_b32_e32 v3, s15
	v_add_co_u32_e32 v6, vcc, s14, v6
	v_addc_co_u32_e32 v7, vcc, v3, v7, vcc
	global_load_dwordx2 v[6:7], v[6:7], off
	s_mov_b64 s[26:27], 0
	s_waitcnt vmcnt(0)
	v_mul_f32_e64 v3, v7, -v13
	v_mul_f32_e32 v18, v12, v7
	v_fmac_f32_e32 v3, v12, v6
	v_fmac_f32_e32 v18, v13, v6
.LBB75_11:                              ;   Parent Loop BB75_9 Depth=1
                                        ; =>  This Loop Header: Depth=2
                                        ;       Child Loop BB75_12 Depth 3
                                        ;       Child Loop BB75_14 Depth 3
	v_ashrrev_i32_e32 v5, 31, v4
	v_lshlrev_b64 v[6:7], 2, v[4:5]
	v_mov_b32_e32 v8, s11
	v_add_co_u32_e32 v6, vcc, s10, v6
	v_addc_co_u32_e32 v7, vcc, v8, v7, vcc
	global_load_dword v10, v[6:7], off
	v_lshlrev_b64 v[6:7], 3, v[4:5]
	v_mov_b32_e32 v8, s13
	v_add_co_u32_e32 v6, vcc, s12, v6
	v_addc_co_u32_e32 v7, vcc, v8, v7, vcc
	global_load_dwordx2 v[8:9], v[6:7], off
	v_mov_b32_e32 v11, s19
	s_mov_b64 s[28:29], 0
	s_waitcnt vmcnt(1)
	v_subrev_u32_e32 v6, s20, v10
	v_ashrrev_i32_e32 v7, 31, v6
	v_lshlrev_b64 v[6:7], 3, v[6:7]
	v_add_co_u32_e32 v6, vcc, s18, v6
	v_addc_co_u32_e32 v7, vcc, v11, v7, vcc
	global_load_dword v11, v[6:7], off
	s_waitcnt vmcnt(1)
	v_cndmask_b32_e64 v5, v9, -v9, s[4:5]
	v_mul_f32_e64 v9, v5, -v18
	v_fmac_f32_e32 v9, v3, v8
.LBB75_12:                              ;   Parent Loop BB75_9 Depth=1
                                        ;     Parent Loop BB75_11 Depth=2
                                        ; =>    This Inner Loop Header: Depth=3
	s_waitcnt vmcnt(0)
	v_add_f32_e32 v10, v11, v9
	global_atomic_cmpswap v10, v[6:7], v[10:11], off glc
	s_waitcnt vmcnt(0)
	v_cmp_eq_u32_e32 vcc, v10, v11
	s_or_b64 s[28:29], vcc, s[28:29]
	v_mov_b32_e32 v11, v10
	s_andn2_b64 exec, exec, s[28:29]
	s_cbranch_execnz .LBB75_12
; %bb.13:                               ;   in Loop: Header=BB75_11 Depth=2
	s_or_b64 exec, exec, s[28:29]
	global_load_dword v9, v[6:7], off offset:4
	v_mul_f32_e32 v5, v3, v5
	v_fmac_f32_e32 v5, v18, v8
	s_mov_b64 s[28:29], 0
.LBB75_14:                              ;   Parent Loop BB75_9 Depth=1
                                        ;     Parent Loop BB75_11 Depth=2
                                        ; =>    This Inner Loop Header: Depth=3
	s_waitcnt vmcnt(0)
	v_add_f32_e32 v8, v9, v5
	global_atomic_cmpswap v8, v[6:7], v[8:9], off offset:4 glc
	s_waitcnt vmcnt(0)
	v_cmp_eq_u32_e32 vcc, v8, v9
	s_or_b64 s[28:29], vcc, s[28:29]
	v_mov_b32_e32 v9, v8
	s_andn2_b64 exec, exec, s[28:29]
	s_cbranch_execnz .LBB75_14
; %bb.15:                               ;   in Loop: Header=BB75_11 Depth=2
	s_or_b64 exec, exec, s[28:29]
	v_add_u32_e32 v4, 32, v4
	v_cmp_ge_i32_e32 vcc, v4, v17
	s_or_b64 s[26:27], vcc, s[26:27]
	s_andn2_b64 exec, exec, s[26:27]
	s_cbranch_execnz .LBB75_11
	s_branch .LBB75_8
.LBB75_16:
	s_or_b64 exec, exec, s[6:7]
	s_mov_b64 s[6:7], 0
.LBB75_17:
	s_andn2_b64 vcc, exec, s[6:7]
	s_cbranch_vccnz .LBB75_29
; %bb.18:
	s_and_b64 exec, exec, s[0:1]
	s_cbranch_execz .LBB75_29
; %bb.19:
	v_subrev_u32_e32 v10, s20, v1
	s_mov_b64 s[0:1], 0
	v_mov_b32_e32 v11, s3
	v_mov_b32_e32 v14, s9
	s_branch .LBB75_21
.LBB75_20:                              ;   in Loop: Header=BB75_21 Depth=1
	s_or_b64 exec, exec, s[6:7]
	v_add_u32_e32 v0, s16, v0
	v_cmp_le_i32_e32 vcc, s17, v0
	s_or_b64 s[0:1], vcc, s[0:1]
	s_andn2_b64 exec, exec, s[0:1]
	s_cbranch_execz .LBB75_29
.LBB75_21:                              ; =>This Loop Header: Depth=1
                                        ;     Child Loop BB75_24 Depth 2
                                        ;       Child Loop BB75_26 Depth 3
                                        ;       Child Loop BB75_28 Depth 3
	v_ashrrev_i32_e32 v1, 31, v0
	v_lshlrev_b64 v[2:3], 2, v[0:1]
	v_add_co_u32_e32 v4, vcc, s2, v2
	v_addc_co_u32_e32 v5, vcc, v11, v3, vcc
	v_add_co_u32_e32 v2, vcc, s8, v2
	v_addc_co_u32_e32 v3, vcc, v14, v3, vcc
	global_load_dword v6, v[2:3], off
	global_load_dword v7, v[4:5], off
	s_waitcnt vmcnt(1)
	v_subrev_u32_e32 v15, s20, v6
	s_waitcnt vmcnt(0)
	v_add_u32_e32 v2, v7, v10
	v_cmp_lt_i32_e32 vcc, v2, v15
	s_and_saveexec_b64 s[6:7], vcc
	s_cbranch_execz .LBB75_20
; %bb.22:                               ;   in Loop: Header=BB75_21 Depth=1
	v_lshlrev_b64 v[4:5], 3, v[0:1]
	v_mov_b32_e32 v1, s15
	v_add_co_u32_e32 v4, vcc, s14, v4
	v_addc_co_u32_e32 v5, vcc, v1, v5, vcc
	global_load_dwordx2 v[4:5], v[4:5], off
	s_mov_b64 s[22:23], 0
	s_waitcnt vmcnt(0)
	v_mul_f32_e64 v1, v5, -v13
	v_mul_f32_e32 v16, v12, v5
	v_fmac_f32_e32 v1, v12, v4
	v_fmac_f32_e32 v16, v13, v4
	s_branch .LBB75_24
.LBB75_23:                              ;   in Loop: Header=BB75_24 Depth=2
	s_or_b64 exec, exec, s[24:25]
	v_add_u32_e32 v2, 32, v2
	v_cmp_ge_i32_e32 vcc, v2, v15
	s_or_b64 s[22:23], vcc, s[22:23]
	s_andn2_b64 exec, exec, s[22:23]
	s_cbranch_execz .LBB75_20
.LBB75_24:                              ;   Parent Loop BB75_21 Depth=1
                                        ; =>  This Loop Header: Depth=2
                                        ;       Child Loop BB75_26 Depth 3
                                        ;       Child Loop BB75_28 Depth 3
	v_ashrrev_i32_e32 v3, 31, v2
	v_lshlrev_b64 v[4:5], 2, v[2:3]
	v_mov_b32_e32 v6, s11
	v_add_co_u32_e32 v4, vcc, s10, v4
	v_addc_co_u32_e32 v5, vcc, v6, v5, vcc
	global_load_dword v4, v[4:5], off
	s_waitcnt vmcnt(0)
	v_subrev_u32_e32 v4, s20, v4
	v_cmp_ne_u32_e32 vcc, v4, v0
	s_and_saveexec_b64 s[24:25], vcc
	s_cbranch_execz .LBB75_23
; %bb.25:                               ;   in Loop: Header=BB75_24 Depth=2
	v_lshlrev_b64 v[6:7], 3, v[2:3]
	v_mov_b32_e32 v3, s13
	v_add_co_u32_e32 v6, vcc, s12, v6
	v_addc_co_u32_e32 v7, vcc, v3, v7, vcc
	v_ashrrev_i32_e32 v5, 31, v4
	global_load_dwordx2 v[6:7], v[6:7], off
	v_lshlrev_b64 v[4:5], 3, v[4:5]
	v_mov_b32_e32 v3, s19
	v_add_co_u32_e32 v4, vcc, s18, v4
	v_addc_co_u32_e32 v5, vcc, v3, v5, vcc
	global_load_dword v9, v[4:5], off
	s_mov_b64 s[26:27], 0
	s_waitcnt vmcnt(1)
	v_cndmask_b32_e64 v3, v7, -v7, s[4:5]
	v_mul_f32_e64 v7, v3, -v16
	v_fmac_f32_e32 v7, v1, v6
.LBB75_26:                              ;   Parent Loop BB75_21 Depth=1
                                        ;     Parent Loop BB75_24 Depth=2
                                        ; =>    This Inner Loop Header: Depth=3
	s_waitcnt vmcnt(0)
	v_add_f32_e32 v8, v9, v7
	global_atomic_cmpswap v8, v[4:5], v[8:9], off glc
	s_waitcnt vmcnt(0)
	v_cmp_eq_u32_e32 vcc, v8, v9
	s_or_b64 s[26:27], vcc, s[26:27]
	v_mov_b32_e32 v9, v8
	s_andn2_b64 exec, exec, s[26:27]
	s_cbranch_execnz .LBB75_26
; %bb.27:                               ;   in Loop: Header=BB75_24 Depth=2
	s_or_b64 exec, exec, s[26:27]
	global_load_dword v7, v[4:5], off offset:4
	v_mul_f32_e32 v3, v1, v3
	v_fmac_f32_e32 v3, v16, v6
	s_mov_b64 s[26:27], 0
.LBB75_28:                              ;   Parent Loop BB75_21 Depth=1
                                        ;     Parent Loop BB75_24 Depth=2
                                        ; =>    This Inner Loop Header: Depth=3
	s_waitcnt vmcnt(0)
	v_add_f32_e32 v6, v7, v3
	global_atomic_cmpswap v6, v[4:5], v[6:7], off offset:4 glc
	s_waitcnt vmcnt(0)
	v_cmp_eq_u32_e32 vcc, v6, v7
	s_or_b64 s[26:27], vcc, s[26:27]
	v_mov_b32_e32 v7, v6
	s_andn2_b64 exec, exec, s[26:27]
	s_cbranch_execnz .LBB75_28
	s_branch .LBB75_23
.LBB75_29:
	s_endpgm
	.section	.rodata,"a",@progbits
	.p2align	6, 0x0
	.amdhsa_kernel _ZN9rocsparseL21csrmvt_general_kernelILj256ELj32Eii21rocsparse_complex_numIfES2_S2_S2_EEvbbT2_NS_24const_host_device_scalarIT6_EEPKT1_S9_PKS3_PKT3_PKT4_PT5_21rocsparse_index_base_b
		.amdhsa_group_segment_fixed_size 0
		.amdhsa_private_segment_fixed_size 0
		.amdhsa_kernarg_size 328
		.amdhsa_user_sgpr_count 6
		.amdhsa_user_sgpr_private_segment_buffer 1
		.amdhsa_user_sgpr_dispatch_ptr 0
		.amdhsa_user_sgpr_queue_ptr 0
		.amdhsa_user_sgpr_kernarg_segment_ptr 1
		.amdhsa_user_sgpr_dispatch_id 0
		.amdhsa_user_sgpr_flat_scratch_init 0
		.amdhsa_user_sgpr_kernarg_preload_length 0
		.amdhsa_user_sgpr_kernarg_preload_offset 0
		.amdhsa_user_sgpr_private_segment_size 0
		.amdhsa_uses_dynamic_stack 0
		.amdhsa_system_sgpr_private_segment_wavefront_offset 0
		.amdhsa_system_sgpr_workgroup_id_x 1
		.amdhsa_system_sgpr_workgroup_id_y 0
		.amdhsa_system_sgpr_workgroup_id_z 0
		.amdhsa_system_sgpr_workgroup_info 0
		.amdhsa_system_vgpr_workitem_id 0
		.amdhsa_next_free_vgpr 19
		.amdhsa_next_free_sgpr 30
		.amdhsa_accum_offset 20
		.amdhsa_reserve_vcc 1
		.amdhsa_reserve_flat_scratch 0
		.amdhsa_float_round_mode_32 0
		.amdhsa_float_round_mode_16_64 0
		.amdhsa_float_denorm_mode_32 3
		.amdhsa_float_denorm_mode_16_64 3
		.amdhsa_dx10_clamp 1
		.amdhsa_ieee_mode 1
		.amdhsa_fp16_overflow 0
		.amdhsa_tg_split 0
		.amdhsa_exception_fp_ieee_invalid_op 0
		.amdhsa_exception_fp_denorm_src 0
		.amdhsa_exception_fp_ieee_div_zero 0
		.amdhsa_exception_fp_ieee_overflow 0
		.amdhsa_exception_fp_ieee_underflow 0
		.amdhsa_exception_fp_ieee_inexact 0
		.amdhsa_exception_int_div_zero 0
	.end_amdhsa_kernel
	.section	.text._ZN9rocsparseL21csrmvt_general_kernelILj256ELj32Eii21rocsparse_complex_numIfES2_S2_S2_EEvbbT2_NS_24const_host_device_scalarIT6_EEPKT1_S9_PKS3_PKT3_PKT4_PT5_21rocsparse_index_base_b,"axG",@progbits,_ZN9rocsparseL21csrmvt_general_kernelILj256ELj32Eii21rocsparse_complex_numIfES2_S2_S2_EEvbbT2_NS_24const_host_device_scalarIT6_EEPKT1_S9_PKS3_PKT3_PKT4_PT5_21rocsparse_index_base_b,comdat
.Lfunc_end75:
	.size	_ZN9rocsparseL21csrmvt_general_kernelILj256ELj32Eii21rocsparse_complex_numIfES2_S2_S2_EEvbbT2_NS_24const_host_device_scalarIT6_EEPKT1_S9_PKS3_PKT3_PKT4_PT5_21rocsparse_index_base_b, .Lfunc_end75-_ZN9rocsparseL21csrmvt_general_kernelILj256ELj32Eii21rocsparse_complex_numIfES2_S2_S2_EEvbbT2_NS_24const_host_device_scalarIT6_EEPKT1_S9_PKS3_PKT3_PKT4_PT5_21rocsparse_index_base_b
                                        ; -- End function
	.section	.AMDGPU.csdata,"",@progbits
; Kernel info:
; codeLenInByte = 1132
; NumSgprs: 34
; NumVgprs: 19
; NumAgprs: 0
; TotalNumVgprs: 19
; ScratchSize: 0
; MemoryBound: 0
; FloatMode: 240
; IeeeMode: 1
; LDSByteSize: 0 bytes/workgroup (compile time only)
; SGPRBlocks: 4
; VGPRBlocks: 2
; NumSGPRsForWavesPerEU: 34
; NumVGPRsForWavesPerEU: 19
; AccumOffset: 20
; Occupancy: 8
; WaveLimiterHint : 1
; COMPUTE_PGM_RSRC2:SCRATCH_EN: 0
; COMPUTE_PGM_RSRC2:USER_SGPR: 6
; COMPUTE_PGM_RSRC2:TRAP_HANDLER: 0
; COMPUTE_PGM_RSRC2:TGID_X_EN: 1
; COMPUTE_PGM_RSRC2:TGID_Y_EN: 0
; COMPUTE_PGM_RSRC2:TGID_Z_EN: 0
; COMPUTE_PGM_RSRC2:TIDIG_COMP_CNT: 0
; COMPUTE_PGM_RSRC3_GFX90A:ACCUM_OFFSET: 4
; COMPUTE_PGM_RSRC3_GFX90A:TG_SPLIT: 0
	.section	.text._ZN9rocsparseL21csrmvt_general_kernelILj256ELj64Eii21rocsparse_complex_numIfES2_S2_S2_EEvbbT2_NS_24const_host_device_scalarIT6_EEPKT1_S9_PKS3_PKT3_PKT4_PT5_21rocsparse_index_base_b,"axG",@progbits,_ZN9rocsparseL21csrmvt_general_kernelILj256ELj64Eii21rocsparse_complex_numIfES2_S2_S2_EEvbbT2_NS_24const_host_device_scalarIT6_EEPKT1_S9_PKS3_PKT3_PKT4_PT5_21rocsparse_index_base_b,comdat
	.globl	_ZN9rocsparseL21csrmvt_general_kernelILj256ELj64Eii21rocsparse_complex_numIfES2_S2_S2_EEvbbT2_NS_24const_host_device_scalarIT6_EEPKT1_S9_PKS3_PKT3_PKT4_PT5_21rocsparse_index_base_b ; -- Begin function _ZN9rocsparseL21csrmvt_general_kernelILj256ELj64Eii21rocsparse_complex_numIfES2_S2_S2_EEvbbT2_NS_24const_host_device_scalarIT6_EEPKT1_S9_PKS3_PKT3_PKT4_PT5_21rocsparse_index_base_b
	.p2align	8
	.type	_ZN9rocsparseL21csrmvt_general_kernelILj256ELj64Eii21rocsparse_complex_numIfES2_S2_S2_EEvbbT2_NS_24const_host_device_scalarIT6_EEPKT1_S9_PKS3_PKT3_PKT4_PT5_21rocsparse_index_base_b,@function
_ZN9rocsparseL21csrmvt_general_kernelILj256ELj64Eii21rocsparse_complex_numIfES2_S2_S2_EEvbbT2_NS_24const_host_device_scalarIT6_EEPKT1_S9_PKS3_PKT3_PKT4_PT5_21rocsparse_index_base_b: ; @_ZN9rocsparseL21csrmvt_general_kernelILj256ELj64Eii21rocsparse_complex_numIfES2_S2_S2_EEvbbT2_NS_24const_host_device_scalarIT6_EEPKT1_S9_PKS3_PKT3_PKT4_PT5_21rocsparse_index_base_b
; %bb.0:
	s_load_dwordx2 s[20:21], s[4:5], 0x40
	s_load_dwordx4 s[16:19], s[4:5], 0x0
	s_load_dwordx4 s[0:3], s[4:5], 0x8
	s_waitcnt lgkmcnt(0)
	s_bitcmp1_b32 s21, 0
	s_cselect_b64 s[10:11], -1, 0
	s_xor_b64 s[8:9], s[10:11], -1
	s_and_b64 vcc, exec, s[10:11]
	v_mov_b32_e32 v12, s18
	s_cbranch_vccnz .LBB76_2
; %bb.1:
	v_pk_mov_b32 v[2:3], s[0:1], s[0:1] op_sel:[0,1]
	flat_load_dword v12, v[2:3]
.LBB76_2:
	s_andn2_b64 vcc, exec, s[8:9]
	v_mov_b32_e32 v13, s19
	s_cbranch_vccnz .LBB76_4
; %bb.3:
	v_pk_mov_b32 v[2:3], s[0:1], s[0:1] op_sel:[0,1]
	flat_load_dword v13, v[2:3] offset:4
.LBB76_4:
	s_waitcnt vmcnt(0) lgkmcnt(0)
	v_cmp_neq_f32_e32 vcc, 0, v12
	v_cmp_neq_f32_e64 s[0:1], 0, v13
	s_or_b64 s[0:1], vcc, s[0:1]
	s_and_saveexec_b64 s[8:9], s[0:1]
	s_cbranch_execz .LBB76_29
; %bb.5:
	s_load_dword s0, s[4:5], 0x0
	s_load_dwordx2 s[18:19], s[4:5], 0x38
	s_load_dword s1, s[4:5], 0x48
	s_load_dwordx8 s[8:15], s[4:5], 0x18
	v_and_b32_e32 v1, 63, v0
	s_waitcnt lgkmcnt(0)
	s_and_b32 s0, s0, 1
	s_bitcmp1_b32 s16, 8
	v_lshl_or_b32 v0, s6, 8, v0
	s_cselect_b64 s[4:5], -1, 0
	s_lshl_b32 s16, s1, 2
	v_lshrrev_b32_e32 v0, 6, v0
	s_cmp_eq_u32 s0, 0
	v_cmp_gt_i32_e64 s[0:1], s17, v0
	s_mov_b64 s[6:7], -1
	s_cbranch_scc0 .LBB76_17
; %bb.6:
	s_and_saveexec_b64 s[6:7], s[0:1]
	s_cbranch_execz .LBB76_16
; %bb.7:
	v_subrev_u32_e32 v14, s20, v1
	s_mov_b64 s[22:23], 0
	v_mov_b32_e32 v15, s3
	v_mov_b32_e32 v16, s9
	;; [unrolled: 1-line block ×3, first 2 shown]
	s_branch .LBB76_9
.LBB76_8:                               ;   in Loop: Header=BB76_9 Depth=1
	s_or_b64 exec, exec, s[24:25]
	v_add_u32_e32 v2, s16, v2
	v_cmp_le_i32_e32 vcc, s17, v2
	s_or_b64 s[22:23], vcc, s[22:23]
	s_andn2_b64 exec, exec, s[22:23]
	s_cbranch_execz .LBB76_16
.LBB76_9:                               ; =>This Loop Header: Depth=1
                                        ;     Child Loop BB76_11 Depth 2
                                        ;       Child Loop BB76_12 Depth 3
                                        ;       Child Loop BB76_14 Depth 3
	v_ashrrev_i32_e32 v3, 31, v2
	v_lshlrev_b64 v[4:5], 2, v[2:3]
	v_add_co_u32_e32 v6, vcc, s2, v4
	v_addc_co_u32_e32 v7, vcc, v15, v5, vcc
	v_add_co_u32_e32 v4, vcc, s8, v4
	v_addc_co_u32_e32 v5, vcc, v16, v5, vcc
	global_load_dword v8, v[4:5], off
	global_load_dword v9, v[6:7], off
	s_waitcnt vmcnt(1)
	v_subrev_u32_e32 v17, s20, v8
	s_waitcnt vmcnt(0)
	v_add_u32_e32 v4, v9, v14
	v_cmp_lt_i32_e32 vcc, v4, v17
	s_and_saveexec_b64 s[24:25], vcc
	s_cbranch_execz .LBB76_8
; %bb.10:                               ;   in Loop: Header=BB76_9 Depth=1
	v_lshlrev_b64 v[6:7], 3, v[2:3]
	v_mov_b32_e32 v3, s15
	v_add_co_u32_e32 v6, vcc, s14, v6
	v_addc_co_u32_e32 v7, vcc, v3, v7, vcc
	global_load_dwordx2 v[6:7], v[6:7], off
	s_mov_b64 s[26:27], 0
	s_waitcnt vmcnt(0)
	v_mul_f32_e64 v3, v7, -v13
	v_mul_f32_e32 v18, v12, v7
	v_fmac_f32_e32 v3, v12, v6
	v_fmac_f32_e32 v18, v13, v6
.LBB76_11:                              ;   Parent Loop BB76_9 Depth=1
                                        ; =>  This Loop Header: Depth=2
                                        ;       Child Loop BB76_12 Depth 3
                                        ;       Child Loop BB76_14 Depth 3
	v_ashrrev_i32_e32 v5, 31, v4
	v_lshlrev_b64 v[6:7], 2, v[4:5]
	v_mov_b32_e32 v8, s11
	v_add_co_u32_e32 v6, vcc, s10, v6
	v_addc_co_u32_e32 v7, vcc, v8, v7, vcc
	global_load_dword v10, v[6:7], off
	v_lshlrev_b64 v[6:7], 3, v[4:5]
	v_mov_b32_e32 v8, s13
	v_add_co_u32_e32 v6, vcc, s12, v6
	v_addc_co_u32_e32 v7, vcc, v8, v7, vcc
	global_load_dwordx2 v[8:9], v[6:7], off
	v_mov_b32_e32 v11, s19
	s_mov_b64 s[28:29], 0
	s_waitcnt vmcnt(1)
	v_subrev_u32_e32 v6, s20, v10
	v_ashrrev_i32_e32 v7, 31, v6
	v_lshlrev_b64 v[6:7], 3, v[6:7]
	v_add_co_u32_e32 v6, vcc, s18, v6
	v_addc_co_u32_e32 v7, vcc, v11, v7, vcc
	global_load_dword v11, v[6:7], off
	s_waitcnt vmcnt(1)
	v_cndmask_b32_e64 v5, v9, -v9, s[4:5]
	v_mul_f32_e64 v9, v5, -v18
	v_fmac_f32_e32 v9, v3, v8
.LBB76_12:                              ;   Parent Loop BB76_9 Depth=1
                                        ;     Parent Loop BB76_11 Depth=2
                                        ; =>    This Inner Loop Header: Depth=3
	s_waitcnt vmcnt(0)
	v_add_f32_e32 v10, v11, v9
	global_atomic_cmpswap v10, v[6:7], v[10:11], off glc
	s_waitcnt vmcnt(0)
	v_cmp_eq_u32_e32 vcc, v10, v11
	s_or_b64 s[28:29], vcc, s[28:29]
	v_mov_b32_e32 v11, v10
	s_andn2_b64 exec, exec, s[28:29]
	s_cbranch_execnz .LBB76_12
; %bb.13:                               ;   in Loop: Header=BB76_11 Depth=2
	s_or_b64 exec, exec, s[28:29]
	global_load_dword v9, v[6:7], off offset:4
	v_mul_f32_e32 v5, v3, v5
	v_fmac_f32_e32 v5, v18, v8
	s_mov_b64 s[28:29], 0
.LBB76_14:                              ;   Parent Loop BB76_9 Depth=1
                                        ;     Parent Loop BB76_11 Depth=2
                                        ; =>    This Inner Loop Header: Depth=3
	s_waitcnt vmcnt(0)
	v_add_f32_e32 v8, v9, v5
	global_atomic_cmpswap v8, v[6:7], v[8:9], off offset:4 glc
	s_waitcnt vmcnt(0)
	v_cmp_eq_u32_e32 vcc, v8, v9
	s_or_b64 s[28:29], vcc, s[28:29]
	v_mov_b32_e32 v9, v8
	s_andn2_b64 exec, exec, s[28:29]
	s_cbranch_execnz .LBB76_14
; %bb.15:                               ;   in Loop: Header=BB76_11 Depth=2
	s_or_b64 exec, exec, s[28:29]
	v_add_u32_e32 v4, 64, v4
	v_cmp_ge_i32_e32 vcc, v4, v17
	s_or_b64 s[26:27], vcc, s[26:27]
	s_andn2_b64 exec, exec, s[26:27]
	s_cbranch_execnz .LBB76_11
	s_branch .LBB76_8
.LBB76_16:
	s_or_b64 exec, exec, s[6:7]
	s_mov_b64 s[6:7], 0
.LBB76_17:
	s_andn2_b64 vcc, exec, s[6:7]
	s_cbranch_vccnz .LBB76_29
; %bb.18:
	s_and_b64 exec, exec, s[0:1]
	s_cbranch_execz .LBB76_29
; %bb.19:
	v_subrev_u32_e32 v10, s20, v1
	s_mov_b64 s[0:1], 0
	v_mov_b32_e32 v11, s3
	v_mov_b32_e32 v14, s9
	s_branch .LBB76_21
.LBB76_20:                              ;   in Loop: Header=BB76_21 Depth=1
	s_or_b64 exec, exec, s[6:7]
	v_add_u32_e32 v0, s16, v0
	v_cmp_le_i32_e32 vcc, s17, v0
	s_or_b64 s[0:1], vcc, s[0:1]
	s_andn2_b64 exec, exec, s[0:1]
	s_cbranch_execz .LBB76_29
.LBB76_21:                              ; =>This Loop Header: Depth=1
                                        ;     Child Loop BB76_24 Depth 2
                                        ;       Child Loop BB76_26 Depth 3
                                        ;       Child Loop BB76_28 Depth 3
	v_ashrrev_i32_e32 v1, 31, v0
	v_lshlrev_b64 v[2:3], 2, v[0:1]
	v_add_co_u32_e32 v4, vcc, s2, v2
	v_addc_co_u32_e32 v5, vcc, v11, v3, vcc
	v_add_co_u32_e32 v2, vcc, s8, v2
	v_addc_co_u32_e32 v3, vcc, v14, v3, vcc
	global_load_dword v6, v[2:3], off
	global_load_dword v7, v[4:5], off
	s_waitcnt vmcnt(1)
	v_subrev_u32_e32 v15, s20, v6
	s_waitcnt vmcnt(0)
	v_add_u32_e32 v2, v7, v10
	v_cmp_lt_i32_e32 vcc, v2, v15
	s_and_saveexec_b64 s[6:7], vcc
	s_cbranch_execz .LBB76_20
; %bb.22:                               ;   in Loop: Header=BB76_21 Depth=1
	v_lshlrev_b64 v[4:5], 3, v[0:1]
	v_mov_b32_e32 v1, s15
	v_add_co_u32_e32 v4, vcc, s14, v4
	v_addc_co_u32_e32 v5, vcc, v1, v5, vcc
	global_load_dwordx2 v[4:5], v[4:5], off
	s_mov_b64 s[22:23], 0
	s_waitcnt vmcnt(0)
	v_mul_f32_e64 v1, v5, -v13
	v_mul_f32_e32 v16, v12, v5
	v_fmac_f32_e32 v1, v12, v4
	v_fmac_f32_e32 v16, v13, v4
	s_branch .LBB76_24
.LBB76_23:                              ;   in Loop: Header=BB76_24 Depth=2
	s_or_b64 exec, exec, s[24:25]
	v_add_u32_e32 v2, 64, v2
	v_cmp_ge_i32_e32 vcc, v2, v15
	s_or_b64 s[22:23], vcc, s[22:23]
	s_andn2_b64 exec, exec, s[22:23]
	s_cbranch_execz .LBB76_20
.LBB76_24:                              ;   Parent Loop BB76_21 Depth=1
                                        ; =>  This Loop Header: Depth=2
                                        ;       Child Loop BB76_26 Depth 3
                                        ;       Child Loop BB76_28 Depth 3
	v_ashrrev_i32_e32 v3, 31, v2
	v_lshlrev_b64 v[4:5], 2, v[2:3]
	v_mov_b32_e32 v6, s11
	v_add_co_u32_e32 v4, vcc, s10, v4
	v_addc_co_u32_e32 v5, vcc, v6, v5, vcc
	global_load_dword v4, v[4:5], off
	s_waitcnt vmcnt(0)
	v_subrev_u32_e32 v4, s20, v4
	v_cmp_ne_u32_e32 vcc, v4, v0
	s_and_saveexec_b64 s[24:25], vcc
	s_cbranch_execz .LBB76_23
; %bb.25:                               ;   in Loop: Header=BB76_24 Depth=2
	v_lshlrev_b64 v[6:7], 3, v[2:3]
	v_mov_b32_e32 v3, s13
	v_add_co_u32_e32 v6, vcc, s12, v6
	v_addc_co_u32_e32 v7, vcc, v3, v7, vcc
	v_ashrrev_i32_e32 v5, 31, v4
	global_load_dwordx2 v[6:7], v[6:7], off
	v_lshlrev_b64 v[4:5], 3, v[4:5]
	v_mov_b32_e32 v3, s19
	v_add_co_u32_e32 v4, vcc, s18, v4
	v_addc_co_u32_e32 v5, vcc, v3, v5, vcc
	global_load_dword v9, v[4:5], off
	s_mov_b64 s[26:27], 0
	s_waitcnt vmcnt(1)
	v_cndmask_b32_e64 v3, v7, -v7, s[4:5]
	v_mul_f32_e64 v7, v3, -v16
	v_fmac_f32_e32 v7, v1, v6
.LBB76_26:                              ;   Parent Loop BB76_21 Depth=1
                                        ;     Parent Loop BB76_24 Depth=2
                                        ; =>    This Inner Loop Header: Depth=3
	s_waitcnt vmcnt(0)
	v_add_f32_e32 v8, v9, v7
	global_atomic_cmpswap v8, v[4:5], v[8:9], off glc
	s_waitcnt vmcnt(0)
	v_cmp_eq_u32_e32 vcc, v8, v9
	s_or_b64 s[26:27], vcc, s[26:27]
	v_mov_b32_e32 v9, v8
	s_andn2_b64 exec, exec, s[26:27]
	s_cbranch_execnz .LBB76_26
; %bb.27:                               ;   in Loop: Header=BB76_24 Depth=2
	s_or_b64 exec, exec, s[26:27]
	global_load_dword v7, v[4:5], off offset:4
	v_mul_f32_e32 v3, v1, v3
	v_fmac_f32_e32 v3, v16, v6
	s_mov_b64 s[26:27], 0
.LBB76_28:                              ;   Parent Loop BB76_21 Depth=1
                                        ;     Parent Loop BB76_24 Depth=2
                                        ; =>    This Inner Loop Header: Depth=3
	s_waitcnt vmcnt(0)
	v_add_f32_e32 v6, v7, v3
	global_atomic_cmpswap v6, v[4:5], v[6:7], off offset:4 glc
	s_waitcnt vmcnt(0)
	v_cmp_eq_u32_e32 vcc, v6, v7
	s_or_b64 s[26:27], vcc, s[26:27]
	v_mov_b32_e32 v7, v6
	s_andn2_b64 exec, exec, s[26:27]
	s_cbranch_execnz .LBB76_28
	s_branch .LBB76_23
.LBB76_29:
	s_endpgm
	.section	.rodata,"a",@progbits
	.p2align	6, 0x0
	.amdhsa_kernel _ZN9rocsparseL21csrmvt_general_kernelILj256ELj64Eii21rocsparse_complex_numIfES2_S2_S2_EEvbbT2_NS_24const_host_device_scalarIT6_EEPKT1_S9_PKS3_PKT3_PKT4_PT5_21rocsparse_index_base_b
		.amdhsa_group_segment_fixed_size 0
		.amdhsa_private_segment_fixed_size 0
		.amdhsa_kernarg_size 328
		.amdhsa_user_sgpr_count 6
		.amdhsa_user_sgpr_private_segment_buffer 1
		.amdhsa_user_sgpr_dispatch_ptr 0
		.amdhsa_user_sgpr_queue_ptr 0
		.amdhsa_user_sgpr_kernarg_segment_ptr 1
		.amdhsa_user_sgpr_dispatch_id 0
		.amdhsa_user_sgpr_flat_scratch_init 0
		.amdhsa_user_sgpr_kernarg_preload_length 0
		.amdhsa_user_sgpr_kernarg_preload_offset 0
		.amdhsa_user_sgpr_private_segment_size 0
		.amdhsa_uses_dynamic_stack 0
		.amdhsa_system_sgpr_private_segment_wavefront_offset 0
		.amdhsa_system_sgpr_workgroup_id_x 1
		.amdhsa_system_sgpr_workgroup_id_y 0
		.amdhsa_system_sgpr_workgroup_id_z 0
		.amdhsa_system_sgpr_workgroup_info 0
		.amdhsa_system_vgpr_workitem_id 0
		.amdhsa_next_free_vgpr 19
		.amdhsa_next_free_sgpr 30
		.amdhsa_accum_offset 20
		.amdhsa_reserve_vcc 1
		.amdhsa_reserve_flat_scratch 0
		.amdhsa_float_round_mode_32 0
		.amdhsa_float_round_mode_16_64 0
		.amdhsa_float_denorm_mode_32 3
		.amdhsa_float_denorm_mode_16_64 3
		.amdhsa_dx10_clamp 1
		.amdhsa_ieee_mode 1
		.amdhsa_fp16_overflow 0
		.amdhsa_tg_split 0
		.amdhsa_exception_fp_ieee_invalid_op 0
		.amdhsa_exception_fp_denorm_src 0
		.amdhsa_exception_fp_ieee_div_zero 0
		.amdhsa_exception_fp_ieee_overflow 0
		.amdhsa_exception_fp_ieee_underflow 0
		.amdhsa_exception_fp_ieee_inexact 0
		.amdhsa_exception_int_div_zero 0
	.end_amdhsa_kernel
	.section	.text._ZN9rocsparseL21csrmvt_general_kernelILj256ELj64Eii21rocsparse_complex_numIfES2_S2_S2_EEvbbT2_NS_24const_host_device_scalarIT6_EEPKT1_S9_PKS3_PKT3_PKT4_PT5_21rocsparse_index_base_b,"axG",@progbits,_ZN9rocsparseL21csrmvt_general_kernelILj256ELj64Eii21rocsparse_complex_numIfES2_S2_S2_EEvbbT2_NS_24const_host_device_scalarIT6_EEPKT1_S9_PKS3_PKT3_PKT4_PT5_21rocsparse_index_base_b,comdat
.Lfunc_end76:
	.size	_ZN9rocsparseL21csrmvt_general_kernelILj256ELj64Eii21rocsparse_complex_numIfES2_S2_S2_EEvbbT2_NS_24const_host_device_scalarIT6_EEPKT1_S9_PKS3_PKT3_PKT4_PT5_21rocsparse_index_base_b, .Lfunc_end76-_ZN9rocsparseL21csrmvt_general_kernelILj256ELj64Eii21rocsparse_complex_numIfES2_S2_S2_EEvbbT2_NS_24const_host_device_scalarIT6_EEPKT1_S9_PKS3_PKT3_PKT4_PT5_21rocsparse_index_base_b
                                        ; -- End function
	.section	.AMDGPU.csdata,"",@progbits
; Kernel info:
; codeLenInByte = 1132
; NumSgprs: 34
; NumVgprs: 19
; NumAgprs: 0
; TotalNumVgprs: 19
; ScratchSize: 0
; MemoryBound: 0
; FloatMode: 240
; IeeeMode: 1
; LDSByteSize: 0 bytes/workgroup (compile time only)
; SGPRBlocks: 4
; VGPRBlocks: 2
; NumSGPRsForWavesPerEU: 34
; NumVGPRsForWavesPerEU: 19
; AccumOffset: 20
; Occupancy: 8
; WaveLimiterHint : 1
; COMPUTE_PGM_RSRC2:SCRATCH_EN: 0
; COMPUTE_PGM_RSRC2:USER_SGPR: 6
; COMPUTE_PGM_RSRC2:TRAP_HANDLER: 0
; COMPUTE_PGM_RSRC2:TGID_X_EN: 1
; COMPUTE_PGM_RSRC2:TGID_Y_EN: 0
; COMPUTE_PGM_RSRC2:TGID_Z_EN: 0
; COMPUTE_PGM_RSRC2:TIDIG_COMP_CNT: 0
; COMPUTE_PGM_RSRC3_GFX90A:ACCUM_OFFSET: 4
; COMPUTE_PGM_RSRC3_GFX90A:TG_SPLIT: 0
	.section	.text._ZN9rocsparseL21csrmvn_general_kernelILj256ELj2Eli21rocsparse_complex_numIfES2_S2_S2_EEvbT2_NS_24const_host_device_scalarIT6_EEPKT1_S9_PKS3_PKT3_PKT4_S6_PT5_21rocsparse_index_base_b,"axG",@progbits,_ZN9rocsparseL21csrmvn_general_kernelILj256ELj2Eli21rocsparse_complex_numIfES2_S2_S2_EEvbT2_NS_24const_host_device_scalarIT6_EEPKT1_S9_PKS3_PKT3_PKT4_S6_PT5_21rocsparse_index_base_b,comdat
	.globl	_ZN9rocsparseL21csrmvn_general_kernelILj256ELj2Eli21rocsparse_complex_numIfES2_S2_S2_EEvbT2_NS_24const_host_device_scalarIT6_EEPKT1_S9_PKS3_PKT3_PKT4_S6_PT5_21rocsparse_index_base_b ; -- Begin function _ZN9rocsparseL21csrmvn_general_kernelILj256ELj2Eli21rocsparse_complex_numIfES2_S2_S2_EEvbT2_NS_24const_host_device_scalarIT6_EEPKT1_S9_PKS3_PKT3_PKT4_S6_PT5_21rocsparse_index_base_b
	.p2align	8
	.type	_ZN9rocsparseL21csrmvn_general_kernelILj256ELj2Eli21rocsparse_complex_numIfES2_S2_S2_EEvbT2_NS_24const_host_device_scalarIT6_EEPKT1_S9_PKS3_PKT3_PKT4_S6_PT5_21rocsparse_index_base_b,@function
_ZN9rocsparseL21csrmvn_general_kernelILj256ELj2Eli21rocsparse_complex_numIfES2_S2_S2_EEvbT2_NS_24const_host_device_scalarIT6_EEPKT1_S9_PKS3_PKT3_PKT4_S6_PT5_21rocsparse_index_base_b: ; @_ZN9rocsparseL21csrmvn_general_kernelILj256ELj2Eli21rocsparse_complex_numIfES2_S2_S2_EEvbT2_NS_24const_host_device_scalarIT6_EEPKT1_S9_PKS3_PKT3_PKT4_S6_PT5_21rocsparse_index_base_b
; %bb.0:
	s_load_dwordx2 s[20:21], s[4:5], 0x48
	s_load_dwordx4 s[16:19], s[4:5], 0x8
	s_load_dwordx2 s[2:3], s[4:5], 0x38
	s_waitcnt lgkmcnt(0)
	s_bitcmp1_b32 s21, 0
	s_cselect_b64 s[0:1], -1, 0
	s_xor_b64 s[8:9], s[0:1], -1
	s_and_b64 vcc, exec, s[0:1]
	v_mov_b32_e32 v2, s16
	s_cbranch_vccnz .LBB77_2
; %bb.1:
	v_pk_mov_b32 v[2:3], s[16:17], s[16:17] op_sel:[0,1]
	flat_load_dword v2, v[2:3]
.LBB77_2:
	v_cndmask_b32_e64 v1, 0, 1, s[8:9]
	v_cmp_ne_u32_e64 s[0:1], 1, v1
	s_andn2_b64 vcc, exec, s[8:9]
	v_mov_b32_e32 v3, s17
	s_cbranch_vccz .LBB77_21
; %bb.3:
	s_and_b64 vcc, exec, s[0:1]
	v_mov_b32_e32 v4, s2
	s_cbranch_vccz .LBB77_22
.LBB77_4:
	s_and_b64 vcc, exec, s[0:1]
	v_mov_b32_e32 v5, s3
	s_cbranch_vccnz .LBB77_6
.LBB77_5:
	v_pk_mov_b32 v[6:7], s[2:3], s[2:3] op_sel:[0,1]
	flat_load_dword v5, v[6:7] offset:4
.LBB77_6:
	s_waitcnt vmcnt(0) lgkmcnt(0)
	v_and_b32_e32 v1, 0x7fffffff, v2
	v_cmp_eq_u32_e32 vcc, 0, v1
	v_cmp_eq_f32_e64 s[0:1], 0, v3
	s_and_b64 s[8:9], vcc, s[0:1]
	s_mov_b64 s[0:1], -1
	s_and_saveexec_b64 s[2:3], s[8:9]
; %bb.7:
	v_and_b32_e32 v1, 0x7fffffff, v5
	v_cmp_neq_f32_e32 vcc, 1.0, v4
	v_cmp_ne_u32_e64 s[0:1], 0, v1
	s_or_b64 s[0:1], vcc, s[0:1]
	s_orn2_b64 s[0:1], s[0:1], exec
; %bb.8:
	s_or_b64 exec, exec, s[2:3]
	s_and_saveexec_b64 s[2:3], s[0:1]
	s_cbranch_execz .LBB77_20
; %bb.9:
	s_load_dwordx2 s[16:17], s[4:5], 0x0
	v_lshl_or_b32 v1, s6, 8, v0
	v_lshrrev_b32_e32 v6, 1, v1
	s_waitcnt lgkmcnt(0)
	v_cmp_gt_i32_e32 vcc, s17, v6
	s_and_b64 exec, exec, vcc
	s_cbranch_execz .LBB77_20
; %bb.10:
	s_load_dword s0, s[4:5], 0x50
	s_load_dwordx2 s[6:7], s[4:5], 0x40
	s_load_dwordx8 s[8:15], s[4:5], 0x18
	v_and_b32_e32 v1, 1, v0
	v_subrev_co_u32_e32 v22, vcc, s20, v1
	s_waitcnt lgkmcnt(0)
	s_lshl_b32 s21, s0, 7
	s_bitcmp1_b32 s16, 0
	v_subb_co_u32_e64 v23, s[0:1], 0, 0, vcc
	s_cselect_b64 s[4:5], -1, 0
	s_ashr_i32 s1, s20, 31
	s_mov_b32 s0, s20
	s_lshl_b64 s[0:1], s[0:1], 3
	s_sub_u32 s16, s14, s0
	v_cmp_eq_u32_e32 vcc, 1, v1
	v_and_b32_e32 v1, 0x7fffffff, v4
	s_subb_u32 s14, s15, s1
	v_cmp_ne_u32_e64 s[0:1], 0, v1
	v_cmp_neq_f32_e64 s[2:3], 0, v5
	s_or_b64 s[2:3], s[0:1], s[2:3]
	s_mov_b32 s22, 0
	s_add_u32 s24, s12, 4
	v_xor_b32_e32 v0, 0x80000000, v3
	v_xor_b32_e32 v8, 0x80000000, v5
	v_mov_b32_e32 v9, v4
	v_mov_b32_e32 v1, v2
	s_addc_u32 s25, s13, 0
	s_mov_b64 s[12:13], 0
	v_mov_b32_e32 v24, s19
	v_mov_b32_e32 v25, s9
	v_mov_b32_e32 v26, s22
	v_mov_b32_e32 v27, s14
	s_branch .LBB77_13
.LBB77_11:                              ;   in Loop: Header=BB77_13 Depth=1
	s_or_b64 exec, exec, s[0:1]
	global_store_dwordx2 v[10:11], v[12:13], off
.LBB77_12:                              ;   in Loop: Header=BB77_13 Depth=1
	s_or_b64 exec, exec, s[14:15]
	v_add_u32_e32 v6, s21, v6
	v_cmp_le_i32_e64 s[0:1], s17, v6
	s_or_b64 s[12:13], s[0:1], s[12:13]
	s_andn2_b64 exec, exec, s[12:13]
	s_cbranch_execz .LBB77_20
.LBB77_13:                              ; =>This Loop Header: Depth=1
                                        ;     Child Loop BB77_15 Depth 2
	v_ashrrev_i32_e32 v7, 31, v6
	v_lshlrev_b64 v[10:11], 3, v[6:7]
	v_add_co_u32_e64 v12, s[0:1], s8, v10
	v_addc_co_u32_e64 v13, s[0:1], v25, v11, s[0:1]
	global_load_dwordx2 v[14:15], v[12:13], off
	v_add_co_u32_e64 v12, s[0:1], s18, v10
	v_addc_co_u32_e64 v13, s[0:1], v24, v11, s[0:1]
	global_load_dwordx2 v[16:17], v[12:13], off
	v_mov_b32_e32 v13, 0
	v_mov_b32_e32 v12, v13
	s_waitcnt vmcnt(1)
	v_subrev_co_u32_e64 v14, s[0:1], s20, v14
	v_subb_co_u32_e64 v15, s[0:1], v15, v26, s[0:1]
	s_waitcnt vmcnt(0)
	v_add_co_u32_e64 v16, s[0:1], v16, v22
	v_addc_co_u32_e64 v17, s[0:1], v17, v23, s[0:1]
	v_cmp_lt_i64_e64 s[0:1], v[16:17], v[14:15]
	s_and_saveexec_b64 s[14:15], s[0:1]
	s_cbranch_execz .LBB77_17
; %bb.14:                               ;   in Loop: Header=BB77_13 Depth=1
	v_lshlrev_b64 v[12:13], 3, v[16:17]
	v_mov_b32_e32 v7, s25
	v_add_co_u32_e64 v18, s[0:1], s24, v12
	v_addc_co_u32_e64 v19, s[0:1], v7, v13, s[0:1]
	v_lshlrev_b64 v[12:13], 2, v[16:17]
	v_mov_b32_e32 v7, s11
	v_add_co_u32_e64 v20, s[0:1], s10, v12
	v_mov_b32_e32 v12, 0
	v_addc_co_u32_e64 v21, s[0:1], v7, v13, s[0:1]
	s_mov_b64 s[22:23], 0
	v_mov_b32_e32 v13, v12
.LBB77_15:                              ;   Parent Loop BB77_13 Depth=1
                                        ; =>  This Inner Loop Header: Depth=2
	global_load_dword v28, v[20:21], off
	global_load_dwordx2 v[30:31], v[18:19], off offset:-4
	s_waitcnt vmcnt(1)
	v_ashrrev_i32_e32 v29, 31, v28
	v_lshlrev_b64 v[28:29], 3, v[28:29]
	v_add_co_u32_e64 v28, s[0:1], s16, v28
	v_addc_co_u32_e64 v29, s[0:1], v27, v29, s[0:1]
	global_load_dwordx2 v[28:29], v[28:29], off
	v_add_co_u32_e64 v16, s[0:1], 2, v16
	v_addc_co_u32_e64 v17, s[0:1], 0, v17, s[0:1]
	v_add_co_u32_e64 v18, s[0:1], 16, v18
	v_addc_co_u32_e64 v19, s[0:1], 0, v19, s[0:1]
	s_waitcnt vmcnt(1)
	v_cndmask_b32_e64 v32, v31, -v31, s[4:5]
	v_add_co_u32_e64 v20, s[0:1], 8, v20
	v_pk_mul_f32 v[32:33], v[32:33], v[0:1] op_sel_hi:[0,1]
	v_addc_co_u32_e64 v21, s[0:1], 0, v21, s[0:1]
	v_pk_fma_f32 v[30:31], v[2:3], v[30:31], v[32:33] op_sel_hi:[1,0,1]
	v_cmp_ge_i64_e64 s[0:1], v[16:17], v[14:15]
	s_or_b64 s[22:23], s[0:1], s[22:23]
	s_waitcnt vmcnt(0)
	v_pk_fma_f32 v[12:13], v[30:31], v[28:29], v[12:13] op_sel_hi:[1,0,1]
	v_pk_fma_f32 v[12:13], v[30:31], v[28:29], v[12:13] op_sel:[1,1,0] op_sel_hi:[0,1,1] neg_lo:[1,0,0]
	s_andn2_b64 exec, exec, s[22:23]
	s_cbranch_execnz .LBB77_15
; %bb.16:                               ;   in Loop: Header=BB77_13 Depth=1
	s_or_b64 exec, exec, s[22:23]
.LBB77_17:                              ;   in Loop: Header=BB77_13 Depth=1
	s_or_b64 exec, exec, s[14:15]
	v_mov_b32_dpp v14, v12 row_shr:1 row_mask:0xf bank_mask:0xf
	v_mov_b32_dpp v15, v13 row_shr:1 row_mask:0xf bank_mask:0xf
	s_and_saveexec_b64 s[14:15], vcc
	s_cbranch_execz .LBB77_12
; %bb.18:                               ;   in Loop: Header=BB77_13 Depth=1
	v_mov_b32_e32 v7, s7
	v_add_co_u32_e64 v10, s[0:1], s6, v10
	v_pk_add_f32 v[12:13], v[12:13], v[14:15]
	v_addc_co_u32_e64 v11, s[0:1], v7, v11, s[0:1]
	s_and_saveexec_b64 s[0:1], s[2:3]
	s_cbranch_execz .LBB77_11
; %bb.19:                               ;   in Loop: Header=BB77_13 Depth=1
	global_load_dwordx2 v[14:15], v[10:11], off
	s_waitcnt vmcnt(0)
	v_pk_fma_f32 v[12:13], v[4:5], v[14:15], v[12:13] op_sel_hi:[1,0,1]
	v_pk_fma_f32 v[12:13], v[8:9], v[14:15], v[12:13] op_sel:[0,1,0]
	s_branch .LBB77_11
.LBB77_20:
	s_endpgm
.LBB77_21:
	v_pk_mov_b32 v[4:5], s[16:17], s[16:17] op_sel:[0,1]
	flat_load_dword v3, v[4:5] offset:4
	s_and_b64 vcc, exec, s[0:1]
	v_mov_b32_e32 v4, s2
	s_cbranch_vccnz .LBB77_4
.LBB77_22:
	v_pk_mov_b32 v[4:5], s[2:3], s[2:3] op_sel:[0,1]
	flat_load_dword v4, v[4:5]
	s_and_b64 vcc, exec, s[0:1]
	v_mov_b32_e32 v5, s3
	s_cbranch_vccz .LBB77_5
	s_branch .LBB77_6
	.section	.rodata,"a",@progbits
	.p2align	6, 0x0
	.amdhsa_kernel _ZN9rocsparseL21csrmvn_general_kernelILj256ELj2Eli21rocsparse_complex_numIfES2_S2_S2_EEvbT2_NS_24const_host_device_scalarIT6_EEPKT1_S9_PKS3_PKT3_PKT4_S6_PT5_21rocsparse_index_base_b
		.amdhsa_group_segment_fixed_size 0
		.amdhsa_private_segment_fixed_size 0
		.amdhsa_kernarg_size 336
		.amdhsa_user_sgpr_count 6
		.amdhsa_user_sgpr_private_segment_buffer 1
		.amdhsa_user_sgpr_dispatch_ptr 0
		.amdhsa_user_sgpr_queue_ptr 0
		.amdhsa_user_sgpr_kernarg_segment_ptr 1
		.amdhsa_user_sgpr_dispatch_id 0
		.amdhsa_user_sgpr_flat_scratch_init 0
		.amdhsa_user_sgpr_kernarg_preload_length 0
		.amdhsa_user_sgpr_kernarg_preload_offset 0
		.amdhsa_user_sgpr_private_segment_size 0
		.amdhsa_uses_dynamic_stack 0
		.amdhsa_system_sgpr_private_segment_wavefront_offset 0
		.amdhsa_system_sgpr_workgroup_id_x 1
		.amdhsa_system_sgpr_workgroup_id_y 0
		.amdhsa_system_sgpr_workgroup_id_z 0
		.amdhsa_system_sgpr_workgroup_info 0
		.amdhsa_system_vgpr_workitem_id 0
		.amdhsa_next_free_vgpr 34
		.amdhsa_next_free_sgpr 26
		.amdhsa_accum_offset 36
		.amdhsa_reserve_vcc 1
		.amdhsa_reserve_flat_scratch 0
		.amdhsa_float_round_mode_32 0
		.amdhsa_float_round_mode_16_64 0
		.amdhsa_float_denorm_mode_32 3
		.amdhsa_float_denorm_mode_16_64 3
		.amdhsa_dx10_clamp 1
		.amdhsa_ieee_mode 1
		.amdhsa_fp16_overflow 0
		.amdhsa_tg_split 0
		.amdhsa_exception_fp_ieee_invalid_op 0
		.amdhsa_exception_fp_denorm_src 0
		.amdhsa_exception_fp_ieee_div_zero 0
		.amdhsa_exception_fp_ieee_overflow 0
		.amdhsa_exception_fp_ieee_underflow 0
		.amdhsa_exception_fp_ieee_inexact 0
		.amdhsa_exception_int_div_zero 0
	.end_amdhsa_kernel
	.section	.text._ZN9rocsparseL21csrmvn_general_kernelILj256ELj2Eli21rocsparse_complex_numIfES2_S2_S2_EEvbT2_NS_24const_host_device_scalarIT6_EEPKT1_S9_PKS3_PKT3_PKT4_S6_PT5_21rocsparse_index_base_b,"axG",@progbits,_ZN9rocsparseL21csrmvn_general_kernelILj256ELj2Eli21rocsparse_complex_numIfES2_S2_S2_EEvbT2_NS_24const_host_device_scalarIT6_EEPKT1_S9_PKS3_PKT3_PKT4_S6_PT5_21rocsparse_index_base_b,comdat
.Lfunc_end77:
	.size	_ZN9rocsparseL21csrmvn_general_kernelILj256ELj2Eli21rocsparse_complex_numIfES2_S2_S2_EEvbT2_NS_24const_host_device_scalarIT6_EEPKT1_S9_PKS3_PKT3_PKT4_S6_PT5_21rocsparse_index_base_b, .Lfunc_end77-_ZN9rocsparseL21csrmvn_general_kernelILj256ELj2Eli21rocsparse_complex_numIfES2_S2_S2_EEvbT2_NS_24const_host_device_scalarIT6_EEPKT1_S9_PKS3_PKT3_PKT4_S6_PT5_21rocsparse_index_base_b
                                        ; -- End function
	.section	.AMDGPU.csdata,"",@progbits
; Kernel info:
; codeLenInByte = 984
; NumSgprs: 30
; NumVgprs: 34
; NumAgprs: 0
; TotalNumVgprs: 34
; ScratchSize: 0
; MemoryBound: 0
; FloatMode: 240
; IeeeMode: 1
; LDSByteSize: 0 bytes/workgroup (compile time only)
; SGPRBlocks: 3
; VGPRBlocks: 4
; NumSGPRsForWavesPerEU: 30
; NumVGPRsForWavesPerEU: 34
; AccumOffset: 36
; Occupancy: 8
; WaveLimiterHint : 1
; COMPUTE_PGM_RSRC2:SCRATCH_EN: 0
; COMPUTE_PGM_RSRC2:USER_SGPR: 6
; COMPUTE_PGM_RSRC2:TRAP_HANDLER: 0
; COMPUTE_PGM_RSRC2:TGID_X_EN: 1
; COMPUTE_PGM_RSRC2:TGID_Y_EN: 0
; COMPUTE_PGM_RSRC2:TGID_Z_EN: 0
; COMPUTE_PGM_RSRC2:TIDIG_COMP_CNT: 0
; COMPUTE_PGM_RSRC3_GFX90A:ACCUM_OFFSET: 8
; COMPUTE_PGM_RSRC3_GFX90A:TG_SPLIT: 0
	.section	.text._ZN9rocsparseL21csrmvn_general_kernelILj256ELj4Eli21rocsparse_complex_numIfES2_S2_S2_EEvbT2_NS_24const_host_device_scalarIT6_EEPKT1_S9_PKS3_PKT3_PKT4_S6_PT5_21rocsparse_index_base_b,"axG",@progbits,_ZN9rocsparseL21csrmvn_general_kernelILj256ELj4Eli21rocsparse_complex_numIfES2_S2_S2_EEvbT2_NS_24const_host_device_scalarIT6_EEPKT1_S9_PKS3_PKT3_PKT4_S6_PT5_21rocsparse_index_base_b,comdat
	.globl	_ZN9rocsparseL21csrmvn_general_kernelILj256ELj4Eli21rocsparse_complex_numIfES2_S2_S2_EEvbT2_NS_24const_host_device_scalarIT6_EEPKT1_S9_PKS3_PKT3_PKT4_S6_PT5_21rocsparse_index_base_b ; -- Begin function _ZN9rocsparseL21csrmvn_general_kernelILj256ELj4Eli21rocsparse_complex_numIfES2_S2_S2_EEvbT2_NS_24const_host_device_scalarIT6_EEPKT1_S9_PKS3_PKT3_PKT4_S6_PT5_21rocsparse_index_base_b
	.p2align	8
	.type	_ZN9rocsparseL21csrmvn_general_kernelILj256ELj4Eli21rocsparse_complex_numIfES2_S2_S2_EEvbT2_NS_24const_host_device_scalarIT6_EEPKT1_S9_PKS3_PKT3_PKT4_S6_PT5_21rocsparse_index_base_b,@function
_ZN9rocsparseL21csrmvn_general_kernelILj256ELj4Eli21rocsparse_complex_numIfES2_S2_S2_EEvbT2_NS_24const_host_device_scalarIT6_EEPKT1_S9_PKS3_PKT3_PKT4_S6_PT5_21rocsparse_index_base_b: ; @_ZN9rocsparseL21csrmvn_general_kernelILj256ELj4Eli21rocsparse_complex_numIfES2_S2_S2_EEvbT2_NS_24const_host_device_scalarIT6_EEPKT1_S9_PKS3_PKT3_PKT4_S6_PT5_21rocsparse_index_base_b
; %bb.0:
	s_load_dwordx2 s[20:21], s[4:5], 0x48
	s_load_dwordx4 s[16:19], s[4:5], 0x8
	s_load_dwordx2 s[2:3], s[4:5], 0x38
	s_waitcnt lgkmcnt(0)
	s_bitcmp1_b32 s21, 0
	s_cselect_b64 s[0:1], -1, 0
	s_xor_b64 s[8:9], s[0:1], -1
	s_and_b64 vcc, exec, s[0:1]
	v_mov_b32_e32 v2, s16
	s_cbranch_vccnz .LBB78_2
; %bb.1:
	v_pk_mov_b32 v[2:3], s[16:17], s[16:17] op_sel:[0,1]
	flat_load_dword v2, v[2:3]
.LBB78_2:
	v_cndmask_b32_e64 v1, 0, 1, s[8:9]
	v_cmp_ne_u32_e64 s[0:1], 1, v1
	s_andn2_b64 vcc, exec, s[8:9]
	v_mov_b32_e32 v3, s17
	s_cbranch_vccz .LBB78_21
; %bb.3:
	s_and_b64 vcc, exec, s[0:1]
	v_mov_b32_e32 v4, s2
	s_cbranch_vccz .LBB78_22
.LBB78_4:
	s_and_b64 vcc, exec, s[0:1]
	v_mov_b32_e32 v5, s3
	s_cbranch_vccnz .LBB78_6
.LBB78_5:
	v_pk_mov_b32 v[6:7], s[2:3], s[2:3] op_sel:[0,1]
	flat_load_dword v5, v[6:7] offset:4
.LBB78_6:
	s_waitcnt vmcnt(0) lgkmcnt(0)
	v_and_b32_e32 v1, 0x7fffffff, v2
	v_cmp_eq_u32_e32 vcc, 0, v1
	v_cmp_eq_f32_e64 s[0:1], 0, v3
	s_and_b64 s[8:9], vcc, s[0:1]
	s_mov_b64 s[0:1], -1
	s_and_saveexec_b64 s[2:3], s[8:9]
; %bb.7:
	v_and_b32_e32 v1, 0x7fffffff, v5
	v_cmp_neq_f32_e32 vcc, 1.0, v4
	v_cmp_ne_u32_e64 s[0:1], 0, v1
	s_or_b64 s[0:1], vcc, s[0:1]
	s_orn2_b64 s[0:1], s[0:1], exec
; %bb.8:
	s_or_b64 exec, exec, s[2:3]
	s_and_saveexec_b64 s[2:3], s[0:1]
	s_cbranch_execz .LBB78_20
; %bb.9:
	s_load_dwordx2 s[16:17], s[4:5], 0x0
	v_lshl_or_b32 v1, s6, 8, v0
	v_lshrrev_b32_e32 v6, 2, v1
	s_waitcnt lgkmcnt(0)
	v_cmp_gt_i32_e32 vcc, s17, v6
	s_and_b64 exec, exec, vcc
	s_cbranch_execz .LBB78_20
; %bb.10:
	s_load_dword s0, s[4:5], 0x50
	s_load_dwordx2 s[6:7], s[4:5], 0x40
	s_load_dwordx8 s[8:15], s[4:5], 0x18
	v_and_b32_e32 v1, 3, v0
	v_subrev_co_u32_e32 v22, vcc, s20, v1
	s_waitcnt lgkmcnt(0)
	s_lshl_b32 s21, s0, 6
	s_bitcmp1_b32 s16, 0
	v_subb_co_u32_e64 v23, s[0:1], 0, 0, vcc
	s_cselect_b64 s[4:5], -1, 0
	s_ashr_i32 s1, s20, 31
	s_mov_b32 s0, s20
	s_lshl_b64 s[0:1], s[0:1], 3
	s_sub_u32 s16, s14, s0
	v_cmp_eq_u32_e32 vcc, 3, v1
	v_and_b32_e32 v1, 0x7fffffff, v4
	s_subb_u32 s14, s15, s1
	v_cmp_ne_u32_e64 s[0:1], 0, v1
	v_cmp_neq_f32_e64 s[2:3], 0, v5
	s_or_b64 s[2:3], s[0:1], s[2:3]
	s_mov_b32 s22, 0
	s_add_u32 s24, s12, 4
	v_xor_b32_e32 v0, 0x80000000, v3
	v_xor_b32_e32 v8, 0x80000000, v5
	v_mov_b32_e32 v9, v4
	v_mov_b32_e32 v1, v2
	s_addc_u32 s25, s13, 0
	s_mov_b64 s[12:13], 0
	v_mov_b32_e32 v24, s19
	v_mov_b32_e32 v25, s9
	v_mov_b32_e32 v26, s22
	v_mov_b32_e32 v27, s14
	s_branch .LBB78_13
.LBB78_11:                              ;   in Loop: Header=BB78_13 Depth=1
	s_or_b64 exec, exec, s[0:1]
	global_store_dwordx2 v[10:11], v[12:13], off
.LBB78_12:                              ;   in Loop: Header=BB78_13 Depth=1
	s_or_b64 exec, exec, s[14:15]
	v_add_u32_e32 v6, s21, v6
	v_cmp_le_i32_e64 s[0:1], s17, v6
	s_or_b64 s[12:13], s[0:1], s[12:13]
	s_andn2_b64 exec, exec, s[12:13]
	s_cbranch_execz .LBB78_20
.LBB78_13:                              ; =>This Loop Header: Depth=1
                                        ;     Child Loop BB78_15 Depth 2
	v_ashrrev_i32_e32 v7, 31, v6
	v_lshlrev_b64 v[10:11], 3, v[6:7]
	v_add_co_u32_e64 v12, s[0:1], s8, v10
	v_addc_co_u32_e64 v13, s[0:1], v25, v11, s[0:1]
	global_load_dwordx2 v[14:15], v[12:13], off
	v_add_co_u32_e64 v12, s[0:1], s18, v10
	v_addc_co_u32_e64 v13, s[0:1], v24, v11, s[0:1]
	global_load_dwordx2 v[16:17], v[12:13], off
	v_mov_b32_e32 v13, 0
	v_mov_b32_e32 v12, v13
	s_waitcnt vmcnt(1)
	v_subrev_co_u32_e64 v14, s[0:1], s20, v14
	v_subb_co_u32_e64 v15, s[0:1], v15, v26, s[0:1]
	s_waitcnt vmcnt(0)
	v_add_co_u32_e64 v16, s[0:1], v16, v22
	v_addc_co_u32_e64 v17, s[0:1], v17, v23, s[0:1]
	v_cmp_lt_i64_e64 s[0:1], v[16:17], v[14:15]
	s_and_saveexec_b64 s[14:15], s[0:1]
	s_cbranch_execz .LBB78_17
; %bb.14:                               ;   in Loop: Header=BB78_13 Depth=1
	v_lshlrev_b64 v[12:13], 3, v[16:17]
	v_mov_b32_e32 v7, s25
	v_add_co_u32_e64 v18, s[0:1], s24, v12
	v_addc_co_u32_e64 v19, s[0:1], v7, v13, s[0:1]
	v_lshlrev_b64 v[12:13], 2, v[16:17]
	v_mov_b32_e32 v7, s11
	v_add_co_u32_e64 v20, s[0:1], s10, v12
	v_mov_b32_e32 v12, 0
	v_addc_co_u32_e64 v21, s[0:1], v7, v13, s[0:1]
	s_mov_b64 s[22:23], 0
	v_mov_b32_e32 v13, v12
.LBB78_15:                              ;   Parent Loop BB78_13 Depth=1
                                        ; =>  This Inner Loop Header: Depth=2
	global_load_dword v28, v[20:21], off
	global_load_dwordx2 v[30:31], v[18:19], off offset:-4
	s_waitcnt vmcnt(1)
	v_ashrrev_i32_e32 v29, 31, v28
	v_lshlrev_b64 v[28:29], 3, v[28:29]
	v_add_co_u32_e64 v28, s[0:1], s16, v28
	v_addc_co_u32_e64 v29, s[0:1], v27, v29, s[0:1]
	global_load_dwordx2 v[28:29], v[28:29], off
	v_add_co_u32_e64 v16, s[0:1], 4, v16
	v_addc_co_u32_e64 v17, s[0:1], 0, v17, s[0:1]
	v_add_co_u32_e64 v18, s[0:1], 32, v18
	v_addc_co_u32_e64 v19, s[0:1], 0, v19, s[0:1]
	s_waitcnt vmcnt(1)
	v_cndmask_b32_e64 v32, v31, -v31, s[4:5]
	v_add_co_u32_e64 v20, s[0:1], 16, v20
	v_pk_mul_f32 v[32:33], v[32:33], v[0:1] op_sel_hi:[0,1]
	v_addc_co_u32_e64 v21, s[0:1], 0, v21, s[0:1]
	v_pk_fma_f32 v[30:31], v[2:3], v[30:31], v[32:33] op_sel_hi:[1,0,1]
	v_cmp_ge_i64_e64 s[0:1], v[16:17], v[14:15]
	s_or_b64 s[22:23], s[0:1], s[22:23]
	s_waitcnt vmcnt(0)
	v_pk_fma_f32 v[12:13], v[30:31], v[28:29], v[12:13] op_sel_hi:[1,0,1]
	v_pk_fma_f32 v[12:13], v[30:31], v[28:29], v[12:13] op_sel:[1,1,0] op_sel_hi:[0,1,1] neg_lo:[1,0,0]
	s_andn2_b64 exec, exec, s[22:23]
	s_cbranch_execnz .LBB78_15
; %bb.16:                               ;   in Loop: Header=BB78_13 Depth=1
	s_or_b64 exec, exec, s[22:23]
.LBB78_17:                              ;   in Loop: Header=BB78_13 Depth=1
	s_or_b64 exec, exec, s[14:15]
	v_mov_b32_dpp v14, v12 row_shr:1 row_mask:0xf bank_mask:0xf
	v_mov_b32_dpp v15, v13 row_shr:1 row_mask:0xf bank_mask:0xf
	v_pk_add_f32 v[12:13], v[12:13], v[14:15]
	s_nop 1
	v_mov_b32_dpp v14, v12 row_shr:2 row_mask:0xf bank_mask:0xf
	v_mov_b32_dpp v15, v13 row_shr:2 row_mask:0xf bank_mask:0xf
	s_and_saveexec_b64 s[14:15], vcc
	s_cbranch_execz .LBB78_12
; %bb.18:                               ;   in Loop: Header=BB78_13 Depth=1
	v_mov_b32_e32 v7, s7
	v_add_co_u32_e64 v10, s[0:1], s6, v10
	v_pk_add_f32 v[12:13], v[12:13], v[14:15]
	v_addc_co_u32_e64 v11, s[0:1], v7, v11, s[0:1]
	s_and_saveexec_b64 s[0:1], s[2:3]
	s_cbranch_execz .LBB78_11
; %bb.19:                               ;   in Loop: Header=BB78_13 Depth=1
	global_load_dwordx2 v[14:15], v[10:11], off
	s_waitcnt vmcnt(0)
	v_pk_fma_f32 v[12:13], v[4:5], v[14:15], v[12:13] op_sel_hi:[1,0,1]
	v_pk_fma_f32 v[12:13], v[8:9], v[14:15], v[12:13] op_sel:[0,1,0]
	s_branch .LBB78_11
.LBB78_20:
	s_endpgm
.LBB78_21:
	v_pk_mov_b32 v[4:5], s[16:17], s[16:17] op_sel:[0,1]
	flat_load_dword v3, v[4:5] offset:4
	s_and_b64 vcc, exec, s[0:1]
	v_mov_b32_e32 v4, s2
	s_cbranch_vccnz .LBB78_4
.LBB78_22:
	v_pk_mov_b32 v[4:5], s[2:3], s[2:3] op_sel:[0,1]
	flat_load_dword v4, v[4:5]
	s_and_b64 vcc, exec, s[0:1]
	v_mov_b32_e32 v5, s3
	s_cbranch_vccz .LBB78_5
	s_branch .LBB78_6
	.section	.rodata,"a",@progbits
	.p2align	6, 0x0
	.amdhsa_kernel _ZN9rocsparseL21csrmvn_general_kernelILj256ELj4Eli21rocsparse_complex_numIfES2_S2_S2_EEvbT2_NS_24const_host_device_scalarIT6_EEPKT1_S9_PKS3_PKT3_PKT4_S6_PT5_21rocsparse_index_base_b
		.amdhsa_group_segment_fixed_size 0
		.amdhsa_private_segment_fixed_size 0
		.amdhsa_kernarg_size 336
		.amdhsa_user_sgpr_count 6
		.amdhsa_user_sgpr_private_segment_buffer 1
		.amdhsa_user_sgpr_dispatch_ptr 0
		.amdhsa_user_sgpr_queue_ptr 0
		.amdhsa_user_sgpr_kernarg_segment_ptr 1
		.amdhsa_user_sgpr_dispatch_id 0
		.amdhsa_user_sgpr_flat_scratch_init 0
		.amdhsa_user_sgpr_kernarg_preload_length 0
		.amdhsa_user_sgpr_kernarg_preload_offset 0
		.amdhsa_user_sgpr_private_segment_size 0
		.amdhsa_uses_dynamic_stack 0
		.amdhsa_system_sgpr_private_segment_wavefront_offset 0
		.amdhsa_system_sgpr_workgroup_id_x 1
		.amdhsa_system_sgpr_workgroup_id_y 0
		.amdhsa_system_sgpr_workgroup_id_z 0
		.amdhsa_system_sgpr_workgroup_info 0
		.amdhsa_system_vgpr_workitem_id 0
		.amdhsa_next_free_vgpr 34
		.amdhsa_next_free_sgpr 26
		.amdhsa_accum_offset 36
		.amdhsa_reserve_vcc 1
		.amdhsa_reserve_flat_scratch 0
		.amdhsa_float_round_mode_32 0
		.amdhsa_float_round_mode_16_64 0
		.amdhsa_float_denorm_mode_32 3
		.amdhsa_float_denorm_mode_16_64 3
		.amdhsa_dx10_clamp 1
		.amdhsa_ieee_mode 1
		.amdhsa_fp16_overflow 0
		.amdhsa_tg_split 0
		.amdhsa_exception_fp_ieee_invalid_op 0
		.amdhsa_exception_fp_denorm_src 0
		.amdhsa_exception_fp_ieee_div_zero 0
		.amdhsa_exception_fp_ieee_overflow 0
		.amdhsa_exception_fp_ieee_underflow 0
		.amdhsa_exception_fp_ieee_inexact 0
		.amdhsa_exception_int_div_zero 0
	.end_amdhsa_kernel
	.section	.text._ZN9rocsparseL21csrmvn_general_kernelILj256ELj4Eli21rocsparse_complex_numIfES2_S2_S2_EEvbT2_NS_24const_host_device_scalarIT6_EEPKT1_S9_PKS3_PKT3_PKT4_S6_PT5_21rocsparse_index_base_b,"axG",@progbits,_ZN9rocsparseL21csrmvn_general_kernelILj256ELj4Eli21rocsparse_complex_numIfES2_S2_S2_EEvbT2_NS_24const_host_device_scalarIT6_EEPKT1_S9_PKS3_PKT3_PKT4_S6_PT5_21rocsparse_index_base_b,comdat
.Lfunc_end78:
	.size	_ZN9rocsparseL21csrmvn_general_kernelILj256ELj4Eli21rocsparse_complex_numIfES2_S2_S2_EEvbT2_NS_24const_host_device_scalarIT6_EEPKT1_S9_PKS3_PKT3_PKT4_S6_PT5_21rocsparse_index_base_b, .Lfunc_end78-_ZN9rocsparseL21csrmvn_general_kernelILj256ELj4Eli21rocsparse_complex_numIfES2_S2_S2_EEvbT2_NS_24const_host_device_scalarIT6_EEPKT1_S9_PKS3_PKT3_PKT4_S6_PT5_21rocsparse_index_base_b
                                        ; -- End function
	.section	.AMDGPU.csdata,"",@progbits
; Kernel info:
; codeLenInByte = 1012
; NumSgprs: 30
; NumVgprs: 34
; NumAgprs: 0
; TotalNumVgprs: 34
; ScratchSize: 0
; MemoryBound: 0
; FloatMode: 240
; IeeeMode: 1
; LDSByteSize: 0 bytes/workgroup (compile time only)
; SGPRBlocks: 3
; VGPRBlocks: 4
; NumSGPRsForWavesPerEU: 30
; NumVGPRsForWavesPerEU: 34
; AccumOffset: 36
; Occupancy: 8
; WaveLimiterHint : 1
; COMPUTE_PGM_RSRC2:SCRATCH_EN: 0
; COMPUTE_PGM_RSRC2:USER_SGPR: 6
; COMPUTE_PGM_RSRC2:TRAP_HANDLER: 0
; COMPUTE_PGM_RSRC2:TGID_X_EN: 1
; COMPUTE_PGM_RSRC2:TGID_Y_EN: 0
; COMPUTE_PGM_RSRC2:TGID_Z_EN: 0
; COMPUTE_PGM_RSRC2:TIDIG_COMP_CNT: 0
; COMPUTE_PGM_RSRC3_GFX90A:ACCUM_OFFSET: 8
; COMPUTE_PGM_RSRC3_GFX90A:TG_SPLIT: 0
	.section	.text._ZN9rocsparseL21csrmvn_general_kernelILj256ELj8Eli21rocsparse_complex_numIfES2_S2_S2_EEvbT2_NS_24const_host_device_scalarIT6_EEPKT1_S9_PKS3_PKT3_PKT4_S6_PT5_21rocsparse_index_base_b,"axG",@progbits,_ZN9rocsparseL21csrmvn_general_kernelILj256ELj8Eli21rocsparse_complex_numIfES2_S2_S2_EEvbT2_NS_24const_host_device_scalarIT6_EEPKT1_S9_PKS3_PKT3_PKT4_S6_PT5_21rocsparse_index_base_b,comdat
	.globl	_ZN9rocsparseL21csrmvn_general_kernelILj256ELj8Eli21rocsparse_complex_numIfES2_S2_S2_EEvbT2_NS_24const_host_device_scalarIT6_EEPKT1_S9_PKS3_PKT3_PKT4_S6_PT5_21rocsparse_index_base_b ; -- Begin function _ZN9rocsparseL21csrmvn_general_kernelILj256ELj8Eli21rocsparse_complex_numIfES2_S2_S2_EEvbT2_NS_24const_host_device_scalarIT6_EEPKT1_S9_PKS3_PKT3_PKT4_S6_PT5_21rocsparse_index_base_b
	.p2align	8
	.type	_ZN9rocsparseL21csrmvn_general_kernelILj256ELj8Eli21rocsparse_complex_numIfES2_S2_S2_EEvbT2_NS_24const_host_device_scalarIT6_EEPKT1_S9_PKS3_PKT3_PKT4_S6_PT5_21rocsparse_index_base_b,@function
_ZN9rocsparseL21csrmvn_general_kernelILj256ELj8Eli21rocsparse_complex_numIfES2_S2_S2_EEvbT2_NS_24const_host_device_scalarIT6_EEPKT1_S9_PKS3_PKT3_PKT4_S6_PT5_21rocsparse_index_base_b: ; @_ZN9rocsparseL21csrmvn_general_kernelILj256ELj8Eli21rocsparse_complex_numIfES2_S2_S2_EEvbT2_NS_24const_host_device_scalarIT6_EEPKT1_S9_PKS3_PKT3_PKT4_S6_PT5_21rocsparse_index_base_b
; %bb.0:
	s_load_dwordx2 s[20:21], s[4:5], 0x48
	s_load_dwordx4 s[16:19], s[4:5], 0x8
	s_load_dwordx2 s[2:3], s[4:5], 0x38
	s_waitcnt lgkmcnt(0)
	s_bitcmp1_b32 s21, 0
	s_cselect_b64 s[0:1], -1, 0
	s_xor_b64 s[8:9], s[0:1], -1
	s_and_b64 vcc, exec, s[0:1]
	v_mov_b32_e32 v2, s16
	s_cbranch_vccnz .LBB79_2
; %bb.1:
	v_pk_mov_b32 v[2:3], s[16:17], s[16:17] op_sel:[0,1]
	flat_load_dword v2, v[2:3]
.LBB79_2:
	v_cndmask_b32_e64 v1, 0, 1, s[8:9]
	v_cmp_ne_u32_e64 s[0:1], 1, v1
	s_andn2_b64 vcc, exec, s[8:9]
	v_mov_b32_e32 v3, s17
	s_cbranch_vccz .LBB79_21
; %bb.3:
	s_and_b64 vcc, exec, s[0:1]
	v_mov_b32_e32 v4, s2
	s_cbranch_vccz .LBB79_22
.LBB79_4:
	s_and_b64 vcc, exec, s[0:1]
	v_mov_b32_e32 v5, s3
	s_cbranch_vccnz .LBB79_6
.LBB79_5:
	v_pk_mov_b32 v[6:7], s[2:3], s[2:3] op_sel:[0,1]
	flat_load_dword v5, v[6:7] offset:4
.LBB79_6:
	s_waitcnt vmcnt(0) lgkmcnt(0)
	v_and_b32_e32 v1, 0x7fffffff, v2
	v_cmp_eq_u32_e32 vcc, 0, v1
	v_cmp_eq_f32_e64 s[0:1], 0, v3
	s_and_b64 s[8:9], vcc, s[0:1]
	s_mov_b64 s[0:1], -1
	s_and_saveexec_b64 s[2:3], s[8:9]
; %bb.7:
	v_and_b32_e32 v1, 0x7fffffff, v5
	v_cmp_neq_f32_e32 vcc, 1.0, v4
	v_cmp_ne_u32_e64 s[0:1], 0, v1
	s_or_b64 s[0:1], vcc, s[0:1]
	s_orn2_b64 s[0:1], s[0:1], exec
; %bb.8:
	s_or_b64 exec, exec, s[2:3]
	s_and_saveexec_b64 s[2:3], s[0:1]
	s_cbranch_execz .LBB79_20
; %bb.9:
	s_load_dwordx2 s[16:17], s[4:5], 0x0
	v_lshl_or_b32 v1, s6, 8, v0
	v_lshrrev_b32_e32 v6, 3, v1
	s_waitcnt lgkmcnt(0)
	v_cmp_gt_i32_e32 vcc, s17, v6
	s_and_b64 exec, exec, vcc
	s_cbranch_execz .LBB79_20
; %bb.10:
	s_load_dword s0, s[4:5], 0x50
	s_load_dwordx2 s[6:7], s[4:5], 0x40
	s_load_dwordx8 s[8:15], s[4:5], 0x18
	v_and_b32_e32 v1, 7, v0
	v_subrev_co_u32_e32 v22, vcc, s20, v1
	s_waitcnt lgkmcnt(0)
	s_lshl_b32 s21, s0, 5
	s_bitcmp1_b32 s16, 0
	v_subb_co_u32_e64 v23, s[0:1], 0, 0, vcc
	s_cselect_b64 s[4:5], -1, 0
	s_ashr_i32 s1, s20, 31
	s_mov_b32 s0, s20
	s_lshl_b64 s[0:1], s[0:1], 3
	s_sub_u32 s16, s14, s0
	v_cmp_eq_u32_e32 vcc, 7, v1
	v_and_b32_e32 v1, 0x7fffffff, v4
	s_subb_u32 s14, s15, s1
	v_cmp_ne_u32_e64 s[0:1], 0, v1
	v_cmp_neq_f32_e64 s[2:3], 0, v5
	s_or_b64 s[2:3], s[0:1], s[2:3]
	s_mov_b32 s22, 0
	s_add_u32 s24, s12, 4
	v_xor_b32_e32 v0, 0x80000000, v3
	v_xor_b32_e32 v8, 0x80000000, v5
	v_mov_b32_e32 v9, v4
	v_mov_b32_e32 v1, v2
	s_addc_u32 s25, s13, 0
	s_mov_b64 s[12:13], 0
	v_mov_b32_e32 v24, s19
	v_mov_b32_e32 v25, s9
	;; [unrolled: 1-line block ×4, first 2 shown]
	s_branch .LBB79_13
.LBB79_11:                              ;   in Loop: Header=BB79_13 Depth=1
	s_or_b64 exec, exec, s[0:1]
	global_store_dwordx2 v[10:11], v[12:13], off
.LBB79_12:                              ;   in Loop: Header=BB79_13 Depth=1
	s_or_b64 exec, exec, s[14:15]
	v_add_u32_e32 v6, s21, v6
	v_cmp_le_i32_e64 s[0:1], s17, v6
	s_or_b64 s[12:13], s[0:1], s[12:13]
	s_andn2_b64 exec, exec, s[12:13]
	s_cbranch_execz .LBB79_20
.LBB79_13:                              ; =>This Loop Header: Depth=1
                                        ;     Child Loop BB79_15 Depth 2
	v_ashrrev_i32_e32 v7, 31, v6
	v_lshlrev_b64 v[10:11], 3, v[6:7]
	v_add_co_u32_e64 v12, s[0:1], s8, v10
	v_addc_co_u32_e64 v13, s[0:1], v25, v11, s[0:1]
	global_load_dwordx2 v[14:15], v[12:13], off
	v_add_co_u32_e64 v12, s[0:1], s18, v10
	v_addc_co_u32_e64 v13, s[0:1], v24, v11, s[0:1]
	global_load_dwordx2 v[16:17], v[12:13], off
	v_mov_b32_e32 v13, 0
	v_mov_b32_e32 v12, v13
	s_waitcnt vmcnt(1)
	v_subrev_co_u32_e64 v14, s[0:1], s20, v14
	v_subb_co_u32_e64 v15, s[0:1], v15, v26, s[0:1]
	s_waitcnt vmcnt(0)
	v_add_co_u32_e64 v16, s[0:1], v16, v22
	v_addc_co_u32_e64 v17, s[0:1], v17, v23, s[0:1]
	v_cmp_lt_i64_e64 s[0:1], v[16:17], v[14:15]
	s_and_saveexec_b64 s[14:15], s[0:1]
	s_cbranch_execz .LBB79_17
; %bb.14:                               ;   in Loop: Header=BB79_13 Depth=1
	v_lshlrev_b64 v[12:13], 3, v[16:17]
	v_mov_b32_e32 v7, s25
	v_add_co_u32_e64 v18, s[0:1], s24, v12
	v_addc_co_u32_e64 v19, s[0:1], v7, v13, s[0:1]
	v_lshlrev_b64 v[12:13], 2, v[16:17]
	v_mov_b32_e32 v7, s11
	v_add_co_u32_e64 v20, s[0:1], s10, v12
	v_mov_b32_e32 v12, 0
	v_addc_co_u32_e64 v21, s[0:1], v7, v13, s[0:1]
	s_mov_b64 s[22:23], 0
	v_mov_b32_e32 v13, v12
.LBB79_15:                              ;   Parent Loop BB79_13 Depth=1
                                        ; =>  This Inner Loop Header: Depth=2
	global_load_dword v28, v[20:21], off
	global_load_dwordx2 v[30:31], v[18:19], off offset:-4
	s_waitcnt vmcnt(1)
	v_ashrrev_i32_e32 v29, 31, v28
	v_lshlrev_b64 v[28:29], 3, v[28:29]
	v_add_co_u32_e64 v28, s[0:1], s16, v28
	v_addc_co_u32_e64 v29, s[0:1], v27, v29, s[0:1]
	global_load_dwordx2 v[28:29], v[28:29], off
	v_add_co_u32_e64 v16, s[0:1], 8, v16
	v_addc_co_u32_e64 v17, s[0:1], 0, v17, s[0:1]
	v_add_co_u32_e64 v18, s[0:1], 64, v18
	v_addc_co_u32_e64 v19, s[0:1], 0, v19, s[0:1]
	s_waitcnt vmcnt(1)
	v_cndmask_b32_e64 v32, v31, -v31, s[4:5]
	v_add_co_u32_e64 v20, s[0:1], 32, v20
	v_pk_mul_f32 v[32:33], v[32:33], v[0:1] op_sel_hi:[0,1]
	v_addc_co_u32_e64 v21, s[0:1], 0, v21, s[0:1]
	v_pk_fma_f32 v[30:31], v[2:3], v[30:31], v[32:33] op_sel_hi:[1,0,1]
	v_cmp_ge_i64_e64 s[0:1], v[16:17], v[14:15]
	s_or_b64 s[22:23], s[0:1], s[22:23]
	s_waitcnt vmcnt(0)
	v_pk_fma_f32 v[12:13], v[30:31], v[28:29], v[12:13] op_sel_hi:[1,0,1]
	v_pk_fma_f32 v[12:13], v[30:31], v[28:29], v[12:13] op_sel:[1,1,0] op_sel_hi:[0,1,1] neg_lo:[1,0,0]
	s_andn2_b64 exec, exec, s[22:23]
	s_cbranch_execnz .LBB79_15
; %bb.16:                               ;   in Loop: Header=BB79_13 Depth=1
	s_or_b64 exec, exec, s[22:23]
.LBB79_17:                              ;   in Loop: Header=BB79_13 Depth=1
	s_or_b64 exec, exec, s[14:15]
	v_mov_b32_dpp v14, v12 row_shr:1 row_mask:0xf bank_mask:0xf
	v_mov_b32_dpp v15, v13 row_shr:1 row_mask:0xf bank_mask:0xf
	v_pk_add_f32 v[12:13], v[12:13], v[14:15]
	s_nop 1
	v_mov_b32_dpp v14, v12 row_shr:2 row_mask:0xf bank_mask:0xf
	v_mov_b32_dpp v15, v13 row_shr:2 row_mask:0xf bank_mask:0xf
	v_pk_add_f32 v[12:13], v[12:13], v[14:15]
	s_nop 1
	v_mov_b32_dpp v14, v12 row_shr:4 row_mask:0xf bank_mask:0xe
	v_mov_b32_dpp v15, v13 row_shr:4 row_mask:0xf bank_mask:0xe
	s_and_saveexec_b64 s[14:15], vcc
	s_cbranch_execz .LBB79_12
; %bb.18:                               ;   in Loop: Header=BB79_13 Depth=1
	v_mov_b32_e32 v7, s7
	v_add_co_u32_e64 v10, s[0:1], s6, v10
	v_pk_add_f32 v[12:13], v[12:13], v[14:15]
	v_addc_co_u32_e64 v11, s[0:1], v7, v11, s[0:1]
	s_and_saveexec_b64 s[0:1], s[2:3]
	s_cbranch_execz .LBB79_11
; %bb.19:                               ;   in Loop: Header=BB79_13 Depth=1
	global_load_dwordx2 v[14:15], v[10:11], off
	s_waitcnt vmcnt(0)
	v_pk_fma_f32 v[12:13], v[4:5], v[14:15], v[12:13] op_sel_hi:[1,0,1]
	v_pk_fma_f32 v[12:13], v[8:9], v[14:15], v[12:13] op_sel:[0,1,0]
	s_branch .LBB79_11
.LBB79_20:
	s_endpgm
.LBB79_21:
	v_pk_mov_b32 v[4:5], s[16:17], s[16:17] op_sel:[0,1]
	flat_load_dword v3, v[4:5] offset:4
	s_and_b64 vcc, exec, s[0:1]
	v_mov_b32_e32 v4, s2
	s_cbranch_vccnz .LBB79_4
.LBB79_22:
	v_pk_mov_b32 v[4:5], s[2:3], s[2:3] op_sel:[0,1]
	flat_load_dword v4, v[4:5]
	s_and_b64 vcc, exec, s[0:1]
	v_mov_b32_e32 v5, s3
	s_cbranch_vccz .LBB79_5
	s_branch .LBB79_6
	.section	.rodata,"a",@progbits
	.p2align	6, 0x0
	.amdhsa_kernel _ZN9rocsparseL21csrmvn_general_kernelILj256ELj8Eli21rocsparse_complex_numIfES2_S2_S2_EEvbT2_NS_24const_host_device_scalarIT6_EEPKT1_S9_PKS3_PKT3_PKT4_S6_PT5_21rocsparse_index_base_b
		.amdhsa_group_segment_fixed_size 0
		.amdhsa_private_segment_fixed_size 0
		.amdhsa_kernarg_size 336
		.amdhsa_user_sgpr_count 6
		.amdhsa_user_sgpr_private_segment_buffer 1
		.amdhsa_user_sgpr_dispatch_ptr 0
		.amdhsa_user_sgpr_queue_ptr 0
		.amdhsa_user_sgpr_kernarg_segment_ptr 1
		.amdhsa_user_sgpr_dispatch_id 0
		.amdhsa_user_sgpr_flat_scratch_init 0
		.amdhsa_user_sgpr_kernarg_preload_length 0
		.amdhsa_user_sgpr_kernarg_preload_offset 0
		.amdhsa_user_sgpr_private_segment_size 0
		.amdhsa_uses_dynamic_stack 0
		.amdhsa_system_sgpr_private_segment_wavefront_offset 0
		.amdhsa_system_sgpr_workgroup_id_x 1
		.amdhsa_system_sgpr_workgroup_id_y 0
		.amdhsa_system_sgpr_workgroup_id_z 0
		.amdhsa_system_sgpr_workgroup_info 0
		.amdhsa_system_vgpr_workitem_id 0
		.amdhsa_next_free_vgpr 34
		.amdhsa_next_free_sgpr 26
		.amdhsa_accum_offset 36
		.amdhsa_reserve_vcc 1
		.amdhsa_reserve_flat_scratch 0
		.amdhsa_float_round_mode_32 0
		.amdhsa_float_round_mode_16_64 0
		.amdhsa_float_denorm_mode_32 3
		.amdhsa_float_denorm_mode_16_64 3
		.amdhsa_dx10_clamp 1
		.amdhsa_ieee_mode 1
		.amdhsa_fp16_overflow 0
		.amdhsa_tg_split 0
		.amdhsa_exception_fp_ieee_invalid_op 0
		.amdhsa_exception_fp_denorm_src 0
		.amdhsa_exception_fp_ieee_div_zero 0
		.amdhsa_exception_fp_ieee_overflow 0
		.amdhsa_exception_fp_ieee_underflow 0
		.amdhsa_exception_fp_ieee_inexact 0
		.amdhsa_exception_int_div_zero 0
	.end_amdhsa_kernel
	.section	.text._ZN9rocsparseL21csrmvn_general_kernelILj256ELj8Eli21rocsparse_complex_numIfES2_S2_S2_EEvbT2_NS_24const_host_device_scalarIT6_EEPKT1_S9_PKS3_PKT3_PKT4_S6_PT5_21rocsparse_index_base_b,"axG",@progbits,_ZN9rocsparseL21csrmvn_general_kernelILj256ELj8Eli21rocsparse_complex_numIfES2_S2_S2_EEvbT2_NS_24const_host_device_scalarIT6_EEPKT1_S9_PKS3_PKT3_PKT4_S6_PT5_21rocsparse_index_base_b,comdat
.Lfunc_end79:
	.size	_ZN9rocsparseL21csrmvn_general_kernelILj256ELj8Eli21rocsparse_complex_numIfES2_S2_S2_EEvbT2_NS_24const_host_device_scalarIT6_EEPKT1_S9_PKS3_PKT3_PKT4_S6_PT5_21rocsparse_index_base_b, .Lfunc_end79-_ZN9rocsparseL21csrmvn_general_kernelILj256ELj8Eli21rocsparse_complex_numIfES2_S2_S2_EEvbT2_NS_24const_host_device_scalarIT6_EEPKT1_S9_PKS3_PKT3_PKT4_S6_PT5_21rocsparse_index_base_b
                                        ; -- End function
	.section	.AMDGPU.csdata,"",@progbits
; Kernel info:
; codeLenInByte = 1040
; NumSgprs: 30
; NumVgprs: 34
; NumAgprs: 0
; TotalNumVgprs: 34
; ScratchSize: 0
; MemoryBound: 0
; FloatMode: 240
; IeeeMode: 1
; LDSByteSize: 0 bytes/workgroup (compile time only)
; SGPRBlocks: 3
; VGPRBlocks: 4
; NumSGPRsForWavesPerEU: 30
; NumVGPRsForWavesPerEU: 34
; AccumOffset: 36
; Occupancy: 8
; WaveLimiterHint : 1
; COMPUTE_PGM_RSRC2:SCRATCH_EN: 0
; COMPUTE_PGM_RSRC2:USER_SGPR: 6
; COMPUTE_PGM_RSRC2:TRAP_HANDLER: 0
; COMPUTE_PGM_RSRC2:TGID_X_EN: 1
; COMPUTE_PGM_RSRC2:TGID_Y_EN: 0
; COMPUTE_PGM_RSRC2:TGID_Z_EN: 0
; COMPUTE_PGM_RSRC2:TIDIG_COMP_CNT: 0
; COMPUTE_PGM_RSRC3_GFX90A:ACCUM_OFFSET: 8
; COMPUTE_PGM_RSRC3_GFX90A:TG_SPLIT: 0
	.section	.text._ZN9rocsparseL21csrmvn_general_kernelILj256ELj16Eli21rocsparse_complex_numIfES2_S2_S2_EEvbT2_NS_24const_host_device_scalarIT6_EEPKT1_S9_PKS3_PKT3_PKT4_S6_PT5_21rocsparse_index_base_b,"axG",@progbits,_ZN9rocsparseL21csrmvn_general_kernelILj256ELj16Eli21rocsparse_complex_numIfES2_S2_S2_EEvbT2_NS_24const_host_device_scalarIT6_EEPKT1_S9_PKS3_PKT3_PKT4_S6_PT5_21rocsparse_index_base_b,comdat
	.globl	_ZN9rocsparseL21csrmvn_general_kernelILj256ELj16Eli21rocsparse_complex_numIfES2_S2_S2_EEvbT2_NS_24const_host_device_scalarIT6_EEPKT1_S9_PKS3_PKT3_PKT4_S6_PT5_21rocsparse_index_base_b ; -- Begin function _ZN9rocsparseL21csrmvn_general_kernelILj256ELj16Eli21rocsparse_complex_numIfES2_S2_S2_EEvbT2_NS_24const_host_device_scalarIT6_EEPKT1_S9_PKS3_PKT3_PKT4_S6_PT5_21rocsparse_index_base_b
	.p2align	8
	.type	_ZN9rocsparseL21csrmvn_general_kernelILj256ELj16Eli21rocsparse_complex_numIfES2_S2_S2_EEvbT2_NS_24const_host_device_scalarIT6_EEPKT1_S9_PKS3_PKT3_PKT4_S6_PT5_21rocsparse_index_base_b,@function
_ZN9rocsparseL21csrmvn_general_kernelILj256ELj16Eli21rocsparse_complex_numIfES2_S2_S2_EEvbT2_NS_24const_host_device_scalarIT6_EEPKT1_S9_PKS3_PKT3_PKT4_S6_PT5_21rocsparse_index_base_b: ; @_ZN9rocsparseL21csrmvn_general_kernelILj256ELj16Eli21rocsparse_complex_numIfES2_S2_S2_EEvbT2_NS_24const_host_device_scalarIT6_EEPKT1_S9_PKS3_PKT3_PKT4_S6_PT5_21rocsparse_index_base_b
; %bb.0:
	s_load_dwordx2 s[20:21], s[4:5], 0x48
	s_load_dwordx4 s[16:19], s[4:5], 0x8
	s_load_dwordx2 s[2:3], s[4:5], 0x38
	s_waitcnt lgkmcnt(0)
	s_bitcmp1_b32 s21, 0
	s_cselect_b64 s[0:1], -1, 0
	s_xor_b64 s[8:9], s[0:1], -1
	s_and_b64 vcc, exec, s[0:1]
	v_mov_b32_e32 v2, s16
	s_cbranch_vccnz .LBB80_2
; %bb.1:
	v_pk_mov_b32 v[2:3], s[16:17], s[16:17] op_sel:[0,1]
	flat_load_dword v2, v[2:3]
.LBB80_2:
	v_cndmask_b32_e64 v1, 0, 1, s[8:9]
	v_cmp_ne_u32_e64 s[0:1], 1, v1
	s_andn2_b64 vcc, exec, s[8:9]
	v_mov_b32_e32 v3, s17
	s_cbranch_vccz .LBB80_21
; %bb.3:
	s_and_b64 vcc, exec, s[0:1]
	v_mov_b32_e32 v4, s2
	s_cbranch_vccz .LBB80_22
.LBB80_4:
	s_and_b64 vcc, exec, s[0:1]
	v_mov_b32_e32 v5, s3
	s_cbranch_vccnz .LBB80_6
.LBB80_5:
	v_pk_mov_b32 v[6:7], s[2:3], s[2:3] op_sel:[0,1]
	flat_load_dword v5, v[6:7] offset:4
.LBB80_6:
	s_waitcnt vmcnt(0) lgkmcnt(0)
	v_and_b32_e32 v1, 0x7fffffff, v2
	v_cmp_eq_u32_e32 vcc, 0, v1
	v_cmp_eq_f32_e64 s[0:1], 0, v3
	s_and_b64 s[8:9], vcc, s[0:1]
	s_mov_b64 s[0:1], -1
	s_and_saveexec_b64 s[2:3], s[8:9]
; %bb.7:
	v_and_b32_e32 v1, 0x7fffffff, v5
	v_cmp_neq_f32_e32 vcc, 1.0, v4
	v_cmp_ne_u32_e64 s[0:1], 0, v1
	s_or_b64 s[0:1], vcc, s[0:1]
	s_orn2_b64 s[0:1], s[0:1], exec
; %bb.8:
	s_or_b64 exec, exec, s[2:3]
	s_and_saveexec_b64 s[2:3], s[0:1]
	s_cbranch_execz .LBB80_20
; %bb.9:
	s_load_dwordx2 s[16:17], s[4:5], 0x0
	v_lshl_or_b32 v1, s6, 8, v0
	v_lshrrev_b32_e32 v6, 4, v1
	s_waitcnt lgkmcnt(0)
	v_cmp_gt_i32_e32 vcc, s17, v6
	s_and_b64 exec, exec, vcc
	s_cbranch_execz .LBB80_20
; %bb.10:
	s_load_dword s0, s[4:5], 0x50
	s_load_dwordx2 s[6:7], s[4:5], 0x40
	s_load_dwordx8 s[8:15], s[4:5], 0x18
	v_and_b32_e32 v1, 15, v0
	v_subrev_co_u32_e32 v22, vcc, s20, v1
	s_waitcnt lgkmcnt(0)
	s_lshl_b32 s21, s0, 4
	s_bitcmp1_b32 s16, 0
	v_subb_co_u32_e64 v23, s[0:1], 0, 0, vcc
	s_cselect_b64 s[4:5], -1, 0
	s_ashr_i32 s1, s20, 31
	s_mov_b32 s0, s20
	s_lshl_b64 s[0:1], s[0:1], 3
	s_sub_u32 s16, s14, s0
	s_subb_u32 s23, s15, s1
	v_cmp_eq_u32_e64 s[0:1], 15, v1
	v_and_b32_e32 v1, 0x7fffffff, v4
	v_cmp_ne_u32_e32 vcc, 0, v1
	v_cmp_neq_f32_e64 s[2:3], 0, v5
	s_or_b64 s[14:15], vcc, s[2:3]
	s_mov_b32 s22, 0
	s_add_u32 s26, s12, 4
	v_xor_b32_e32 v0, 0x80000000, v3
	v_xor_b32_e32 v8, 0x80000000, v5
	v_mov_b32_e32 v9, v4
	v_mov_b32_e32 v1, v2
	s_addc_u32 s27, s13, 0
	s_mov_b64 s[12:13], 0
	v_mov_b32_e32 v24, s19
	v_mov_b32_e32 v25, s9
	;; [unrolled: 1-line block ×4, first 2 shown]
	s_branch .LBB80_13
.LBB80_11:                              ;   in Loop: Header=BB80_13 Depth=1
	s_or_b64 exec, exec, s[22:23]
	global_store_dwordx2 v[10:11], v[12:13], off
.LBB80_12:                              ;   in Loop: Header=BB80_13 Depth=1
	s_or_b64 exec, exec, s[2:3]
	v_add_u32_e32 v6, s21, v6
	v_cmp_le_i32_e32 vcc, s17, v6
	s_or_b64 s[12:13], vcc, s[12:13]
	s_andn2_b64 exec, exec, s[12:13]
	s_cbranch_execz .LBB80_20
.LBB80_13:                              ; =>This Loop Header: Depth=1
                                        ;     Child Loop BB80_15 Depth 2
	v_ashrrev_i32_e32 v7, 31, v6
	v_lshlrev_b64 v[10:11], 3, v[6:7]
	v_add_co_u32_e32 v12, vcc, s8, v10
	v_addc_co_u32_e32 v13, vcc, v25, v11, vcc
	global_load_dwordx2 v[14:15], v[12:13], off
	v_add_co_u32_e32 v12, vcc, s18, v10
	v_addc_co_u32_e32 v13, vcc, v24, v11, vcc
	global_load_dwordx2 v[16:17], v[12:13], off
	v_mov_b32_e32 v13, 0
	v_mov_b32_e32 v12, v13
	s_waitcnt vmcnt(1)
	v_subrev_co_u32_e32 v14, vcc, s20, v14
	v_subb_co_u32_e32 v15, vcc, v15, v26, vcc
	s_waitcnt vmcnt(0)
	v_add_co_u32_e32 v16, vcc, v16, v22
	v_addc_co_u32_e32 v17, vcc, v17, v23, vcc
	v_cmp_lt_i64_e32 vcc, v[16:17], v[14:15]
	s_and_saveexec_b64 s[22:23], vcc
	s_cbranch_execz .LBB80_17
; %bb.14:                               ;   in Loop: Header=BB80_13 Depth=1
	v_lshlrev_b64 v[12:13], 3, v[16:17]
	v_mov_b32_e32 v7, s27
	v_add_co_u32_e32 v18, vcc, s26, v12
	v_addc_co_u32_e32 v19, vcc, v7, v13, vcc
	v_lshlrev_b64 v[12:13], 2, v[16:17]
	v_mov_b32_e32 v7, s11
	v_add_co_u32_e32 v20, vcc, s10, v12
	v_mov_b32_e32 v12, 0
	v_addc_co_u32_e32 v21, vcc, v7, v13, vcc
	s_mov_b64 s[24:25], 0
	v_mov_b32_e32 v13, v12
.LBB80_15:                              ;   Parent Loop BB80_13 Depth=1
                                        ; =>  This Inner Loop Header: Depth=2
	global_load_dword v28, v[20:21], off
	global_load_dwordx2 v[30:31], v[18:19], off offset:-4
	v_add_co_u32_e64 v20, s[2:3], 64, v20
	v_addc_co_u32_e64 v21, s[2:3], 0, v21, s[2:3]
	s_waitcnt vmcnt(1)
	v_ashrrev_i32_e32 v29, 31, v28
	v_lshlrev_b64 v[28:29], 3, v[28:29]
	v_add_co_u32_e32 v28, vcc, s16, v28
	v_addc_co_u32_e32 v29, vcc, v27, v29, vcc
	global_load_dwordx2 v[28:29], v[28:29], off
	v_add_co_u32_e32 v16, vcc, 16, v16
	v_addc_co_u32_e32 v17, vcc, 0, v17, vcc
	s_waitcnt vmcnt(1)
	v_cndmask_b32_e64 v32, v31, -v31, s[4:5]
	v_add_co_u32_e32 v18, vcc, 0x80, v18
	v_pk_mul_f32 v[32:33], v[32:33], v[0:1] op_sel_hi:[0,1]
	v_addc_co_u32_e32 v19, vcc, 0, v19, vcc
	v_pk_fma_f32 v[30:31], v[2:3], v[30:31], v[32:33] op_sel_hi:[1,0,1]
	v_cmp_ge_i64_e32 vcc, v[16:17], v[14:15]
	s_or_b64 s[24:25], vcc, s[24:25]
	s_waitcnt vmcnt(0)
	v_pk_fma_f32 v[12:13], v[30:31], v[28:29], v[12:13] op_sel_hi:[1,0,1]
	v_pk_fma_f32 v[12:13], v[30:31], v[28:29], v[12:13] op_sel:[1,1,0] op_sel_hi:[0,1,1] neg_lo:[1,0,0]
	s_andn2_b64 exec, exec, s[24:25]
	s_cbranch_execnz .LBB80_15
; %bb.16:                               ;   in Loop: Header=BB80_13 Depth=1
	s_or_b64 exec, exec, s[24:25]
.LBB80_17:                              ;   in Loop: Header=BB80_13 Depth=1
	s_or_b64 exec, exec, s[22:23]
	v_mov_b32_dpp v14, v12 row_shr:1 row_mask:0xf bank_mask:0xf
	v_mov_b32_dpp v15, v13 row_shr:1 row_mask:0xf bank_mask:0xf
	v_pk_add_f32 v[12:13], v[12:13], v[14:15]
	s_nop 1
	v_mov_b32_dpp v14, v12 row_shr:2 row_mask:0xf bank_mask:0xf
	v_mov_b32_dpp v15, v13 row_shr:2 row_mask:0xf bank_mask:0xf
	v_pk_add_f32 v[12:13], v[12:13], v[14:15]
	s_nop 1
	;; [unrolled: 4-line block ×3, first 2 shown]
	v_mov_b32_dpp v14, v12 row_shr:8 row_mask:0xf bank_mask:0xc
	v_mov_b32_dpp v15, v13 row_shr:8 row_mask:0xf bank_mask:0xc
	s_and_saveexec_b64 s[2:3], s[0:1]
	s_cbranch_execz .LBB80_12
; %bb.18:                               ;   in Loop: Header=BB80_13 Depth=1
	v_mov_b32_e32 v7, s7
	v_add_co_u32_e32 v10, vcc, s6, v10
	v_pk_add_f32 v[12:13], v[12:13], v[14:15]
	v_addc_co_u32_e32 v11, vcc, v7, v11, vcc
	s_and_saveexec_b64 s[22:23], s[14:15]
	s_cbranch_execz .LBB80_11
; %bb.19:                               ;   in Loop: Header=BB80_13 Depth=1
	global_load_dwordx2 v[14:15], v[10:11], off
	s_waitcnt vmcnt(0)
	v_pk_fma_f32 v[12:13], v[4:5], v[14:15], v[12:13] op_sel_hi:[1,0,1]
	v_pk_fma_f32 v[12:13], v[8:9], v[14:15], v[12:13] op_sel:[0,1,0]
	s_branch .LBB80_11
.LBB80_20:
	s_endpgm
.LBB80_21:
	v_pk_mov_b32 v[4:5], s[16:17], s[16:17] op_sel:[0,1]
	flat_load_dword v3, v[4:5] offset:4
	s_and_b64 vcc, exec, s[0:1]
	v_mov_b32_e32 v4, s2
	s_cbranch_vccnz .LBB80_4
.LBB80_22:
	v_pk_mov_b32 v[4:5], s[2:3], s[2:3] op_sel:[0,1]
	flat_load_dword v4, v[4:5]
	s_and_b64 vcc, exec, s[0:1]
	v_mov_b32_e32 v5, s3
	s_cbranch_vccz .LBB80_5
	s_branch .LBB80_6
	.section	.rodata,"a",@progbits
	.p2align	6, 0x0
	.amdhsa_kernel _ZN9rocsparseL21csrmvn_general_kernelILj256ELj16Eli21rocsparse_complex_numIfES2_S2_S2_EEvbT2_NS_24const_host_device_scalarIT6_EEPKT1_S9_PKS3_PKT3_PKT4_S6_PT5_21rocsparse_index_base_b
		.amdhsa_group_segment_fixed_size 0
		.amdhsa_private_segment_fixed_size 0
		.amdhsa_kernarg_size 336
		.amdhsa_user_sgpr_count 6
		.amdhsa_user_sgpr_private_segment_buffer 1
		.amdhsa_user_sgpr_dispatch_ptr 0
		.amdhsa_user_sgpr_queue_ptr 0
		.amdhsa_user_sgpr_kernarg_segment_ptr 1
		.amdhsa_user_sgpr_dispatch_id 0
		.amdhsa_user_sgpr_flat_scratch_init 0
		.amdhsa_user_sgpr_kernarg_preload_length 0
		.amdhsa_user_sgpr_kernarg_preload_offset 0
		.amdhsa_user_sgpr_private_segment_size 0
		.amdhsa_uses_dynamic_stack 0
		.amdhsa_system_sgpr_private_segment_wavefront_offset 0
		.amdhsa_system_sgpr_workgroup_id_x 1
		.amdhsa_system_sgpr_workgroup_id_y 0
		.amdhsa_system_sgpr_workgroup_id_z 0
		.amdhsa_system_sgpr_workgroup_info 0
		.amdhsa_system_vgpr_workitem_id 0
		.amdhsa_next_free_vgpr 34
		.amdhsa_next_free_sgpr 28
		.amdhsa_accum_offset 36
		.amdhsa_reserve_vcc 1
		.amdhsa_reserve_flat_scratch 0
		.amdhsa_float_round_mode_32 0
		.amdhsa_float_round_mode_16_64 0
		.amdhsa_float_denorm_mode_32 3
		.amdhsa_float_denorm_mode_16_64 3
		.amdhsa_dx10_clamp 1
		.amdhsa_ieee_mode 1
		.amdhsa_fp16_overflow 0
		.amdhsa_tg_split 0
		.amdhsa_exception_fp_ieee_invalid_op 0
		.amdhsa_exception_fp_denorm_src 0
		.amdhsa_exception_fp_ieee_div_zero 0
		.amdhsa_exception_fp_ieee_overflow 0
		.amdhsa_exception_fp_ieee_underflow 0
		.amdhsa_exception_fp_ieee_inexact 0
		.amdhsa_exception_int_div_zero 0
	.end_amdhsa_kernel
	.section	.text._ZN9rocsparseL21csrmvn_general_kernelILj256ELj16Eli21rocsparse_complex_numIfES2_S2_S2_EEvbT2_NS_24const_host_device_scalarIT6_EEPKT1_S9_PKS3_PKT3_PKT4_S6_PT5_21rocsparse_index_base_b,"axG",@progbits,_ZN9rocsparseL21csrmvn_general_kernelILj256ELj16Eli21rocsparse_complex_numIfES2_S2_S2_EEvbT2_NS_24const_host_device_scalarIT6_EEPKT1_S9_PKS3_PKT3_PKT4_S6_PT5_21rocsparse_index_base_b,comdat
.Lfunc_end80:
	.size	_ZN9rocsparseL21csrmvn_general_kernelILj256ELj16Eli21rocsparse_complex_numIfES2_S2_S2_EEvbT2_NS_24const_host_device_scalarIT6_EEPKT1_S9_PKS3_PKT3_PKT4_S6_PT5_21rocsparse_index_base_b, .Lfunc_end80-_ZN9rocsparseL21csrmvn_general_kernelILj256ELj16Eli21rocsparse_complex_numIfES2_S2_S2_EEvbT2_NS_24const_host_device_scalarIT6_EEPKT1_S9_PKS3_PKT3_PKT4_S6_PT5_21rocsparse_index_base_b
                                        ; -- End function
	.section	.AMDGPU.csdata,"",@progbits
; Kernel info:
; codeLenInByte = 980
; NumSgprs: 32
; NumVgprs: 34
; NumAgprs: 0
; TotalNumVgprs: 34
; ScratchSize: 0
; MemoryBound: 0
; FloatMode: 240
; IeeeMode: 1
; LDSByteSize: 0 bytes/workgroup (compile time only)
; SGPRBlocks: 3
; VGPRBlocks: 4
; NumSGPRsForWavesPerEU: 32
; NumVGPRsForWavesPerEU: 34
; AccumOffset: 36
; Occupancy: 8
; WaveLimiterHint : 1
; COMPUTE_PGM_RSRC2:SCRATCH_EN: 0
; COMPUTE_PGM_RSRC2:USER_SGPR: 6
; COMPUTE_PGM_RSRC2:TRAP_HANDLER: 0
; COMPUTE_PGM_RSRC2:TGID_X_EN: 1
; COMPUTE_PGM_RSRC2:TGID_Y_EN: 0
; COMPUTE_PGM_RSRC2:TGID_Z_EN: 0
; COMPUTE_PGM_RSRC2:TIDIG_COMP_CNT: 0
; COMPUTE_PGM_RSRC3_GFX90A:ACCUM_OFFSET: 8
; COMPUTE_PGM_RSRC3_GFX90A:TG_SPLIT: 0
	.section	.text._ZN9rocsparseL21csrmvn_general_kernelILj256ELj32Eli21rocsparse_complex_numIfES2_S2_S2_EEvbT2_NS_24const_host_device_scalarIT6_EEPKT1_S9_PKS3_PKT3_PKT4_S6_PT5_21rocsparse_index_base_b,"axG",@progbits,_ZN9rocsparseL21csrmvn_general_kernelILj256ELj32Eli21rocsparse_complex_numIfES2_S2_S2_EEvbT2_NS_24const_host_device_scalarIT6_EEPKT1_S9_PKS3_PKT3_PKT4_S6_PT5_21rocsparse_index_base_b,comdat
	.globl	_ZN9rocsparseL21csrmvn_general_kernelILj256ELj32Eli21rocsparse_complex_numIfES2_S2_S2_EEvbT2_NS_24const_host_device_scalarIT6_EEPKT1_S9_PKS3_PKT3_PKT4_S6_PT5_21rocsparse_index_base_b ; -- Begin function _ZN9rocsparseL21csrmvn_general_kernelILj256ELj32Eli21rocsparse_complex_numIfES2_S2_S2_EEvbT2_NS_24const_host_device_scalarIT6_EEPKT1_S9_PKS3_PKT3_PKT4_S6_PT5_21rocsparse_index_base_b
	.p2align	8
	.type	_ZN9rocsparseL21csrmvn_general_kernelILj256ELj32Eli21rocsparse_complex_numIfES2_S2_S2_EEvbT2_NS_24const_host_device_scalarIT6_EEPKT1_S9_PKS3_PKT3_PKT4_S6_PT5_21rocsparse_index_base_b,@function
_ZN9rocsparseL21csrmvn_general_kernelILj256ELj32Eli21rocsparse_complex_numIfES2_S2_S2_EEvbT2_NS_24const_host_device_scalarIT6_EEPKT1_S9_PKS3_PKT3_PKT4_S6_PT5_21rocsparse_index_base_b: ; @_ZN9rocsparseL21csrmvn_general_kernelILj256ELj32Eli21rocsparse_complex_numIfES2_S2_S2_EEvbT2_NS_24const_host_device_scalarIT6_EEPKT1_S9_PKS3_PKT3_PKT4_S6_PT5_21rocsparse_index_base_b
; %bb.0:
	s_load_dwordx2 s[20:21], s[4:5], 0x48
	s_load_dwordx4 s[16:19], s[4:5], 0x8
	s_load_dwordx2 s[2:3], s[4:5], 0x38
	s_waitcnt lgkmcnt(0)
	s_bitcmp1_b32 s21, 0
	s_cselect_b64 s[0:1], -1, 0
	s_xor_b64 s[8:9], s[0:1], -1
	s_and_b64 vcc, exec, s[0:1]
	v_mov_b32_e32 v2, s16
	s_cbranch_vccnz .LBB81_2
; %bb.1:
	v_pk_mov_b32 v[2:3], s[16:17], s[16:17] op_sel:[0,1]
	flat_load_dword v2, v[2:3]
.LBB81_2:
	v_cndmask_b32_e64 v1, 0, 1, s[8:9]
	v_cmp_ne_u32_e64 s[0:1], 1, v1
	s_andn2_b64 vcc, exec, s[8:9]
	v_mov_b32_e32 v3, s17
	s_cbranch_vccz .LBB81_21
; %bb.3:
	s_and_b64 vcc, exec, s[0:1]
	v_mov_b32_e32 v4, s2
	s_cbranch_vccz .LBB81_22
.LBB81_4:
	s_and_b64 vcc, exec, s[0:1]
	v_mov_b32_e32 v5, s3
	s_cbranch_vccnz .LBB81_6
.LBB81_5:
	v_pk_mov_b32 v[6:7], s[2:3], s[2:3] op_sel:[0,1]
	flat_load_dword v5, v[6:7] offset:4
.LBB81_6:
	s_waitcnt vmcnt(0) lgkmcnt(0)
	v_and_b32_e32 v1, 0x7fffffff, v2
	v_cmp_eq_u32_e32 vcc, 0, v1
	v_cmp_eq_f32_e64 s[0:1], 0, v3
	s_and_b64 s[8:9], vcc, s[0:1]
	s_mov_b64 s[0:1], -1
	s_and_saveexec_b64 s[2:3], s[8:9]
; %bb.7:
	v_and_b32_e32 v1, 0x7fffffff, v5
	v_cmp_neq_f32_e32 vcc, 1.0, v4
	v_cmp_ne_u32_e64 s[0:1], 0, v1
	s_or_b64 s[0:1], vcc, s[0:1]
	s_orn2_b64 s[0:1], s[0:1], exec
; %bb.8:
	s_or_b64 exec, exec, s[2:3]
	s_and_saveexec_b64 s[2:3], s[0:1]
	s_cbranch_execz .LBB81_20
; %bb.9:
	s_load_dwordx2 s[16:17], s[4:5], 0x0
	v_lshl_or_b32 v1, s6, 8, v0
	v_lshrrev_b32_e32 v6, 5, v1
	s_waitcnt lgkmcnt(0)
	v_cmp_gt_i32_e32 vcc, s17, v6
	s_and_b64 exec, exec, vcc
	s_cbranch_execz .LBB81_20
; %bb.10:
	s_load_dword s0, s[4:5], 0x50
	s_load_dwordx2 s[6:7], s[4:5], 0x40
	s_load_dwordx8 s[8:15], s[4:5], 0x18
	v_and_b32_e32 v1, 31, v0
	v_subrev_co_u32_e32 v22, vcc, s20, v1
	s_waitcnt lgkmcnt(0)
	s_lshl_b32 s21, s0, 3
	s_bitcmp1_b32 s16, 0
	v_subb_co_u32_e64 v23, s[0:1], 0, 0, vcc
	s_cselect_b64 s[4:5], -1, 0
	s_ashr_i32 s1, s20, 31
	s_mov_b32 s0, s20
	s_lshl_b64 s[0:1], s[0:1], 3
	s_sub_u32 s16, s14, s0
	s_subb_u32 s23, s15, s1
	v_cmp_eq_u32_e64 s[0:1], 31, v1
	v_and_b32_e32 v1, 0x7fffffff, v4
	v_cmp_ne_u32_e32 vcc, 0, v1
	v_cmp_neq_f32_e64 s[2:3], 0, v5
	s_or_b64 s[14:15], vcc, s[2:3]
	s_mov_b32 s22, 0
	s_add_u32 s26, s12, 4
	v_xor_b32_e32 v0, 0x80000000, v3
	v_xor_b32_e32 v8, 0x80000000, v5
	v_mov_b32_e32 v9, v4
	v_mov_b32_e32 v1, v2
	s_addc_u32 s27, s13, 0
	s_mov_b64 s[12:13], 0
	v_mov_b32_e32 v24, s19
	v_mov_b32_e32 v25, s9
	;; [unrolled: 1-line block ×4, first 2 shown]
	s_branch .LBB81_13
.LBB81_11:                              ;   in Loop: Header=BB81_13 Depth=1
	s_or_b64 exec, exec, s[22:23]
	global_store_dwordx2 v[10:11], v[12:13], off
.LBB81_12:                              ;   in Loop: Header=BB81_13 Depth=1
	s_or_b64 exec, exec, s[2:3]
	v_add_u32_e32 v6, s21, v6
	v_cmp_le_i32_e32 vcc, s17, v6
	s_or_b64 s[12:13], vcc, s[12:13]
	s_andn2_b64 exec, exec, s[12:13]
	s_cbranch_execz .LBB81_20
.LBB81_13:                              ; =>This Loop Header: Depth=1
                                        ;     Child Loop BB81_15 Depth 2
	v_ashrrev_i32_e32 v7, 31, v6
	v_lshlrev_b64 v[10:11], 3, v[6:7]
	v_add_co_u32_e32 v12, vcc, s8, v10
	v_addc_co_u32_e32 v13, vcc, v25, v11, vcc
	global_load_dwordx2 v[14:15], v[12:13], off
	v_add_co_u32_e32 v12, vcc, s18, v10
	v_addc_co_u32_e32 v13, vcc, v24, v11, vcc
	global_load_dwordx2 v[16:17], v[12:13], off
	v_mov_b32_e32 v13, 0
	v_mov_b32_e32 v12, v13
	s_waitcnt vmcnt(1)
	v_subrev_co_u32_e32 v14, vcc, s20, v14
	v_subb_co_u32_e32 v15, vcc, v15, v26, vcc
	s_waitcnt vmcnt(0)
	v_add_co_u32_e32 v16, vcc, v16, v22
	v_addc_co_u32_e32 v17, vcc, v17, v23, vcc
	v_cmp_lt_i64_e32 vcc, v[16:17], v[14:15]
	s_and_saveexec_b64 s[22:23], vcc
	s_cbranch_execz .LBB81_17
; %bb.14:                               ;   in Loop: Header=BB81_13 Depth=1
	v_lshlrev_b64 v[12:13], 3, v[16:17]
	v_mov_b32_e32 v7, s27
	v_add_co_u32_e32 v18, vcc, s26, v12
	v_addc_co_u32_e32 v19, vcc, v7, v13, vcc
	v_lshlrev_b64 v[12:13], 2, v[16:17]
	v_mov_b32_e32 v7, s11
	v_add_co_u32_e32 v20, vcc, s10, v12
	v_addc_co_u32_e32 v21, vcc, v7, v13, vcc
	v_mov_b32_e32 v13, 0
	s_mov_b64 s[24:25], 0
	v_mov_b32_e32 v12, v13
.LBB81_15:                              ;   Parent Loop BB81_13 Depth=1
                                        ; =>  This Inner Loop Header: Depth=2
	global_load_dword v28, v[20:21], off
	global_load_dwordx2 v[30:31], v[18:19], off offset:-4
	s_waitcnt vmcnt(1)
	v_ashrrev_i32_e32 v29, 31, v28
	v_lshlrev_b64 v[28:29], 3, v[28:29]
	v_add_co_u32_e32 v28, vcc, s16, v28
	v_addc_co_u32_e32 v29, vcc, v27, v29, vcc
	global_load_dwordx2 v[28:29], v[28:29], off
	v_add_co_u32_e32 v16, vcc, 32, v16
	v_addc_co_u32_e32 v17, vcc, 0, v17, vcc
	s_waitcnt vmcnt(1)
	v_cndmask_b32_e64 v32, v31, -v31, s[4:5]
	v_add_co_u32_e32 v18, vcc, 0x100, v18
	v_pk_mul_f32 v[32:33], v[32:33], v[0:1] op_sel_hi:[0,1]
	v_addc_co_u32_e32 v19, vcc, 0, v19, vcc
	v_pk_fma_f32 v[30:31], v[2:3], v[30:31], v[32:33] op_sel_hi:[1,0,1]
	v_add_co_u32_e32 v20, vcc, 0x80, v20
	v_cmp_ge_i64_e64 s[2:3], v[16:17], v[14:15]
	v_addc_co_u32_e32 v21, vcc, 0, v21, vcc
	s_or_b64 s[24:25], s[2:3], s[24:25]
	s_waitcnt vmcnt(0)
	v_pk_fma_f32 v[12:13], v[30:31], v[28:29], v[12:13] op_sel_hi:[1,0,1]
	v_pk_fma_f32 v[12:13], v[30:31], v[28:29], v[12:13] op_sel:[1,1,0] op_sel_hi:[0,1,1] neg_lo:[1,0,0]
	s_andn2_b64 exec, exec, s[24:25]
	s_cbranch_execnz .LBB81_15
; %bb.16:                               ;   in Loop: Header=BB81_13 Depth=1
	s_or_b64 exec, exec, s[24:25]
.LBB81_17:                              ;   in Loop: Header=BB81_13 Depth=1
	s_or_b64 exec, exec, s[22:23]
	v_mov_b32_dpp v14, v12 row_shr:1 row_mask:0xf bank_mask:0xf
	v_mov_b32_dpp v15, v13 row_shr:1 row_mask:0xf bank_mask:0xf
	v_pk_add_f32 v[12:13], v[12:13], v[14:15]
	s_nop 1
	v_mov_b32_dpp v14, v12 row_shr:2 row_mask:0xf bank_mask:0xf
	v_mov_b32_dpp v15, v13 row_shr:2 row_mask:0xf bank_mask:0xf
	v_pk_add_f32 v[12:13], v[12:13], v[14:15]
	s_nop 1
	v_mov_b32_dpp v14, v12 row_shr:4 row_mask:0xf bank_mask:0xe
	v_mov_b32_dpp v15, v13 row_shr:4 row_mask:0xf bank_mask:0xe
	v_pk_add_f32 v[12:13], v[12:13], v[14:15]
	s_nop 1
	v_mov_b32_dpp v14, v12 row_shr:8 row_mask:0xf bank_mask:0xc
	v_mov_b32_dpp v15, v13 row_shr:8 row_mask:0xf bank_mask:0xc
	v_pk_add_f32 v[12:13], v[12:13], v[14:15]
	s_nop 1
	v_mov_b32_dpp v14, v12 row_bcast:15 row_mask:0xa bank_mask:0xf
	v_mov_b32_dpp v15, v13 row_bcast:15 row_mask:0xa bank_mask:0xf
	s_and_saveexec_b64 s[2:3], s[0:1]
	s_cbranch_execz .LBB81_12
; %bb.18:                               ;   in Loop: Header=BB81_13 Depth=1
	v_mov_b32_e32 v7, s7
	v_add_co_u32_e32 v10, vcc, s6, v10
	v_pk_add_f32 v[12:13], v[12:13], v[14:15]
	v_addc_co_u32_e32 v11, vcc, v7, v11, vcc
	s_and_saveexec_b64 s[22:23], s[14:15]
	s_cbranch_execz .LBB81_11
; %bb.19:                               ;   in Loop: Header=BB81_13 Depth=1
	global_load_dwordx2 v[14:15], v[10:11], off
	s_waitcnt vmcnt(0)
	v_pk_fma_f32 v[12:13], v[4:5], v[14:15], v[12:13] op_sel_hi:[1,0,1]
	v_pk_fma_f32 v[12:13], v[8:9], v[14:15], v[12:13] op_sel:[0,1,0]
	s_branch .LBB81_11
.LBB81_20:
	s_endpgm
.LBB81_21:
	v_pk_mov_b32 v[4:5], s[16:17], s[16:17] op_sel:[0,1]
	flat_load_dword v3, v[4:5] offset:4
	s_and_b64 vcc, exec, s[0:1]
	v_mov_b32_e32 v4, s2
	s_cbranch_vccnz .LBB81_4
.LBB81_22:
	v_pk_mov_b32 v[4:5], s[2:3], s[2:3] op_sel:[0,1]
	flat_load_dword v4, v[4:5]
	s_and_b64 vcc, exec, s[0:1]
	v_mov_b32_e32 v5, s3
	s_cbranch_vccz .LBB81_5
	s_branch .LBB81_6
	.section	.rodata,"a",@progbits
	.p2align	6, 0x0
	.amdhsa_kernel _ZN9rocsparseL21csrmvn_general_kernelILj256ELj32Eli21rocsparse_complex_numIfES2_S2_S2_EEvbT2_NS_24const_host_device_scalarIT6_EEPKT1_S9_PKS3_PKT3_PKT4_S6_PT5_21rocsparse_index_base_b
		.amdhsa_group_segment_fixed_size 0
		.amdhsa_private_segment_fixed_size 0
		.amdhsa_kernarg_size 336
		.amdhsa_user_sgpr_count 6
		.amdhsa_user_sgpr_private_segment_buffer 1
		.amdhsa_user_sgpr_dispatch_ptr 0
		.amdhsa_user_sgpr_queue_ptr 0
		.amdhsa_user_sgpr_kernarg_segment_ptr 1
		.amdhsa_user_sgpr_dispatch_id 0
		.amdhsa_user_sgpr_flat_scratch_init 0
		.amdhsa_user_sgpr_kernarg_preload_length 0
		.amdhsa_user_sgpr_kernarg_preload_offset 0
		.amdhsa_user_sgpr_private_segment_size 0
		.amdhsa_uses_dynamic_stack 0
		.amdhsa_system_sgpr_private_segment_wavefront_offset 0
		.amdhsa_system_sgpr_workgroup_id_x 1
		.amdhsa_system_sgpr_workgroup_id_y 0
		.amdhsa_system_sgpr_workgroup_id_z 0
		.amdhsa_system_sgpr_workgroup_info 0
		.amdhsa_system_vgpr_workitem_id 0
		.amdhsa_next_free_vgpr 34
		.amdhsa_next_free_sgpr 28
		.amdhsa_accum_offset 36
		.amdhsa_reserve_vcc 1
		.amdhsa_reserve_flat_scratch 0
		.amdhsa_float_round_mode_32 0
		.amdhsa_float_round_mode_16_64 0
		.amdhsa_float_denorm_mode_32 3
		.amdhsa_float_denorm_mode_16_64 3
		.amdhsa_dx10_clamp 1
		.amdhsa_ieee_mode 1
		.amdhsa_fp16_overflow 0
		.amdhsa_tg_split 0
		.amdhsa_exception_fp_ieee_invalid_op 0
		.amdhsa_exception_fp_denorm_src 0
		.amdhsa_exception_fp_ieee_div_zero 0
		.amdhsa_exception_fp_ieee_overflow 0
		.amdhsa_exception_fp_ieee_underflow 0
		.amdhsa_exception_fp_ieee_inexact 0
		.amdhsa_exception_int_div_zero 0
	.end_amdhsa_kernel
	.section	.text._ZN9rocsparseL21csrmvn_general_kernelILj256ELj32Eli21rocsparse_complex_numIfES2_S2_S2_EEvbT2_NS_24const_host_device_scalarIT6_EEPKT1_S9_PKS3_PKT3_PKT4_S6_PT5_21rocsparse_index_base_b,"axG",@progbits,_ZN9rocsparseL21csrmvn_general_kernelILj256ELj32Eli21rocsparse_complex_numIfES2_S2_S2_EEvbT2_NS_24const_host_device_scalarIT6_EEPKT1_S9_PKS3_PKT3_PKT4_S6_PT5_21rocsparse_index_base_b,comdat
.Lfunc_end81:
	.size	_ZN9rocsparseL21csrmvn_general_kernelILj256ELj32Eli21rocsparse_complex_numIfES2_S2_S2_EEvbT2_NS_24const_host_device_scalarIT6_EEPKT1_S9_PKS3_PKT3_PKT4_S6_PT5_21rocsparse_index_base_b, .Lfunc_end81-_ZN9rocsparseL21csrmvn_general_kernelILj256ELj32Eli21rocsparse_complex_numIfES2_S2_S2_EEvbT2_NS_24const_host_device_scalarIT6_EEPKT1_S9_PKS3_PKT3_PKT4_S6_PT5_21rocsparse_index_base_b
                                        ; -- End function
	.section	.AMDGPU.csdata,"",@progbits
; Kernel info:
; codeLenInByte = 1008
; NumSgprs: 32
; NumVgprs: 34
; NumAgprs: 0
; TotalNumVgprs: 34
; ScratchSize: 0
; MemoryBound: 0
; FloatMode: 240
; IeeeMode: 1
; LDSByteSize: 0 bytes/workgroup (compile time only)
; SGPRBlocks: 3
; VGPRBlocks: 4
; NumSGPRsForWavesPerEU: 32
; NumVGPRsForWavesPerEU: 34
; AccumOffset: 36
; Occupancy: 8
; WaveLimiterHint : 1
; COMPUTE_PGM_RSRC2:SCRATCH_EN: 0
; COMPUTE_PGM_RSRC2:USER_SGPR: 6
; COMPUTE_PGM_RSRC2:TRAP_HANDLER: 0
; COMPUTE_PGM_RSRC2:TGID_X_EN: 1
; COMPUTE_PGM_RSRC2:TGID_Y_EN: 0
; COMPUTE_PGM_RSRC2:TGID_Z_EN: 0
; COMPUTE_PGM_RSRC2:TIDIG_COMP_CNT: 0
; COMPUTE_PGM_RSRC3_GFX90A:ACCUM_OFFSET: 8
; COMPUTE_PGM_RSRC3_GFX90A:TG_SPLIT: 0
	.section	.text._ZN9rocsparseL21csrmvn_general_kernelILj256ELj64Eli21rocsparse_complex_numIfES2_S2_S2_EEvbT2_NS_24const_host_device_scalarIT6_EEPKT1_S9_PKS3_PKT3_PKT4_S6_PT5_21rocsparse_index_base_b,"axG",@progbits,_ZN9rocsparseL21csrmvn_general_kernelILj256ELj64Eli21rocsparse_complex_numIfES2_S2_S2_EEvbT2_NS_24const_host_device_scalarIT6_EEPKT1_S9_PKS3_PKT3_PKT4_S6_PT5_21rocsparse_index_base_b,comdat
	.globl	_ZN9rocsparseL21csrmvn_general_kernelILj256ELj64Eli21rocsparse_complex_numIfES2_S2_S2_EEvbT2_NS_24const_host_device_scalarIT6_EEPKT1_S9_PKS3_PKT3_PKT4_S6_PT5_21rocsparse_index_base_b ; -- Begin function _ZN9rocsparseL21csrmvn_general_kernelILj256ELj64Eli21rocsparse_complex_numIfES2_S2_S2_EEvbT2_NS_24const_host_device_scalarIT6_EEPKT1_S9_PKS3_PKT3_PKT4_S6_PT5_21rocsparse_index_base_b
	.p2align	8
	.type	_ZN9rocsparseL21csrmvn_general_kernelILj256ELj64Eli21rocsparse_complex_numIfES2_S2_S2_EEvbT2_NS_24const_host_device_scalarIT6_EEPKT1_S9_PKS3_PKT3_PKT4_S6_PT5_21rocsparse_index_base_b,@function
_ZN9rocsparseL21csrmvn_general_kernelILj256ELj64Eli21rocsparse_complex_numIfES2_S2_S2_EEvbT2_NS_24const_host_device_scalarIT6_EEPKT1_S9_PKS3_PKT3_PKT4_S6_PT5_21rocsparse_index_base_b: ; @_ZN9rocsparseL21csrmvn_general_kernelILj256ELj64Eli21rocsparse_complex_numIfES2_S2_S2_EEvbT2_NS_24const_host_device_scalarIT6_EEPKT1_S9_PKS3_PKT3_PKT4_S6_PT5_21rocsparse_index_base_b
; %bb.0:
	s_load_dwordx2 s[20:21], s[4:5], 0x48
	s_load_dwordx4 s[16:19], s[4:5], 0x8
	s_load_dwordx2 s[2:3], s[4:5], 0x38
	s_waitcnt lgkmcnt(0)
	s_bitcmp1_b32 s21, 0
	s_cselect_b64 s[0:1], -1, 0
	s_xor_b64 s[8:9], s[0:1], -1
	s_and_b64 vcc, exec, s[0:1]
	v_mov_b32_e32 v2, s16
	s_cbranch_vccnz .LBB82_2
; %bb.1:
	v_pk_mov_b32 v[2:3], s[16:17], s[16:17] op_sel:[0,1]
	flat_load_dword v2, v[2:3]
.LBB82_2:
	v_cndmask_b32_e64 v1, 0, 1, s[8:9]
	v_cmp_ne_u32_e64 s[0:1], 1, v1
	s_andn2_b64 vcc, exec, s[8:9]
	v_mov_b32_e32 v3, s17
	s_cbranch_vccz .LBB82_21
; %bb.3:
	s_and_b64 vcc, exec, s[0:1]
	v_mov_b32_e32 v4, s2
	s_cbranch_vccz .LBB82_22
.LBB82_4:
	s_and_b64 vcc, exec, s[0:1]
	v_mov_b32_e32 v5, s3
	s_cbranch_vccnz .LBB82_6
.LBB82_5:
	v_pk_mov_b32 v[6:7], s[2:3], s[2:3] op_sel:[0,1]
	flat_load_dword v5, v[6:7] offset:4
.LBB82_6:
	s_waitcnt vmcnt(0) lgkmcnt(0)
	v_and_b32_e32 v1, 0x7fffffff, v2
	v_cmp_eq_u32_e32 vcc, 0, v1
	v_cmp_eq_f32_e64 s[0:1], 0, v3
	s_and_b64 s[8:9], vcc, s[0:1]
	s_mov_b64 s[0:1], -1
	s_and_saveexec_b64 s[2:3], s[8:9]
; %bb.7:
	v_and_b32_e32 v1, 0x7fffffff, v5
	v_cmp_neq_f32_e32 vcc, 1.0, v4
	v_cmp_ne_u32_e64 s[0:1], 0, v1
	s_or_b64 s[0:1], vcc, s[0:1]
	s_orn2_b64 s[0:1], s[0:1], exec
; %bb.8:
	s_or_b64 exec, exec, s[2:3]
	s_and_saveexec_b64 s[2:3], s[0:1]
	s_cbranch_execz .LBB82_20
; %bb.9:
	s_load_dwordx2 s[16:17], s[4:5], 0x0
	v_lshl_or_b32 v1, s6, 8, v0
	v_lshrrev_b32_e32 v6, 6, v1
	s_waitcnt lgkmcnt(0)
	v_cmp_gt_i32_e32 vcc, s17, v6
	s_and_b64 exec, exec, vcc
	s_cbranch_execz .LBB82_20
; %bb.10:
	s_load_dword s0, s[4:5], 0x50
	s_load_dwordx2 s[6:7], s[4:5], 0x40
	s_load_dwordx8 s[8:15], s[4:5], 0x18
	v_and_b32_e32 v1, 63, v0
	v_subrev_co_u32_e32 v22, vcc, s20, v1
	s_waitcnt lgkmcnt(0)
	s_lshl_b32 s21, s0, 2
	s_bitcmp1_b32 s16, 0
	v_subb_co_u32_e64 v23, s[0:1], 0, 0, vcc
	s_cselect_b64 s[4:5], -1, 0
	s_ashr_i32 s1, s20, 31
	s_mov_b32 s0, s20
	s_lshl_b64 s[0:1], s[0:1], 3
	s_sub_u32 s16, s14, s0
	s_subb_u32 s23, s15, s1
	v_cmp_eq_u32_e64 s[0:1], 63, v1
	v_and_b32_e32 v1, 0x7fffffff, v4
	v_cmp_ne_u32_e32 vcc, 0, v1
	v_cmp_neq_f32_e64 s[2:3], 0, v5
	s_or_b64 s[14:15], vcc, s[2:3]
	s_mov_b32 s22, 0
	s_add_u32 s26, s12, 4
	v_xor_b32_e32 v0, 0x80000000, v3
	v_xor_b32_e32 v8, 0x80000000, v5
	v_mov_b32_e32 v9, v4
	v_mov_b32_e32 v1, v2
	s_addc_u32 s27, s13, 0
	s_mov_b64 s[12:13], 0
	v_mov_b32_e32 v24, s19
	v_mov_b32_e32 v25, s9
	;; [unrolled: 1-line block ×4, first 2 shown]
	s_branch .LBB82_13
.LBB82_11:                              ;   in Loop: Header=BB82_13 Depth=1
	s_or_b64 exec, exec, s[22:23]
	global_store_dwordx2 v[10:11], v[12:13], off
.LBB82_12:                              ;   in Loop: Header=BB82_13 Depth=1
	s_or_b64 exec, exec, s[2:3]
	v_add_u32_e32 v6, s21, v6
	v_cmp_le_i32_e32 vcc, s17, v6
	s_or_b64 s[12:13], vcc, s[12:13]
	s_andn2_b64 exec, exec, s[12:13]
	s_cbranch_execz .LBB82_20
.LBB82_13:                              ; =>This Loop Header: Depth=1
                                        ;     Child Loop BB82_15 Depth 2
	v_ashrrev_i32_e32 v7, 31, v6
	v_lshlrev_b64 v[10:11], 3, v[6:7]
	v_add_co_u32_e32 v12, vcc, s8, v10
	v_addc_co_u32_e32 v13, vcc, v25, v11, vcc
	global_load_dwordx2 v[14:15], v[12:13], off
	v_add_co_u32_e32 v12, vcc, s18, v10
	v_addc_co_u32_e32 v13, vcc, v24, v11, vcc
	global_load_dwordx2 v[16:17], v[12:13], off
	v_mov_b32_e32 v13, 0
	v_mov_b32_e32 v12, v13
	s_waitcnt vmcnt(1)
	v_subrev_co_u32_e32 v14, vcc, s20, v14
	v_subb_co_u32_e32 v15, vcc, v15, v26, vcc
	s_waitcnt vmcnt(0)
	v_add_co_u32_e32 v16, vcc, v16, v22
	v_addc_co_u32_e32 v17, vcc, v17, v23, vcc
	v_cmp_lt_i64_e32 vcc, v[16:17], v[14:15]
	s_and_saveexec_b64 s[22:23], vcc
	s_cbranch_execz .LBB82_17
; %bb.14:                               ;   in Loop: Header=BB82_13 Depth=1
	v_lshlrev_b64 v[12:13], 3, v[16:17]
	v_mov_b32_e32 v7, s27
	v_add_co_u32_e32 v18, vcc, s26, v12
	v_addc_co_u32_e32 v19, vcc, v7, v13, vcc
	v_lshlrev_b64 v[12:13], 2, v[16:17]
	v_mov_b32_e32 v7, s11
	v_add_co_u32_e32 v20, vcc, s10, v12
	v_mov_b32_e32 v12, 0
	v_addc_co_u32_e32 v21, vcc, v7, v13, vcc
	s_mov_b64 s[24:25], 0
	v_mov_b32_e32 v13, v12
.LBB82_15:                              ;   Parent Loop BB82_13 Depth=1
                                        ; =>  This Inner Loop Header: Depth=2
	global_load_dword v28, v[20:21], off
	global_load_dwordx2 v[30:31], v[18:19], off offset:-4
	s_waitcnt vmcnt(1)
	v_ashrrev_i32_e32 v29, 31, v28
	v_lshlrev_b64 v[28:29], 3, v[28:29]
	v_add_co_u32_e32 v28, vcc, s16, v28
	v_addc_co_u32_e32 v29, vcc, v27, v29, vcc
	global_load_dwordx2 v[28:29], v[28:29], off
	v_add_co_u32_e32 v16, vcc, 64, v16
	v_addc_co_u32_e32 v17, vcc, 0, v17, vcc
	s_waitcnt vmcnt(1)
	v_cndmask_b32_e64 v32, v31, -v31, s[4:5]
	v_add_co_u32_e32 v18, vcc, 0x200, v18
	v_pk_mul_f32 v[32:33], v[32:33], v[0:1] op_sel_hi:[0,1]
	v_addc_co_u32_e32 v19, vcc, 0, v19, vcc
	v_pk_fma_f32 v[30:31], v[2:3], v[30:31], v[32:33] op_sel_hi:[1,0,1]
	v_add_co_u32_e32 v20, vcc, 0x100, v20
	v_cmp_ge_i64_e64 s[2:3], v[16:17], v[14:15]
	v_addc_co_u32_e32 v21, vcc, 0, v21, vcc
	s_or_b64 s[24:25], s[2:3], s[24:25]
	s_waitcnt vmcnt(0)
	v_pk_fma_f32 v[12:13], v[30:31], v[28:29], v[12:13] op_sel_hi:[1,0,1]
	v_pk_fma_f32 v[12:13], v[30:31], v[28:29], v[12:13] op_sel:[1,1,0] op_sel_hi:[0,1,1] neg_lo:[1,0,0]
	s_andn2_b64 exec, exec, s[24:25]
	s_cbranch_execnz .LBB82_15
; %bb.16:                               ;   in Loop: Header=BB82_13 Depth=1
	s_or_b64 exec, exec, s[24:25]
.LBB82_17:                              ;   in Loop: Header=BB82_13 Depth=1
	s_or_b64 exec, exec, s[22:23]
	v_mov_b32_dpp v14, v12 row_shr:1 row_mask:0xf bank_mask:0xf
	v_mov_b32_dpp v15, v13 row_shr:1 row_mask:0xf bank_mask:0xf
	v_pk_add_f32 v[12:13], v[12:13], v[14:15]
	s_nop 1
	v_mov_b32_dpp v14, v12 row_shr:2 row_mask:0xf bank_mask:0xf
	v_mov_b32_dpp v15, v13 row_shr:2 row_mask:0xf bank_mask:0xf
	v_pk_add_f32 v[12:13], v[12:13], v[14:15]
	s_nop 1
	;; [unrolled: 4-line block ×4, first 2 shown]
	v_mov_b32_dpp v14, v12 row_bcast:15 row_mask:0xa bank_mask:0xf
	v_mov_b32_dpp v15, v13 row_bcast:15 row_mask:0xa bank_mask:0xf
	v_pk_add_f32 v[12:13], v[12:13], v[14:15]
	s_nop 1
	v_mov_b32_dpp v14, v12 row_bcast:31 row_mask:0xc bank_mask:0xf
	v_mov_b32_dpp v15, v13 row_bcast:31 row_mask:0xc bank_mask:0xf
	s_and_saveexec_b64 s[2:3], s[0:1]
	s_cbranch_execz .LBB82_12
; %bb.18:                               ;   in Loop: Header=BB82_13 Depth=1
	v_mov_b32_e32 v7, s7
	v_add_co_u32_e32 v10, vcc, s6, v10
	v_pk_add_f32 v[12:13], v[12:13], v[14:15]
	v_addc_co_u32_e32 v11, vcc, v7, v11, vcc
	s_and_saveexec_b64 s[22:23], s[14:15]
	s_cbranch_execz .LBB82_11
; %bb.19:                               ;   in Loop: Header=BB82_13 Depth=1
	global_load_dwordx2 v[14:15], v[10:11], off
	s_waitcnt vmcnt(0)
	v_pk_fma_f32 v[12:13], v[4:5], v[14:15], v[12:13] op_sel_hi:[1,0,1]
	v_pk_fma_f32 v[12:13], v[8:9], v[14:15], v[12:13] op_sel:[0,1,0]
	s_branch .LBB82_11
.LBB82_20:
	s_endpgm
.LBB82_21:
	v_pk_mov_b32 v[4:5], s[16:17], s[16:17] op_sel:[0,1]
	flat_load_dword v3, v[4:5] offset:4
	s_and_b64 vcc, exec, s[0:1]
	v_mov_b32_e32 v4, s2
	s_cbranch_vccnz .LBB82_4
.LBB82_22:
	v_pk_mov_b32 v[4:5], s[2:3], s[2:3] op_sel:[0,1]
	flat_load_dword v4, v[4:5]
	s_and_b64 vcc, exec, s[0:1]
	v_mov_b32_e32 v5, s3
	s_cbranch_vccz .LBB82_5
	s_branch .LBB82_6
	.section	.rodata,"a",@progbits
	.p2align	6, 0x0
	.amdhsa_kernel _ZN9rocsparseL21csrmvn_general_kernelILj256ELj64Eli21rocsparse_complex_numIfES2_S2_S2_EEvbT2_NS_24const_host_device_scalarIT6_EEPKT1_S9_PKS3_PKT3_PKT4_S6_PT5_21rocsparse_index_base_b
		.amdhsa_group_segment_fixed_size 0
		.amdhsa_private_segment_fixed_size 0
		.amdhsa_kernarg_size 336
		.amdhsa_user_sgpr_count 6
		.amdhsa_user_sgpr_private_segment_buffer 1
		.amdhsa_user_sgpr_dispatch_ptr 0
		.amdhsa_user_sgpr_queue_ptr 0
		.amdhsa_user_sgpr_kernarg_segment_ptr 1
		.amdhsa_user_sgpr_dispatch_id 0
		.amdhsa_user_sgpr_flat_scratch_init 0
		.amdhsa_user_sgpr_kernarg_preload_length 0
		.amdhsa_user_sgpr_kernarg_preload_offset 0
		.amdhsa_user_sgpr_private_segment_size 0
		.amdhsa_uses_dynamic_stack 0
		.amdhsa_system_sgpr_private_segment_wavefront_offset 0
		.amdhsa_system_sgpr_workgroup_id_x 1
		.amdhsa_system_sgpr_workgroup_id_y 0
		.amdhsa_system_sgpr_workgroup_id_z 0
		.amdhsa_system_sgpr_workgroup_info 0
		.amdhsa_system_vgpr_workitem_id 0
		.amdhsa_next_free_vgpr 34
		.amdhsa_next_free_sgpr 28
		.amdhsa_accum_offset 36
		.amdhsa_reserve_vcc 1
		.amdhsa_reserve_flat_scratch 0
		.amdhsa_float_round_mode_32 0
		.amdhsa_float_round_mode_16_64 0
		.amdhsa_float_denorm_mode_32 3
		.amdhsa_float_denorm_mode_16_64 3
		.amdhsa_dx10_clamp 1
		.amdhsa_ieee_mode 1
		.amdhsa_fp16_overflow 0
		.amdhsa_tg_split 0
		.amdhsa_exception_fp_ieee_invalid_op 0
		.amdhsa_exception_fp_denorm_src 0
		.amdhsa_exception_fp_ieee_div_zero 0
		.amdhsa_exception_fp_ieee_overflow 0
		.amdhsa_exception_fp_ieee_underflow 0
		.amdhsa_exception_fp_ieee_inexact 0
		.amdhsa_exception_int_div_zero 0
	.end_amdhsa_kernel
	.section	.text._ZN9rocsparseL21csrmvn_general_kernelILj256ELj64Eli21rocsparse_complex_numIfES2_S2_S2_EEvbT2_NS_24const_host_device_scalarIT6_EEPKT1_S9_PKS3_PKT3_PKT4_S6_PT5_21rocsparse_index_base_b,"axG",@progbits,_ZN9rocsparseL21csrmvn_general_kernelILj256ELj64Eli21rocsparse_complex_numIfES2_S2_S2_EEvbT2_NS_24const_host_device_scalarIT6_EEPKT1_S9_PKS3_PKT3_PKT4_S6_PT5_21rocsparse_index_base_b,comdat
.Lfunc_end82:
	.size	_ZN9rocsparseL21csrmvn_general_kernelILj256ELj64Eli21rocsparse_complex_numIfES2_S2_S2_EEvbT2_NS_24const_host_device_scalarIT6_EEPKT1_S9_PKS3_PKT3_PKT4_S6_PT5_21rocsparse_index_base_b, .Lfunc_end82-_ZN9rocsparseL21csrmvn_general_kernelILj256ELj64Eli21rocsparse_complex_numIfES2_S2_S2_EEvbT2_NS_24const_host_device_scalarIT6_EEPKT1_S9_PKS3_PKT3_PKT4_S6_PT5_21rocsparse_index_base_b
                                        ; -- End function
	.section	.AMDGPU.csdata,"",@progbits
; Kernel info:
; codeLenInByte = 1036
; NumSgprs: 32
; NumVgprs: 34
; NumAgprs: 0
; TotalNumVgprs: 34
; ScratchSize: 0
; MemoryBound: 0
; FloatMode: 240
; IeeeMode: 1
; LDSByteSize: 0 bytes/workgroup (compile time only)
; SGPRBlocks: 3
; VGPRBlocks: 4
; NumSGPRsForWavesPerEU: 32
; NumVGPRsForWavesPerEU: 34
; AccumOffset: 36
; Occupancy: 8
; WaveLimiterHint : 1
; COMPUTE_PGM_RSRC2:SCRATCH_EN: 0
; COMPUTE_PGM_RSRC2:USER_SGPR: 6
; COMPUTE_PGM_RSRC2:TRAP_HANDLER: 0
; COMPUTE_PGM_RSRC2:TGID_X_EN: 1
; COMPUTE_PGM_RSRC2:TGID_Y_EN: 0
; COMPUTE_PGM_RSRC2:TGID_Z_EN: 0
; COMPUTE_PGM_RSRC2:TIDIG_COMP_CNT: 0
; COMPUTE_PGM_RSRC3_GFX90A:ACCUM_OFFSET: 8
; COMPUTE_PGM_RSRC3_GFX90A:TG_SPLIT: 0
	.section	.text._ZN9rocsparseL21csrmvt_general_kernelILj256ELj4Eli21rocsparse_complex_numIfES2_S2_S2_EEvbbT2_NS_24const_host_device_scalarIT6_EEPKT1_S9_PKS3_PKT3_PKT4_PT5_21rocsparse_index_base_b,"axG",@progbits,_ZN9rocsparseL21csrmvt_general_kernelILj256ELj4Eli21rocsparse_complex_numIfES2_S2_S2_EEvbbT2_NS_24const_host_device_scalarIT6_EEPKT1_S9_PKS3_PKT3_PKT4_PT5_21rocsparse_index_base_b,comdat
	.globl	_ZN9rocsparseL21csrmvt_general_kernelILj256ELj4Eli21rocsparse_complex_numIfES2_S2_S2_EEvbbT2_NS_24const_host_device_scalarIT6_EEPKT1_S9_PKS3_PKT3_PKT4_PT5_21rocsparse_index_base_b ; -- Begin function _ZN9rocsparseL21csrmvt_general_kernelILj256ELj4Eli21rocsparse_complex_numIfES2_S2_S2_EEvbbT2_NS_24const_host_device_scalarIT6_EEPKT1_S9_PKS3_PKT3_PKT4_PT5_21rocsparse_index_base_b
	.p2align	8
	.type	_ZN9rocsparseL21csrmvt_general_kernelILj256ELj4Eli21rocsparse_complex_numIfES2_S2_S2_EEvbbT2_NS_24const_host_device_scalarIT6_EEPKT1_S9_PKS3_PKT3_PKT4_PT5_21rocsparse_index_base_b,@function
_ZN9rocsparseL21csrmvt_general_kernelILj256ELj4Eli21rocsparse_complex_numIfES2_S2_S2_EEvbbT2_NS_24const_host_device_scalarIT6_EEPKT1_S9_PKS3_PKT3_PKT4_PT5_21rocsparse_index_base_b: ; @_ZN9rocsparseL21csrmvt_general_kernelILj256ELj4Eli21rocsparse_complex_numIfES2_S2_S2_EEvbbT2_NS_24const_host_device_scalarIT6_EEPKT1_S9_PKS3_PKT3_PKT4_PT5_21rocsparse_index_base_b
; %bb.0:
	s_load_dwordx2 s[20:21], s[4:5], 0x40
	s_load_dwordx4 s[16:19], s[4:5], 0x0
	s_load_dwordx4 s[0:3], s[4:5], 0x8
	s_waitcnt lgkmcnt(0)
	s_bitcmp1_b32 s21, 0
	s_cselect_b64 s[10:11], -1, 0
	s_xor_b64 s[8:9], s[10:11], -1
	s_and_b64 vcc, exec, s[10:11]
	v_mov_b32_e32 v14, s18
	s_cbranch_vccnz .LBB83_2
; %bb.1:
	v_pk_mov_b32 v[2:3], s[0:1], s[0:1] op_sel:[0,1]
	flat_load_dword v14, v[2:3]
.LBB83_2:
	s_andn2_b64 vcc, exec, s[8:9]
	v_mov_b32_e32 v15, s19
	s_cbranch_vccnz .LBB83_4
; %bb.3:
	v_pk_mov_b32 v[2:3], s[0:1], s[0:1] op_sel:[0,1]
	flat_load_dword v15, v[2:3] offset:4
.LBB83_4:
	s_waitcnt vmcnt(0) lgkmcnt(0)
	v_cmp_neq_f32_e32 vcc, 0, v14
	v_cmp_neq_f32_e64 s[0:1], 0, v15
	s_or_b64 s[0:1], vcc, s[0:1]
	s_and_saveexec_b64 s[8:9], s[0:1]
	s_cbranch_execz .LBB83_29
; %bb.5:
	s_load_dword s0, s[4:5], 0x0
	s_load_dwordx2 s[18:19], s[4:5], 0x38
	s_load_dword s1, s[4:5], 0x48
	s_load_dwordx8 s[8:15], s[4:5], 0x18
	v_and_b32_e32 v1, 3, v0
	s_waitcnt lgkmcnt(0)
	s_and_b32 s0, s0, 1
	s_bitcmp1_b32 s16, 8
	v_lshl_or_b32 v0, s6, 8, v0
	s_cselect_b64 s[4:5], -1, 0
	s_lshl_b32 s16, s1, 6
	v_lshrrev_b32_e32 v0, 2, v0
	s_cmp_eq_u32 s0, 0
	v_cmp_gt_i32_e64 s[0:1], s17, v0
	s_mov_b64 s[6:7], -1
	s_cbranch_scc0 .LBB83_17
; %bb.6:
	s_and_saveexec_b64 s[6:7], s[0:1]
	s_cbranch_execz .LBB83_16
; %bb.7:
	v_subrev_co_u32_e32 v16, vcc, s20, v1
	s_mov_b32 s21, 0
	v_subb_co_u32_e64 v17, s[22:23], 0, 0, vcc
	s_mov_b64 s[22:23], 0
	v_mov_b32_e32 v18, s3
	v_mov_b32_e32 v19, s9
	;; [unrolled: 1-line block ×4, first 2 shown]
	s_branch .LBB83_9
.LBB83_8:                               ;   in Loop: Header=BB83_9 Depth=1
	s_or_b64 exec, exec, s[24:25]
	v_add_u32_e32 v2, s16, v2
	v_cmp_le_i32_e32 vcc, s17, v2
	s_or_b64 s[22:23], vcc, s[22:23]
	s_andn2_b64 exec, exec, s[22:23]
	s_cbranch_execz .LBB83_16
.LBB83_9:                               ; =>This Loop Header: Depth=1
                                        ;     Child Loop BB83_11 Depth 2
                                        ;       Child Loop BB83_12 Depth 3
                                        ;       Child Loop BB83_14 Depth 3
	v_ashrrev_i32_e32 v3, 31, v2
	v_lshlrev_b64 v[8:9], 3, v[2:3]
	v_add_co_u32_e32 v4, vcc, s8, v8
	v_addc_co_u32_e32 v5, vcc, v19, v9, vcc
	global_load_dwordx2 v[4:5], v[4:5], off
	v_add_co_u32_e32 v6, vcc, s2, v8
	v_addc_co_u32_e32 v7, vcc, v18, v9, vcc
	global_load_dwordx2 v[6:7], v[6:7], off
	s_waitcnt vmcnt(1)
	v_subrev_co_u32_e32 v4, vcc, s20, v4
	v_subb_co_u32_e32 v5, vcc, v5, v20, vcc
	s_waitcnt vmcnt(0)
	v_add_co_u32_e32 v6, vcc, v6, v16
	v_addc_co_u32_e32 v7, vcc, v7, v17, vcc
	v_cmp_lt_i64_e32 vcc, v[6:7], v[4:5]
	s_and_saveexec_b64 s[24:25], vcc
	s_cbranch_execz .LBB83_8
; %bb.10:                               ;   in Loop: Header=BB83_9 Depth=1
	v_mov_b32_e32 v3, s15
	v_add_co_u32_e32 v8, vcc, s14, v8
	v_addc_co_u32_e32 v9, vcc, v3, v9, vcc
	global_load_dwordx2 v[8:9], v[8:9], off
	s_mov_b64 s[26:27], 0
	s_waitcnt vmcnt(0)
	v_mul_f32_e64 v3, v9, -v15
	v_mul_f32_e32 v21, v14, v9
	v_fmac_f32_e32 v3, v14, v8
	v_fmac_f32_e32 v21, v15, v8
.LBB83_11:                              ;   Parent Loop BB83_9 Depth=1
                                        ; =>  This Loop Header: Depth=2
                                        ;       Child Loop BB83_12 Depth 3
                                        ;       Child Loop BB83_14 Depth 3
	v_lshlrev_b64 v[8:9], 2, v[6:7]
	v_mov_b32_e32 v10, s11
	v_add_co_u32_e32 v8, vcc, s10, v8
	v_addc_co_u32_e32 v9, vcc, v10, v9, vcc
	global_load_dword v12, v[8:9], off
	v_lshlrev_b64 v[8:9], 3, v[6:7]
	v_mov_b32_e32 v10, s13
	v_add_co_u32_e32 v8, vcc, s12, v8
	v_addc_co_u32_e32 v9, vcc, v10, v9, vcc
	global_load_dwordx2 v[10:11], v[8:9], off
	v_mov_b32_e32 v13, s19
	s_mov_b64 s[28:29], 0
	s_waitcnt vmcnt(1)
	v_subrev_u32_e32 v8, s20, v12
	v_ashrrev_i32_e32 v9, 31, v8
	v_lshlrev_b64 v[8:9], 3, v[8:9]
	v_add_co_u32_e32 v8, vcc, s18, v8
	v_addc_co_u32_e32 v9, vcc, v13, v9, vcc
	global_load_dword v13, v[8:9], off
	s_waitcnt vmcnt(1)
	v_cndmask_b32_e64 v22, v11, -v11, s[4:5]
	v_mul_f32_e64 v11, v22, -v21
	v_fmac_f32_e32 v11, v3, v10
.LBB83_12:                              ;   Parent Loop BB83_9 Depth=1
                                        ;     Parent Loop BB83_11 Depth=2
                                        ; =>    This Inner Loop Header: Depth=3
	s_waitcnt vmcnt(0)
	v_add_f32_e32 v12, v13, v11
	global_atomic_cmpswap v12, v[8:9], v[12:13], off glc
	s_waitcnt vmcnt(0)
	v_cmp_eq_u32_e32 vcc, v12, v13
	s_or_b64 s[28:29], vcc, s[28:29]
	v_mov_b32_e32 v13, v12
	s_andn2_b64 exec, exec, s[28:29]
	s_cbranch_execnz .LBB83_12
; %bb.13:                               ;   in Loop: Header=BB83_11 Depth=2
	s_or_b64 exec, exec, s[28:29]
	global_load_dword v11, v[8:9], off offset:4
	v_mul_f32_e32 v12, v3, v22
	v_fmac_f32_e32 v12, v21, v10
	s_mov_b64 s[28:29], 0
.LBB83_14:                              ;   Parent Loop BB83_9 Depth=1
                                        ;     Parent Loop BB83_11 Depth=2
                                        ; =>    This Inner Loop Header: Depth=3
	s_waitcnt vmcnt(0)
	v_add_f32_e32 v10, v11, v12
	global_atomic_cmpswap v10, v[8:9], v[10:11], off offset:4 glc
	s_waitcnt vmcnt(0)
	v_cmp_eq_u32_e32 vcc, v10, v11
	s_or_b64 s[28:29], vcc, s[28:29]
	v_mov_b32_e32 v11, v10
	s_andn2_b64 exec, exec, s[28:29]
	s_cbranch_execnz .LBB83_14
; %bb.15:                               ;   in Loop: Header=BB83_11 Depth=2
	s_or_b64 exec, exec, s[28:29]
	v_add_co_u32_e32 v6, vcc, 4, v6
	v_addc_co_u32_e32 v7, vcc, 0, v7, vcc
	v_cmp_ge_i64_e32 vcc, v[6:7], v[4:5]
	s_or_b64 s[26:27], vcc, s[26:27]
	s_andn2_b64 exec, exec, s[26:27]
	s_cbranch_execnz .LBB83_11
	s_branch .LBB83_8
.LBB83_16:
	s_or_b64 exec, exec, s[6:7]
	s_mov_b64 s[6:7], 0
.LBB83_17:
	s_andn2_b64 vcc, exec, s[6:7]
	s_cbranch_vccnz .LBB83_29
; %bb.18:
	s_and_b64 exec, exec, s[0:1]
	s_cbranch_execz .LBB83_29
; %bb.19:
	v_subrev_co_u32_e32 v12, vcc, s20, v1
	s_mov_b32 s6, 0
	v_subb_co_u32_e64 v13, s[0:1], 0, 0, vcc
	s_mov_b64 s[0:1], 0
	v_mov_b32_e32 v16, s3
	v_mov_b32_e32 v17, s9
	;; [unrolled: 1-line block ×3, first 2 shown]
	s_branch .LBB83_21
.LBB83_20:                              ;   in Loop: Header=BB83_21 Depth=1
	s_or_b64 exec, exec, s[6:7]
	v_add_u32_e32 v0, s16, v0
	v_cmp_le_i32_e32 vcc, s17, v0
	s_or_b64 s[0:1], vcc, s[0:1]
	s_andn2_b64 exec, exec, s[0:1]
	s_cbranch_execz .LBB83_29
.LBB83_21:                              ; =>This Loop Header: Depth=1
                                        ;     Child Loop BB83_24 Depth 2
                                        ;       Child Loop BB83_26 Depth 3
                                        ;       Child Loop BB83_28 Depth 3
	v_ashrrev_i32_e32 v1, 31, v0
	v_lshlrev_b64 v[6:7], 3, v[0:1]
	v_add_co_u32_e32 v2, vcc, s8, v6
	v_addc_co_u32_e32 v3, vcc, v17, v7, vcc
	global_load_dwordx2 v[2:3], v[2:3], off
	v_add_co_u32_e32 v4, vcc, s2, v6
	v_addc_co_u32_e32 v5, vcc, v16, v7, vcc
	global_load_dwordx2 v[4:5], v[4:5], off
	s_waitcnt vmcnt(1)
	v_subrev_co_u32_e32 v2, vcc, s20, v2
	v_subb_co_u32_e32 v3, vcc, v3, v18, vcc
	s_waitcnt vmcnt(0)
	v_add_co_u32_e32 v4, vcc, v4, v12
	v_addc_co_u32_e32 v5, vcc, v5, v13, vcc
	v_cmp_lt_i64_e32 vcc, v[4:5], v[2:3]
	s_and_saveexec_b64 s[6:7], vcc
	s_cbranch_execz .LBB83_20
; %bb.22:                               ;   in Loop: Header=BB83_21 Depth=1
	v_mov_b32_e32 v1, s15
	v_add_co_u32_e32 v6, vcc, s14, v6
	v_addc_co_u32_e32 v7, vcc, v1, v7, vcc
	global_load_dwordx2 v[6:7], v[6:7], off
	s_mov_b64 s[22:23], 0
	s_waitcnt vmcnt(0)
	v_mul_f32_e64 v1, v7, -v15
	v_mul_f32_e32 v19, v14, v7
	v_fmac_f32_e32 v1, v14, v6
	v_fmac_f32_e32 v19, v15, v6
	s_branch .LBB83_24
.LBB83_23:                              ;   in Loop: Header=BB83_24 Depth=2
	s_or_b64 exec, exec, s[24:25]
	v_add_co_u32_e32 v4, vcc, 4, v4
	v_addc_co_u32_e32 v5, vcc, 0, v5, vcc
	v_cmp_ge_i64_e32 vcc, v[4:5], v[2:3]
	s_or_b64 s[22:23], vcc, s[22:23]
	s_andn2_b64 exec, exec, s[22:23]
	s_cbranch_execz .LBB83_20
.LBB83_24:                              ;   Parent Loop BB83_21 Depth=1
                                        ; =>  This Loop Header: Depth=2
                                        ;       Child Loop BB83_26 Depth 3
                                        ;       Child Loop BB83_28 Depth 3
	v_lshlrev_b64 v[6:7], 2, v[4:5]
	v_mov_b32_e32 v8, s11
	v_add_co_u32_e32 v6, vcc, s10, v6
	v_addc_co_u32_e32 v7, vcc, v8, v7, vcc
	global_load_dword v6, v[6:7], off
	s_waitcnt vmcnt(0)
	v_subrev_u32_e32 v6, s20, v6
	v_cmp_ne_u32_e32 vcc, v6, v0
	s_and_saveexec_b64 s[24:25], vcc
	s_cbranch_execz .LBB83_23
; %bb.25:                               ;   in Loop: Header=BB83_24 Depth=2
	v_lshlrev_b64 v[8:9], 3, v[4:5]
	v_mov_b32_e32 v7, s13
	v_add_co_u32_e32 v8, vcc, s12, v8
	v_addc_co_u32_e32 v9, vcc, v7, v9, vcc
	v_ashrrev_i32_e32 v7, 31, v6
	global_load_dwordx2 v[8:9], v[8:9], off
	v_lshlrev_b64 v[6:7], 3, v[6:7]
	v_mov_b32_e32 v10, s19
	v_add_co_u32_e32 v6, vcc, s18, v6
	v_addc_co_u32_e32 v7, vcc, v10, v7, vcc
	global_load_dword v11, v[6:7], off
	s_mov_b64 s[26:27], 0
	s_waitcnt vmcnt(1)
	v_cndmask_b32_e64 v20, v9, -v9, s[4:5]
	v_mul_f32_e64 v9, v20, -v19
	v_fmac_f32_e32 v9, v1, v8
.LBB83_26:                              ;   Parent Loop BB83_21 Depth=1
                                        ;     Parent Loop BB83_24 Depth=2
                                        ; =>    This Inner Loop Header: Depth=3
	s_waitcnt vmcnt(0)
	v_add_f32_e32 v10, v11, v9
	global_atomic_cmpswap v10, v[6:7], v[10:11], off glc
	s_waitcnt vmcnt(0)
	v_cmp_eq_u32_e32 vcc, v10, v11
	s_or_b64 s[26:27], vcc, s[26:27]
	v_mov_b32_e32 v11, v10
	s_andn2_b64 exec, exec, s[26:27]
	s_cbranch_execnz .LBB83_26
; %bb.27:                               ;   in Loop: Header=BB83_24 Depth=2
	s_or_b64 exec, exec, s[26:27]
	global_load_dword v9, v[6:7], off offset:4
	v_mul_f32_e32 v10, v1, v20
	v_fmac_f32_e32 v10, v19, v8
	s_mov_b64 s[26:27], 0
.LBB83_28:                              ;   Parent Loop BB83_21 Depth=1
                                        ;     Parent Loop BB83_24 Depth=2
                                        ; =>    This Inner Loop Header: Depth=3
	s_waitcnt vmcnt(0)
	v_add_f32_e32 v8, v9, v10
	global_atomic_cmpswap v8, v[6:7], v[8:9], off offset:4 glc
	s_waitcnt vmcnt(0)
	v_cmp_eq_u32_e32 vcc, v8, v9
	s_or_b64 s[26:27], vcc, s[26:27]
	v_mov_b32_e32 v9, v8
	s_andn2_b64 exec, exec, s[26:27]
	s_cbranch_execnz .LBB83_28
	s_branch .LBB83_23
.LBB83_29:
	s_endpgm
	.section	.rodata,"a",@progbits
	.p2align	6, 0x0
	.amdhsa_kernel _ZN9rocsparseL21csrmvt_general_kernelILj256ELj4Eli21rocsparse_complex_numIfES2_S2_S2_EEvbbT2_NS_24const_host_device_scalarIT6_EEPKT1_S9_PKS3_PKT3_PKT4_PT5_21rocsparse_index_base_b
		.amdhsa_group_segment_fixed_size 0
		.amdhsa_private_segment_fixed_size 0
		.amdhsa_kernarg_size 328
		.amdhsa_user_sgpr_count 6
		.amdhsa_user_sgpr_private_segment_buffer 1
		.amdhsa_user_sgpr_dispatch_ptr 0
		.amdhsa_user_sgpr_queue_ptr 0
		.amdhsa_user_sgpr_kernarg_segment_ptr 1
		.amdhsa_user_sgpr_dispatch_id 0
		.amdhsa_user_sgpr_flat_scratch_init 0
		.amdhsa_user_sgpr_kernarg_preload_length 0
		.amdhsa_user_sgpr_kernarg_preload_offset 0
		.amdhsa_user_sgpr_private_segment_size 0
		.amdhsa_uses_dynamic_stack 0
		.amdhsa_system_sgpr_private_segment_wavefront_offset 0
		.amdhsa_system_sgpr_workgroup_id_x 1
		.amdhsa_system_sgpr_workgroup_id_y 0
		.amdhsa_system_sgpr_workgroup_id_z 0
		.amdhsa_system_sgpr_workgroup_info 0
		.amdhsa_system_vgpr_workitem_id 0
		.amdhsa_next_free_vgpr 23
		.amdhsa_next_free_sgpr 30
		.amdhsa_accum_offset 24
		.amdhsa_reserve_vcc 1
		.amdhsa_reserve_flat_scratch 0
		.amdhsa_float_round_mode_32 0
		.amdhsa_float_round_mode_16_64 0
		.amdhsa_float_denorm_mode_32 3
		.amdhsa_float_denorm_mode_16_64 3
		.amdhsa_dx10_clamp 1
		.amdhsa_ieee_mode 1
		.amdhsa_fp16_overflow 0
		.amdhsa_tg_split 0
		.amdhsa_exception_fp_ieee_invalid_op 0
		.amdhsa_exception_fp_denorm_src 0
		.amdhsa_exception_fp_ieee_div_zero 0
		.amdhsa_exception_fp_ieee_overflow 0
		.amdhsa_exception_fp_ieee_underflow 0
		.amdhsa_exception_fp_ieee_inexact 0
		.amdhsa_exception_int_div_zero 0
	.end_amdhsa_kernel
	.section	.text._ZN9rocsparseL21csrmvt_general_kernelILj256ELj4Eli21rocsparse_complex_numIfES2_S2_S2_EEvbbT2_NS_24const_host_device_scalarIT6_EEPKT1_S9_PKS3_PKT3_PKT4_PT5_21rocsparse_index_base_b,"axG",@progbits,_ZN9rocsparseL21csrmvt_general_kernelILj256ELj4Eli21rocsparse_complex_numIfES2_S2_S2_EEvbbT2_NS_24const_host_device_scalarIT6_EEPKT1_S9_PKS3_PKT3_PKT4_PT5_21rocsparse_index_base_b,comdat
.Lfunc_end83:
	.size	_ZN9rocsparseL21csrmvt_general_kernelILj256ELj4Eli21rocsparse_complex_numIfES2_S2_S2_EEvbbT2_NS_24const_host_device_scalarIT6_EEPKT1_S9_PKS3_PKT3_PKT4_PT5_21rocsparse_index_base_b, .Lfunc_end83-_ZN9rocsparseL21csrmvt_general_kernelILj256ELj4Eli21rocsparse_complex_numIfES2_S2_S2_EEvbbT2_NS_24const_host_device_scalarIT6_EEPKT1_S9_PKS3_PKT3_PKT4_PT5_21rocsparse_index_base_b
                                        ; -- End function
	.section	.AMDGPU.csdata,"",@progbits
; Kernel info:
; codeLenInByte = 1164
; NumSgprs: 34
; NumVgprs: 23
; NumAgprs: 0
; TotalNumVgprs: 23
; ScratchSize: 0
; MemoryBound: 0
; FloatMode: 240
; IeeeMode: 1
; LDSByteSize: 0 bytes/workgroup (compile time only)
; SGPRBlocks: 4
; VGPRBlocks: 2
; NumSGPRsForWavesPerEU: 34
; NumVGPRsForWavesPerEU: 23
; AccumOffset: 24
; Occupancy: 8
; WaveLimiterHint : 1
; COMPUTE_PGM_RSRC2:SCRATCH_EN: 0
; COMPUTE_PGM_RSRC2:USER_SGPR: 6
; COMPUTE_PGM_RSRC2:TRAP_HANDLER: 0
; COMPUTE_PGM_RSRC2:TGID_X_EN: 1
; COMPUTE_PGM_RSRC2:TGID_Y_EN: 0
; COMPUTE_PGM_RSRC2:TGID_Z_EN: 0
; COMPUTE_PGM_RSRC2:TIDIG_COMP_CNT: 0
; COMPUTE_PGM_RSRC3_GFX90A:ACCUM_OFFSET: 5
; COMPUTE_PGM_RSRC3_GFX90A:TG_SPLIT: 0
	.section	.text._ZN9rocsparseL21csrmvt_general_kernelILj256ELj8Eli21rocsparse_complex_numIfES2_S2_S2_EEvbbT2_NS_24const_host_device_scalarIT6_EEPKT1_S9_PKS3_PKT3_PKT4_PT5_21rocsparse_index_base_b,"axG",@progbits,_ZN9rocsparseL21csrmvt_general_kernelILj256ELj8Eli21rocsparse_complex_numIfES2_S2_S2_EEvbbT2_NS_24const_host_device_scalarIT6_EEPKT1_S9_PKS3_PKT3_PKT4_PT5_21rocsparse_index_base_b,comdat
	.globl	_ZN9rocsparseL21csrmvt_general_kernelILj256ELj8Eli21rocsparse_complex_numIfES2_S2_S2_EEvbbT2_NS_24const_host_device_scalarIT6_EEPKT1_S9_PKS3_PKT3_PKT4_PT5_21rocsparse_index_base_b ; -- Begin function _ZN9rocsparseL21csrmvt_general_kernelILj256ELj8Eli21rocsparse_complex_numIfES2_S2_S2_EEvbbT2_NS_24const_host_device_scalarIT6_EEPKT1_S9_PKS3_PKT3_PKT4_PT5_21rocsparse_index_base_b
	.p2align	8
	.type	_ZN9rocsparseL21csrmvt_general_kernelILj256ELj8Eli21rocsparse_complex_numIfES2_S2_S2_EEvbbT2_NS_24const_host_device_scalarIT6_EEPKT1_S9_PKS3_PKT3_PKT4_PT5_21rocsparse_index_base_b,@function
_ZN9rocsparseL21csrmvt_general_kernelILj256ELj8Eli21rocsparse_complex_numIfES2_S2_S2_EEvbbT2_NS_24const_host_device_scalarIT6_EEPKT1_S9_PKS3_PKT3_PKT4_PT5_21rocsparse_index_base_b: ; @_ZN9rocsparseL21csrmvt_general_kernelILj256ELj8Eli21rocsparse_complex_numIfES2_S2_S2_EEvbbT2_NS_24const_host_device_scalarIT6_EEPKT1_S9_PKS3_PKT3_PKT4_PT5_21rocsparse_index_base_b
; %bb.0:
	s_load_dwordx2 s[20:21], s[4:5], 0x40
	s_load_dwordx4 s[16:19], s[4:5], 0x0
	s_load_dwordx4 s[0:3], s[4:5], 0x8
	s_waitcnt lgkmcnt(0)
	s_bitcmp1_b32 s21, 0
	s_cselect_b64 s[10:11], -1, 0
	s_xor_b64 s[8:9], s[10:11], -1
	s_and_b64 vcc, exec, s[10:11]
	v_mov_b32_e32 v14, s18
	s_cbranch_vccnz .LBB84_2
; %bb.1:
	v_pk_mov_b32 v[2:3], s[0:1], s[0:1] op_sel:[0,1]
	flat_load_dword v14, v[2:3]
.LBB84_2:
	s_andn2_b64 vcc, exec, s[8:9]
	v_mov_b32_e32 v15, s19
	s_cbranch_vccnz .LBB84_4
; %bb.3:
	v_pk_mov_b32 v[2:3], s[0:1], s[0:1] op_sel:[0,1]
	flat_load_dword v15, v[2:3] offset:4
.LBB84_4:
	s_waitcnt vmcnt(0) lgkmcnt(0)
	v_cmp_neq_f32_e32 vcc, 0, v14
	v_cmp_neq_f32_e64 s[0:1], 0, v15
	s_or_b64 s[0:1], vcc, s[0:1]
	s_and_saveexec_b64 s[8:9], s[0:1]
	s_cbranch_execz .LBB84_29
; %bb.5:
	s_load_dword s0, s[4:5], 0x0
	s_load_dwordx2 s[18:19], s[4:5], 0x38
	s_load_dword s1, s[4:5], 0x48
	s_load_dwordx8 s[8:15], s[4:5], 0x18
	v_and_b32_e32 v1, 7, v0
	s_waitcnt lgkmcnt(0)
	s_and_b32 s0, s0, 1
	s_bitcmp1_b32 s16, 8
	v_lshl_or_b32 v0, s6, 8, v0
	s_cselect_b64 s[4:5], -1, 0
	s_lshl_b32 s16, s1, 5
	v_lshrrev_b32_e32 v0, 3, v0
	s_cmp_eq_u32 s0, 0
	v_cmp_gt_i32_e64 s[0:1], s17, v0
	s_mov_b64 s[6:7], -1
	s_cbranch_scc0 .LBB84_17
; %bb.6:
	s_and_saveexec_b64 s[6:7], s[0:1]
	s_cbranch_execz .LBB84_16
; %bb.7:
	v_subrev_co_u32_e32 v16, vcc, s20, v1
	s_mov_b32 s21, 0
	v_subb_co_u32_e64 v17, s[22:23], 0, 0, vcc
	s_mov_b64 s[22:23], 0
	v_mov_b32_e32 v18, s3
	v_mov_b32_e32 v19, s9
	;; [unrolled: 1-line block ×4, first 2 shown]
	s_branch .LBB84_9
.LBB84_8:                               ;   in Loop: Header=BB84_9 Depth=1
	s_or_b64 exec, exec, s[24:25]
	v_add_u32_e32 v2, s16, v2
	v_cmp_le_i32_e32 vcc, s17, v2
	s_or_b64 s[22:23], vcc, s[22:23]
	s_andn2_b64 exec, exec, s[22:23]
	s_cbranch_execz .LBB84_16
.LBB84_9:                               ; =>This Loop Header: Depth=1
                                        ;     Child Loop BB84_11 Depth 2
                                        ;       Child Loop BB84_12 Depth 3
                                        ;       Child Loop BB84_14 Depth 3
	v_ashrrev_i32_e32 v3, 31, v2
	v_lshlrev_b64 v[8:9], 3, v[2:3]
	v_add_co_u32_e32 v4, vcc, s8, v8
	v_addc_co_u32_e32 v5, vcc, v19, v9, vcc
	global_load_dwordx2 v[4:5], v[4:5], off
	v_add_co_u32_e32 v6, vcc, s2, v8
	v_addc_co_u32_e32 v7, vcc, v18, v9, vcc
	global_load_dwordx2 v[6:7], v[6:7], off
	s_waitcnt vmcnt(1)
	v_subrev_co_u32_e32 v4, vcc, s20, v4
	v_subb_co_u32_e32 v5, vcc, v5, v20, vcc
	s_waitcnt vmcnt(0)
	v_add_co_u32_e32 v6, vcc, v6, v16
	v_addc_co_u32_e32 v7, vcc, v7, v17, vcc
	v_cmp_lt_i64_e32 vcc, v[6:7], v[4:5]
	s_and_saveexec_b64 s[24:25], vcc
	s_cbranch_execz .LBB84_8
; %bb.10:                               ;   in Loop: Header=BB84_9 Depth=1
	v_mov_b32_e32 v3, s15
	v_add_co_u32_e32 v8, vcc, s14, v8
	v_addc_co_u32_e32 v9, vcc, v3, v9, vcc
	global_load_dwordx2 v[8:9], v[8:9], off
	s_mov_b64 s[26:27], 0
	s_waitcnt vmcnt(0)
	v_mul_f32_e64 v3, v9, -v15
	v_mul_f32_e32 v21, v14, v9
	v_fmac_f32_e32 v3, v14, v8
	v_fmac_f32_e32 v21, v15, v8
.LBB84_11:                              ;   Parent Loop BB84_9 Depth=1
                                        ; =>  This Loop Header: Depth=2
                                        ;       Child Loop BB84_12 Depth 3
                                        ;       Child Loop BB84_14 Depth 3
	v_lshlrev_b64 v[8:9], 2, v[6:7]
	v_mov_b32_e32 v10, s11
	v_add_co_u32_e32 v8, vcc, s10, v8
	v_addc_co_u32_e32 v9, vcc, v10, v9, vcc
	global_load_dword v12, v[8:9], off
	v_lshlrev_b64 v[8:9], 3, v[6:7]
	v_mov_b32_e32 v10, s13
	v_add_co_u32_e32 v8, vcc, s12, v8
	v_addc_co_u32_e32 v9, vcc, v10, v9, vcc
	global_load_dwordx2 v[10:11], v[8:9], off
	v_mov_b32_e32 v13, s19
	s_mov_b64 s[28:29], 0
	s_waitcnt vmcnt(1)
	v_subrev_u32_e32 v8, s20, v12
	v_ashrrev_i32_e32 v9, 31, v8
	v_lshlrev_b64 v[8:9], 3, v[8:9]
	v_add_co_u32_e32 v8, vcc, s18, v8
	v_addc_co_u32_e32 v9, vcc, v13, v9, vcc
	global_load_dword v13, v[8:9], off
	s_waitcnt vmcnt(1)
	v_cndmask_b32_e64 v22, v11, -v11, s[4:5]
	v_mul_f32_e64 v11, v22, -v21
	v_fmac_f32_e32 v11, v3, v10
.LBB84_12:                              ;   Parent Loop BB84_9 Depth=1
                                        ;     Parent Loop BB84_11 Depth=2
                                        ; =>    This Inner Loop Header: Depth=3
	s_waitcnt vmcnt(0)
	v_add_f32_e32 v12, v13, v11
	global_atomic_cmpswap v12, v[8:9], v[12:13], off glc
	s_waitcnt vmcnt(0)
	v_cmp_eq_u32_e32 vcc, v12, v13
	s_or_b64 s[28:29], vcc, s[28:29]
	v_mov_b32_e32 v13, v12
	s_andn2_b64 exec, exec, s[28:29]
	s_cbranch_execnz .LBB84_12
; %bb.13:                               ;   in Loop: Header=BB84_11 Depth=2
	s_or_b64 exec, exec, s[28:29]
	global_load_dword v11, v[8:9], off offset:4
	v_mul_f32_e32 v12, v3, v22
	v_fmac_f32_e32 v12, v21, v10
	s_mov_b64 s[28:29], 0
.LBB84_14:                              ;   Parent Loop BB84_9 Depth=1
                                        ;     Parent Loop BB84_11 Depth=2
                                        ; =>    This Inner Loop Header: Depth=3
	s_waitcnt vmcnt(0)
	v_add_f32_e32 v10, v11, v12
	global_atomic_cmpswap v10, v[8:9], v[10:11], off offset:4 glc
	s_waitcnt vmcnt(0)
	v_cmp_eq_u32_e32 vcc, v10, v11
	s_or_b64 s[28:29], vcc, s[28:29]
	v_mov_b32_e32 v11, v10
	s_andn2_b64 exec, exec, s[28:29]
	s_cbranch_execnz .LBB84_14
; %bb.15:                               ;   in Loop: Header=BB84_11 Depth=2
	s_or_b64 exec, exec, s[28:29]
	v_add_co_u32_e32 v6, vcc, 8, v6
	v_addc_co_u32_e32 v7, vcc, 0, v7, vcc
	v_cmp_ge_i64_e32 vcc, v[6:7], v[4:5]
	s_or_b64 s[26:27], vcc, s[26:27]
	s_andn2_b64 exec, exec, s[26:27]
	s_cbranch_execnz .LBB84_11
	s_branch .LBB84_8
.LBB84_16:
	s_or_b64 exec, exec, s[6:7]
	s_mov_b64 s[6:7], 0
.LBB84_17:
	s_andn2_b64 vcc, exec, s[6:7]
	s_cbranch_vccnz .LBB84_29
; %bb.18:
	s_and_b64 exec, exec, s[0:1]
	s_cbranch_execz .LBB84_29
; %bb.19:
	v_subrev_co_u32_e32 v12, vcc, s20, v1
	s_mov_b32 s6, 0
	v_subb_co_u32_e64 v13, s[0:1], 0, 0, vcc
	s_mov_b64 s[0:1], 0
	v_mov_b32_e32 v16, s3
	v_mov_b32_e32 v17, s9
	;; [unrolled: 1-line block ×3, first 2 shown]
	s_branch .LBB84_21
.LBB84_20:                              ;   in Loop: Header=BB84_21 Depth=1
	s_or_b64 exec, exec, s[6:7]
	v_add_u32_e32 v0, s16, v0
	v_cmp_le_i32_e32 vcc, s17, v0
	s_or_b64 s[0:1], vcc, s[0:1]
	s_andn2_b64 exec, exec, s[0:1]
	s_cbranch_execz .LBB84_29
.LBB84_21:                              ; =>This Loop Header: Depth=1
                                        ;     Child Loop BB84_24 Depth 2
                                        ;       Child Loop BB84_26 Depth 3
                                        ;       Child Loop BB84_28 Depth 3
	v_ashrrev_i32_e32 v1, 31, v0
	v_lshlrev_b64 v[6:7], 3, v[0:1]
	v_add_co_u32_e32 v2, vcc, s8, v6
	v_addc_co_u32_e32 v3, vcc, v17, v7, vcc
	global_load_dwordx2 v[2:3], v[2:3], off
	v_add_co_u32_e32 v4, vcc, s2, v6
	v_addc_co_u32_e32 v5, vcc, v16, v7, vcc
	global_load_dwordx2 v[4:5], v[4:5], off
	s_waitcnt vmcnt(1)
	v_subrev_co_u32_e32 v2, vcc, s20, v2
	v_subb_co_u32_e32 v3, vcc, v3, v18, vcc
	s_waitcnt vmcnt(0)
	v_add_co_u32_e32 v4, vcc, v4, v12
	v_addc_co_u32_e32 v5, vcc, v5, v13, vcc
	v_cmp_lt_i64_e32 vcc, v[4:5], v[2:3]
	s_and_saveexec_b64 s[6:7], vcc
	s_cbranch_execz .LBB84_20
; %bb.22:                               ;   in Loop: Header=BB84_21 Depth=1
	v_mov_b32_e32 v1, s15
	v_add_co_u32_e32 v6, vcc, s14, v6
	v_addc_co_u32_e32 v7, vcc, v1, v7, vcc
	global_load_dwordx2 v[6:7], v[6:7], off
	s_mov_b64 s[22:23], 0
	s_waitcnt vmcnt(0)
	v_mul_f32_e64 v1, v7, -v15
	v_mul_f32_e32 v19, v14, v7
	v_fmac_f32_e32 v1, v14, v6
	v_fmac_f32_e32 v19, v15, v6
	s_branch .LBB84_24
.LBB84_23:                              ;   in Loop: Header=BB84_24 Depth=2
	s_or_b64 exec, exec, s[24:25]
	v_add_co_u32_e32 v4, vcc, 8, v4
	v_addc_co_u32_e32 v5, vcc, 0, v5, vcc
	v_cmp_ge_i64_e32 vcc, v[4:5], v[2:3]
	s_or_b64 s[22:23], vcc, s[22:23]
	s_andn2_b64 exec, exec, s[22:23]
	s_cbranch_execz .LBB84_20
.LBB84_24:                              ;   Parent Loop BB84_21 Depth=1
                                        ; =>  This Loop Header: Depth=2
                                        ;       Child Loop BB84_26 Depth 3
                                        ;       Child Loop BB84_28 Depth 3
	v_lshlrev_b64 v[6:7], 2, v[4:5]
	v_mov_b32_e32 v8, s11
	v_add_co_u32_e32 v6, vcc, s10, v6
	v_addc_co_u32_e32 v7, vcc, v8, v7, vcc
	global_load_dword v6, v[6:7], off
	s_waitcnt vmcnt(0)
	v_subrev_u32_e32 v6, s20, v6
	v_cmp_ne_u32_e32 vcc, v6, v0
	s_and_saveexec_b64 s[24:25], vcc
	s_cbranch_execz .LBB84_23
; %bb.25:                               ;   in Loop: Header=BB84_24 Depth=2
	v_lshlrev_b64 v[8:9], 3, v[4:5]
	v_mov_b32_e32 v7, s13
	v_add_co_u32_e32 v8, vcc, s12, v8
	v_addc_co_u32_e32 v9, vcc, v7, v9, vcc
	v_ashrrev_i32_e32 v7, 31, v6
	global_load_dwordx2 v[8:9], v[8:9], off
	v_lshlrev_b64 v[6:7], 3, v[6:7]
	v_mov_b32_e32 v10, s19
	v_add_co_u32_e32 v6, vcc, s18, v6
	v_addc_co_u32_e32 v7, vcc, v10, v7, vcc
	global_load_dword v11, v[6:7], off
	s_mov_b64 s[26:27], 0
	s_waitcnt vmcnt(1)
	v_cndmask_b32_e64 v20, v9, -v9, s[4:5]
	v_mul_f32_e64 v9, v20, -v19
	v_fmac_f32_e32 v9, v1, v8
.LBB84_26:                              ;   Parent Loop BB84_21 Depth=1
                                        ;     Parent Loop BB84_24 Depth=2
                                        ; =>    This Inner Loop Header: Depth=3
	s_waitcnt vmcnt(0)
	v_add_f32_e32 v10, v11, v9
	global_atomic_cmpswap v10, v[6:7], v[10:11], off glc
	s_waitcnt vmcnt(0)
	v_cmp_eq_u32_e32 vcc, v10, v11
	s_or_b64 s[26:27], vcc, s[26:27]
	v_mov_b32_e32 v11, v10
	s_andn2_b64 exec, exec, s[26:27]
	s_cbranch_execnz .LBB84_26
; %bb.27:                               ;   in Loop: Header=BB84_24 Depth=2
	s_or_b64 exec, exec, s[26:27]
	global_load_dword v9, v[6:7], off offset:4
	v_mul_f32_e32 v10, v1, v20
	v_fmac_f32_e32 v10, v19, v8
	s_mov_b64 s[26:27], 0
.LBB84_28:                              ;   Parent Loop BB84_21 Depth=1
                                        ;     Parent Loop BB84_24 Depth=2
                                        ; =>    This Inner Loop Header: Depth=3
	s_waitcnt vmcnt(0)
	v_add_f32_e32 v8, v9, v10
	global_atomic_cmpswap v8, v[6:7], v[8:9], off offset:4 glc
	s_waitcnt vmcnt(0)
	v_cmp_eq_u32_e32 vcc, v8, v9
	s_or_b64 s[26:27], vcc, s[26:27]
	v_mov_b32_e32 v9, v8
	s_andn2_b64 exec, exec, s[26:27]
	s_cbranch_execnz .LBB84_28
	s_branch .LBB84_23
.LBB84_29:
	s_endpgm
	.section	.rodata,"a",@progbits
	.p2align	6, 0x0
	.amdhsa_kernel _ZN9rocsparseL21csrmvt_general_kernelILj256ELj8Eli21rocsparse_complex_numIfES2_S2_S2_EEvbbT2_NS_24const_host_device_scalarIT6_EEPKT1_S9_PKS3_PKT3_PKT4_PT5_21rocsparse_index_base_b
		.amdhsa_group_segment_fixed_size 0
		.amdhsa_private_segment_fixed_size 0
		.amdhsa_kernarg_size 328
		.amdhsa_user_sgpr_count 6
		.amdhsa_user_sgpr_private_segment_buffer 1
		.amdhsa_user_sgpr_dispatch_ptr 0
		.amdhsa_user_sgpr_queue_ptr 0
		.amdhsa_user_sgpr_kernarg_segment_ptr 1
		.amdhsa_user_sgpr_dispatch_id 0
		.amdhsa_user_sgpr_flat_scratch_init 0
		.amdhsa_user_sgpr_kernarg_preload_length 0
		.amdhsa_user_sgpr_kernarg_preload_offset 0
		.amdhsa_user_sgpr_private_segment_size 0
		.amdhsa_uses_dynamic_stack 0
		.amdhsa_system_sgpr_private_segment_wavefront_offset 0
		.amdhsa_system_sgpr_workgroup_id_x 1
		.amdhsa_system_sgpr_workgroup_id_y 0
		.amdhsa_system_sgpr_workgroup_id_z 0
		.amdhsa_system_sgpr_workgroup_info 0
		.amdhsa_system_vgpr_workitem_id 0
		.amdhsa_next_free_vgpr 23
		.amdhsa_next_free_sgpr 30
		.amdhsa_accum_offset 24
		.amdhsa_reserve_vcc 1
		.amdhsa_reserve_flat_scratch 0
		.amdhsa_float_round_mode_32 0
		.amdhsa_float_round_mode_16_64 0
		.amdhsa_float_denorm_mode_32 3
		.amdhsa_float_denorm_mode_16_64 3
		.amdhsa_dx10_clamp 1
		.amdhsa_ieee_mode 1
		.amdhsa_fp16_overflow 0
		.amdhsa_tg_split 0
		.amdhsa_exception_fp_ieee_invalid_op 0
		.amdhsa_exception_fp_denorm_src 0
		.amdhsa_exception_fp_ieee_div_zero 0
		.amdhsa_exception_fp_ieee_overflow 0
		.amdhsa_exception_fp_ieee_underflow 0
		.amdhsa_exception_fp_ieee_inexact 0
		.amdhsa_exception_int_div_zero 0
	.end_amdhsa_kernel
	.section	.text._ZN9rocsparseL21csrmvt_general_kernelILj256ELj8Eli21rocsparse_complex_numIfES2_S2_S2_EEvbbT2_NS_24const_host_device_scalarIT6_EEPKT1_S9_PKS3_PKT3_PKT4_PT5_21rocsparse_index_base_b,"axG",@progbits,_ZN9rocsparseL21csrmvt_general_kernelILj256ELj8Eli21rocsparse_complex_numIfES2_S2_S2_EEvbbT2_NS_24const_host_device_scalarIT6_EEPKT1_S9_PKS3_PKT3_PKT4_PT5_21rocsparse_index_base_b,comdat
.Lfunc_end84:
	.size	_ZN9rocsparseL21csrmvt_general_kernelILj256ELj8Eli21rocsparse_complex_numIfES2_S2_S2_EEvbbT2_NS_24const_host_device_scalarIT6_EEPKT1_S9_PKS3_PKT3_PKT4_PT5_21rocsparse_index_base_b, .Lfunc_end84-_ZN9rocsparseL21csrmvt_general_kernelILj256ELj8Eli21rocsparse_complex_numIfES2_S2_S2_EEvbbT2_NS_24const_host_device_scalarIT6_EEPKT1_S9_PKS3_PKT3_PKT4_PT5_21rocsparse_index_base_b
                                        ; -- End function
	.section	.AMDGPU.csdata,"",@progbits
; Kernel info:
; codeLenInByte = 1164
; NumSgprs: 34
; NumVgprs: 23
; NumAgprs: 0
; TotalNumVgprs: 23
; ScratchSize: 0
; MemoryBound: 0
; FloatMode: 240
; IeeeMode: 1
; LDSByteSize: 0 bytes/workgroup (compile time only)
; SGPRBlocks: 4
; VGPRBlocks: 2
; NumSGPRsForWavesPerEU: 34
; NumVGPRsForWavesPerEU: 23
; AccumOffset: 24
; Occupancy: 8
; WaveLimiterHint : 1
; COMPUTE_PGM_RSRC2:SCRATCH_EN: 0
; COMPUTE_PGM_RSRC2:USER_SGPR: 6
; COMPUTE_PGM_RSRC2:TRAP_HANDLER: 0
; COMPUTE_PGM_RSRC2:TGID_X_EN: 1
; COMPUTE_PGM_RSRC2:TGID_Y_EN: 0
; COMPUTE_PGM_RSRC2:TGID_Z_EN: 0
; COMPUTE_PGM_RSRC2:TIDIG_COMP_CNT: 0
; COMPUTE_PGM_RSRC3_GFX90A:ACCUM_OFFSET: 5
; COMPUTE_PGM_RSRC3_GFX90A:TG_SPLIT: 0
	.section	.text._ZN9rocsparseL21csrmvt_general_kernelILj256ELj16Eli21rocsparse_complex_numIfES2_S2_S2_EEvbbT2_NS_24const_host_device_scalarIT6_EEPKT1_S9_PKS3_PKT3_PKT4_PT5_21rocsparse_index_base_b,"axG",@progbits,_ZN9rocsparseL21csrmvt_general_kernelILj256ELj16Eli21rocsparse_complex_numIfES2_S2_S2_EEvbbT2_NS_24const_host_device_scalarIT6_EEPKT1_S9_PKS3_PKT3_PKT4_PT5_21rocsparse_index_base_b,comdat
	.globl	_ZN9rocsparseL21csrmvt_general_kernelILj256ELj16Eli21rocsparse_complex_numIfES2_S2_S2_EEvbbT2_NS_24const_host_device_scalarIT6_EEPKT1_S9_PKS3_PKT3_PKT4_PT5_21rocsparse_index_base_b ; -- Begin function _ZN9rocsparseL21csrmvt_general_kernelILj256ELj16Eli21rocsparse_complex_numIfES2_S2_S2_EEvbbT2_NS_24const_host_device_scalarIT6_EEPKT1_S9_PKS3_PKT3_PKT4_PT5_21rocsparse_index_base_b
	.p2align	8
	.type	_ZN9rocsparseL21csrmvt_general_kernelILj256ELj16Eli21rocsparse_complex_numIfES2_S2_S2_EEvbbT2_NS_24const_host_device_scalarIT6_EEPKT1_S9_PKS3_PKT3_PKT4_PT5_21rocsparse_index_base_b,@function
_ZN9rocsparseL21csrmvt_general_kernelILj256ELj16Eli21rocsparse_complex_numIfES2_S2_S2_EEvbbT2_NS_24const_host_device_scalarIT6_EEPKT1_S9_PKS3_PKT3_PKT4_PT5_21rocsparse_index_base_b: ; @_ZN9rocsparseL21csrmvt_general_kernelILj256ELj16Eli21rocsparse_complex_numIfES2_S2_S2_EEvbbT2_NS_24const_host_device_scalarIT6_EEPKT1_S9_PKS3_PKT3_PKT4_PT5_21rocsparse_index_base_b
; %bb.0:
	s_load_dwordx2 s[20:21], s[4:5], 0x40
	s_load_dwordx4 s[16:19], s[4:5], 0x0
	s_load_dwordx4 s[0:3], s[4:5], 0x8
	s_waitcnt lgkmcnt(0)
	s_bitcmp1_b32 s21, 0
	s_cselect_b64 s[10:11], -1, 0
	s_xor_b64 s[8:9], s[10:11], -1
	s_and_b64 vcc, exec, s[10:11]
	v_mov_b32_e32 v14, s18
	s_cbranch_vccnz .LBB85_2
; %bb.1:
	v_pk_mov_b32 v[2:3], s[0:1], s[0:1] op_sel:[0,1]
	flat_load_dword v14, v[2:3]
.LBB85_2:
	s_andn2_b64 vcc, exec, s[8:9]
	v_mov_b32_e32 v15, s19
	s_cbranch_vccnz .LBB85_4
; %bb.3:
	v_pk_mov_b32 v[2:3], s[0:1], s[0:1] op_sel:[0,1]
	flat_load_dword v15, v[2:3] offset:4
.LBB85_4:
	s_waitcnt vmcnt(0) lgkmcnt(0)
	v_cmp_neq_f32_e32 vcc, 0, v14
	v_cmp_neq_f32_e64 s[0:1], 0, v15
	s_or_b64 s[0:1], vcc, s[0:1]
	s_and_saveexec_b64 s[8:9], s[0:1]
	s_cbranch_execz .LBB85_29
; %bb.5:
	s_load_dword s0, s[4:5], 0x0
	s_load_dwordx2 s[18:19], s[4:5], 0x38
	s_load_dword s1, s[4:5], 0x48
	s_load_dwordx8 s[8:15], s[4:5], 0x18
	v_and_b32_e32 v1, 15, v0
	s_waitcnt lgkmcnt(0)
	s_and_b32 s0, s0, 1
	s_bitcmp1_b32 s16, 8
	v_lshl_or_b32 v0, s6, 8, v0
	s_cselect_b64 s[4:5], -1, 0
	s_lshl_b32 s16, s1, 4
	v_lshrrev_b32_e32 v0, 4, v0
	s_cmp_eq_u32 s0, 0
	v_cmp_gt_i32_e64 s[0:1], s17, v0
	s_mov_b64 s[6:7], -1
	s_cbranch_scc0 .LBB85_17
; %bb.6:
	s_and_saveexec_b64 s[6:7], s[0:1]
	s_cbranch_execz .LBB85_16
; %bb.7:
	v_subrev_co_u32_e32 v16, vcc, s20, v1
	s_mov_b32 s21, 0
	v_subb_co_u32_e64 v17, s[22:23], 0, 0, vcc
	s_mov_b64 s[22:23], 0
	v_mov_b32_e32 v18, s3
	v_mov_b32_e32 v19, s9
	;; [unrolled: 1-line block ×4, first 2 shown]
	s_branch .LBB85_9
.LBB85_8:                               ;   in Loop: Header=BB85_9 Depth=1
	s_or_b64 exec, exec, s[24:25]
	v_add_u32_e32 v2, s16, v2
	v_cmp_le_i32_e32 vcc, s17, v2
	s_or_b64 s[22:23], vcc, s[22:23]
	s_andn2_b64 exec, exec, s[22:23]
	s_cbranch_execz .LBB85_16
.LBB85_9:                               ; =>This Loop Header: Depth=1
                                        ;     Child Loop BB85_11 Depth 2
                                        ;       Child Loop BB85_12 Depth 3
                                        ;       Child Loop BB85_14 Depth 3
	v_ashrrev_i32_e32 v3, 31, v2
	v_lshlrev_b64 v[8:9], 3, v[2:3]
	v_add_co_u32_e32 v4, vcc, s8, v8
	v_addc_co_u32_e32 v5, vcc, v19, v9, vcc
	global_load_dwordx2 v[4:5], v[4:5], off
	v_add_co_u32_e32 v6, vcc, s2, v8
	v_addc_co_u32_e32 v7, vcc, v18, v9, vcc
	global_load_dwordx2 v[6:7], v[6:7], off
	s_waitcnt vmcnt(1)
	v_subrev_co_u32_e32 v4, vcc, s20, v4
	v_subb_co_u32_e32 v5, vcc, v5, v20, vcc
	s_waitcnt vmcnt(0)
	v_add_co_u32_e32 v6, vcc, v6, v16
	v_addc_co_u32_e32 v7, vcc, v7, v17, vcc
	v_cmp_lt_i64_e32 vcc, v[6:7], v[4:5]
	s_and_saveexec_b64 s[24:25], vcc
	s_cbranch_execz .LBB85_8
; %bb.10:                               ;   in Loop: Header=BB85_9 Depth=1
	v_mov_b32_e32 v3, s15
	v_add_co_u32_e32 v8, vcc, s14, v8
	v_addc_co_u32_e32 v9, vcc, v3, v9, vcc
	global_load_dwordx2 v[8:9], v[8:9], off
	s_mov_b64 s[26:27], 0
	s_waitcnt vmcnt(0)
	v_mul_f32_e64 v3, v9, -v15
	v_mul_f32_e32 v21, v14, v9
	v_fmac_f32_e32 v3, v14, v8
	v_fmac_f32_e32 v21, v15, v8
.LBB85_11:                              ;   Parent Loop BB85_9 Depth=1
                                        ; =>  This Loop Header: Depth=2
                                        ;       Child Loop BB85_12 Depth 3
                                        ;       Child Loop BB85_14 Depth 3
	v_lshlrev_b64 v[8:9], 2, v[6:7]
	v_mov_b32_e32 v10, s11
	v_add_co_u32_e32 v8, vcc, s10, v8
	v_addc_co_u32_e32 v9, vcc, v10, v9, vcc
	global_load_dword v12, v[8:9], off
	v_lshlrev_b64 v[8:9], 3, v[6:7]
	v_mov_b32_e32 v10, s13
	v_add_co_u32_e32 v8, vcc, s12, v8
	v_addc_co_u32_e32 v9, vcc, v10, v9, vcc
	global_load_dwordx2 v[10:11], v[8:9], off
	v_mov_b32_e32 v13, s19
	s_mov_b64 s[28:29], 0
	s_waitcnt vmcnt(1)
	v_subrev_u32_e32 v8, s20, v12
	v_ashrrev_i32_e32 v9, 31, v8
	v_lshlrev_b64 v[8:9], 3, v[8:9]
	v_add_co_u32_e32 v8, vcc, s18, v8
	v_addc_co_u32_e32 v9, vcc, v13, v9, vcc
	global_load_dword v13, v[8:9], off
	s_waitcnt vmcnt(1)
	v_cndmask_b32_e64 v22, v11, -v11, s[4:5]
	v_mul_f32_e64 v11, v22, -v21
	v_fmac_f32_e32 v11, v3, v10
.LBB85_12:                              ;   Parent Loop BB85_9 Depth=1
                                        ;     Parent Loop BB85_11 Depth=2
                                        ; =>    This Inner Loop Header: Depth=3
	s_waitcnt vmcnt(0)
	v_add_f32_e32 v12, v13, v11
	global_atomic_cmpswap v12, v[8:9], v[12:13], off glc
	s_waitcnt vmcnt(0)
	v_cmp_eq_u32_e32 vcc, v12, v13
	s_or_b64 s[28:29], vcc, s[28:29]
	v_mov_b32_e32 v13, v12
	s_andn2_b64 exec, exec, s[28:29]
	s_cbranch_execnz .LBB85_12
; %bb.13:                               ;   in Loop: Header=BB85_11 Depth=2
	s_or_b64 exec, exec, s[28:29]
	global_load_dword v11, v[8:9], off offset:4
	v_mul_f32_e32 v12, v3, v22
	v_fmac_f32_e32 v12, v21, v10
	s_mov_b64 s[28:29], 0
.LBB85_14:                              ;   Parent Loop BB85_9 Depth=1
                                        ;     Parent Loop BB85_11 Depth=2
                                        ; =>    This Inner Loop Header: Depth=3
	s_waitcnt vmcnt(0)
	v_add_f32_e32 v10, v11, v12
	global_atomic_cmpswap v10, v[8:9], v[10:11], off offset:4 glc
	s_waitcnt vmcnt(0)
	v_cmp_eq_u32_e32 vcc, v10, v11
	s_or_b64 s[28:29], vcc, s[28:29]
	v_mov_b32_e32 v11, v10
	s_andn2_b64 exec, exec, s[28:29]
	s_cbranch_execnz .LBB85_14
; %bb.15:                               ;   in Loop: Header=BB85_11 Depth=2
	s_or_b64 exec, exec, s[28:29]
	v_add_co_u32_e32 v6, vcc, 16, v6
	v_addc_co_u32_e32 v7, vcc, 0, v7, vcc
	v_cmp_ge_i64_e32 vcc, v[6:7], v[4:5]
	s_or_b64 s[26:27], vcc, s[26:27]
	s_andn2_b64 exec, exec, s[26:27]
	s_cbranch_execnz .LBB85_11
	s_branch .LBB85_8
.LBB85_16:
	s_or_b64 exec, exec, s[6:7]
	s_mov_b64 s[6:7], 0
.LBB85_17:
	s_andn2_b64 vcc, exec, s[6:7]
	s_cbranch_vccnz .LBB85_29
; %bb.18:
	s_and_b64 exec, exec, s[0:1]
	s_cbranch_execz .LBB85_29
; %bb.19:
	v_subrev_co_u32_e32 v12, vcc, s20, v1
	s_mov_b32 s6, 0
	v_subb_co_u32_e64 v13, s[0:1], 0, 0, vcc
	s_mov_b64 s[0:1], 0
	v_mov_b32_e32 v16, s3
	v_mov_b32_e32 v17, s9
	;; [unrolled: 1-line block ×3, first 2 shown]
	s_branch .LBB85_21
.LBB85_20:                              ;   in Loop: Header=BB85_21 Depth=1
	s_or_b64 exec, exec, s[6:7]
	v_add_u32_e32 v0, s16, v0
	v_cmp_le_i32_e32 vcc, s17, v0
	s_or_b64 s[0:1], vcc, s[0:1]
	s_andn2_b64 exec, exec, s[0:1]
	s_cbranch_execz .LBB85_29
.LBB85_21:                              ; =>This Loop Header: Depth=1
                                        ;     Child Loop BB85_24 Depth 2
                                        ;       Child Loop BB85_26 Depth 3
                                        ;       Child Loop BB85_28 Depth 3
	v_ashrrev_i32_e32 v1, 31, v0
	v_lshlrev_b64 v[6:7], 3, v[0:1]
	v_add_co_u32_e32 v2, vcc, s8, v6
	v_addc_co_u32_e32 v3, vcc, v17, v7, vcc
	global_load_dwordx2 v[2:3], v[2:3], off
	v_add_co_u32_e32 v4, vcc, s2, v6
	v_addc_co_u32_e32 v5, vcc, v16, v7, vcc
	global_load_dwordx2 v[4:5], v[4:5], off
	s_waitcnt vmcnt(1)
	v_subrev_co_u32_e32 v2, vcc, s20, v2
	v_subb_co_u32_e32 v3, vcc, v3, v18, vcc
	s_waitcnt vmcnt(0)
	v_add_co_u32_e32 v4, vcc, v4, v12
	v_addc_co_u32_e32 v5, vcc, v5, v13, vcc
	v_cmp_lt_i64_e32 vcc, v[4:5], v[2:3]
	s_and_saveexec_b64 s[6:7], vcc
	s_cbranch_execz .LBB85_20
; %bb.22:                               ;   in Loop: Header=BB85_21 Depth=1
	v_mov_b32_e32 v1, s15
	v_add_co_u32_e32 v6, vcc, s14, v6
	v_addc_co_u32_e32 v7, vcc, v1, v7, vcc
	global_load_dwordx2 v[6:7], v[6:7], off
	s_mov_b64 s[22:23], 0
	s_waitcnt vmcnt(0)
	v_mul_f32_e64 v1, v7, -v15
	v_mul_f32_e32 v19, v14, v7
	v_fmac_f32_e32 v1, v14, v6
	v_fmac_f32_e32 v19, v15, v6
	s_branch .LBB85_24
.LBB85_23:                              ;   in Loop: Header=BB85_24 Depth=2
	s_or_b64 exec, exec, s[24:25]
	v_add_co_u32_e32 v4, vcc, 16, v4
	v_addc_co_u32_e32 v5, vcc, 0, v5, vcc
	v_cmp_ge_i64_e32 vcc, v[4:5], v[2:3]
	s_or_b64 s[22:23], vcc, s[22:23]
	s_andn2_b64 exec, exec, s[22:23]
	s_cbranch_execz .LBB85_20
.LBB85_24:                              ;   Parent Loop BB85_21 Depth=1
                                        ; =>  This Loop Header: Depth=2
                                        ;       Child Loop BB85_26 Depth 3
                                        ;       Child Loop BB85_28 Depth 3
	v_lshlrev_b64 v[6:7], 2, v[4:5]
	v_mov_b32_e32 v8, s11
	v_add_co_u32_e32 v6, vcc, s10, v6
	v_addc_co_u32_e32 v7, vcc, v8, v7, vcc
	global_load_dword v6, v[6:7], off
	s_waitcnt vmcnt(0)
	v_subrev_u32_e32 v6, s20, v6
	v_cmp_ne_u32_e32 vcc, v6, v0
	s_and_saveexec_b64 s[24:25], vcc
	s_cbranch_execz .LBB85_23
; %bb.25:                               ;   in Loop: Header=BB85_24 Depth=2
	v_lshlrev_b64 v[8:9], 3, v[4:5]
	v_mov_b32_e32 v7, s13
	v_add_co_u32_e32 v8, vcc, s12, v8
	v_addc_co_u32_e32 v9, vcc, v7, v9, vcc
	v_ashrrev_i32_e32 v7, 31, v6
	global_load_dwordx2 v[8:9], v[8:9], off
	v_lshlrev_b64 v[6:7], 3, v[6:7]
	v_mov_b32_e32 v10, s19
	v_add_co_u32_e32 v6, vcc, s18, v6
	v_addc_co_u32_e32 v7, vcc, v10, v7, vcc
	global_load_dword v11, v[6:7], off
	s_mov_b64 s[26:27], 0
	s_waitcnt vmcnt(1)
	v_cndmask_b32_e64 v20, v9, -v9, s[4:5]
	v_mul_f32_e64 v9, v20, -v19
	v_fmac_f32_e32 v9, v1, v8
.LBB85_26:                              ;   Parent Loop BB85_21 Depth=1
                                        ;     Parent Loop BB85_24 Depth=2
                                        ; =>    This Inner Loop Header: Depth=3
	s_waitcnt vmcnt(0)
	v_add_f32_e32 v10, v11, v9
	global_atomic_cmpswap v10, v[6:7], v[10:11], off glc
	s_waitcnt vmcnt(0)
	v_cmp_eq_u32_e32 vcc, v10, v11
	s_or_b64 s[26:27], vcc, s[26:27]
	v_mov_b32_e32 v11, v10
	s_andn2_b64 exec, exec, s[26:27]
	s_cbranch_execnz .LBB85_26
; %bb.27:                               ;   in Loop: Header=BB85_24 Depth=2
	s_or_b64 exec, exec, s[26:27]
	global_load_dword v9, v[6:7], off offset:4
	v_mul_f32_e32 v10, v1, v20
	v_fmac_f32_e32 v10, v19, v8
	s_mov_b64 s[26:27], 0
.LBB85_28:                              ;   Parent Loop BB85_21 Depth=1
                                        ;     Parent Loop BB85_24 Depth=2
                                        ; =>    This Inner Loop Header: Depth=3
	s_waitcnt vmcnt(0)
	v_add_f32_e32 v8, v9, v10
	global_atomic_cmpswap v8, v[6:7], v[8:9], off offset:4 glc
	s_waitcnt vmcnt(0)
	v_cmp_eq_u32_e32 vcc, v8, v9
	s_or_b64 s[26:27], vcc, s[26:27]
	v_mov_b32_e32 v9, v8
	s_andn2_b64 exec, exec, s[26:27]
	s_cbranch_execnz .LBB85_28
	s_branch .LBB85_23
.LBB85_29:
	s_endpgm
	.section	.rodata,"a",@progbits
	.p2align	6, 0x0
	.amdhsa_kernel _ZN9rocsparseL21csrmvt_general_kernelILj256ELj16Eli21rocsparse_complex_numIfES2_S2_S2_EEvbbT2_NS_24const_host_device_scalarIT6_EEPKT1_S9_PKS3_PKT3_PKT4_PT5_21rocsparse_index_base_b
		.amdhsa_group_segment_fixed_size 0
		.amdhsa_private_segment_fixed_size 0
		.amdhsa_kernarg_size 328
		.amdhsa_user_sgpr_count 6
		.amdhsa_user_sgpr_private_segment_buffer 1
		.amdhsa_user_sgpr_dispatch_ptr 0
		.amdhsa_user_sgpr_queue_ptr 0
		.amdhsa_user_sgpr_kernarg_segment_ptr 1
		.amdhsa_user_sgpr_dispatch_id 0
		.amdhsa_user_sgpr_flat_scratch_init 0
		.amdhsa_user_sgpr_kernarg_preload_length 0
		.amdhsa_user_sgpr_kernarg_preload_offset 0
		.amdhsa_user_sgpr_private_segment_size 0
		.amdhsa_uses_dynamic_stack 0
		.amdhsa_system_sgpr_private_segment_wavefront_offset 0
		.amdhsa_system_sgpr_workgroup_id_x 1
		.amdhsa_system_sgpr_workgroup_id_y 0
		.amdhsa_system_sgpr_workgroup_id_z 0
		.amdhsa_system_sgpr_workgroup_info 0
		.amdhsa_system_vgpr_workitem_id 0
		.amdhsa_next_free_vgpr 23
		.amdhsa_next_free_sgpr 30
		.amdhsa_accum_offset 24
		.amdhsa_reserve_vcc 1
		.amdhsa_reserve_flat_scratch 0
		.amdhsa_float_round_mode_32 0
		.amdhsa_float_round_mode_16_64 0
		.amdhsa_float_denorm_mode_32 3
		.amdhsa_float_denorm_mode_16_64 3
		.amdhsa_dx10_clamp 1
		.amdhsa_ieee_mode 1
		.amdhsa_fp16_overflow 0
		.amdhsa_tg_split 0
		.amdhsa_exception_fp_ieee_invalid_op 0
		.amdhsa_exception_fp_denorm_src 0
		.amdhsa_exception_fp_ieee_div_zero 0
		.amdhsa_exception_fp_ieee_overflow 0
		.amdhsa_exception_fp_ieee_underflow 0
		.amdhsa_exception_fp_ieee_inexact 0
		.amdhsa_exception_int_div_zero 0
	.end_amdhsa_kernel
	.section	.text._ZN9rocsparseL21csrmvt_general_kernelILj256ELj16Eli21rocsparse_complex_numIfES2_S2_S2_EEvbbT2_NS_24const_host_device_scalarIT6_EEPKT1_S9_PKS3_PKT3_PKT4_PT5_21rocsparse_index_base_b,"axG",@progbits,_ZN9rocsparseL21csrmvt_general_kernelILj256ELj16Eli21rocsparse_complex_numIfES2_S2_S2_EEvbbT2_NS_24const_host_device_scalarIT6_EEPKT1_S9_PKS3_PKT3_PKT4_PT5_21rocsparse_index_base_b,comdat
.Lfunc_end85:
	.size	_ZN9rocsparseL21csrmvt_general_kernelILj256ELj16Eli21rocsparse_complex_numIfES2_S2_S2_EEvbbT2_NS_24const_host_device_scalarIT6_EEPKT1_S9_PKS3_PKT3_PKT4_PT5_21rocsparse_index_base_b, .Lfunc_end85-_ZN9rocsparseL21csrmvt_general_kernelILj256ELj16Eli21rocsparse_complex_numIfES2_S2_S2_EEvbbT2_NS_24const_host_device_scalarIT6_EEPKT1_S9_PKS3_PKT3_PKT4_PT5_21rocsparse_index_base_b
                                        ; -- End function
	.section	.AMDGPU.csdata,"",@progbits
; Kernel info:
; codeLenInByte = 1164
; NumSgprs: 34
; NumVgprs: 23
; NumAgprs: 0
; TotalNumVgprs: 23
; ScratchSize: 0
; MemoryBound: 0
; FloatMode: 240
; IeeeMode: 1
; LDSByteSize: 0 bytes/workgroup (compile time only)
; SGPRBlocks: 4
; VGPRBlocks: 2
; NumSGPRsForWavesPerEU: 34
; NumVGPRsForWavesPerEU: 23
; AccumOffset: 24
; Occupancy: 8
; WaveLimiterHint : 1
; COMPUTE_PGM_RSRC2:SCRATCH_EN: 0
; COMPUTE_PGM_RSRC2:USER_SGPR: 6
; COMPUTE_PGM_RSRC2:TRAP_HANDLER: 0
; COMPUTE_PGM_RSRC2:TGID_X_EN: 1
; COMPUTE_PGM_RSRC2:TGID_Y_EN: 0
; COMPUTE_PGM_RSRC2:TGID_Z_EN: 0
; COMPUTE_PGM_RSRC2:TIDIG_COMP_CNT: 0
; COMPUTE_PGM_RSRC3_GFX90A:ACCUM_OFFSET: 5
; COMPUTE_PGM_RSRC3_GFX90A:TG_SPLIT: 0
	.section	.text._ZN9rocsparseL21csrmvt_general_kernelILj256ELj32Eli21rocsparse_complex_numIfES2_S2_S2_EEvbbT2_NS_24const_host_device_scalarIT6_EEPKT1_S9_PKS3_PKT3_PKT4_PT5_21rocsparse_index_base_b,"axG",@progbits,_ZN9rocsparseL21csrmvt_general_kernelILj256ELj32Eli21rocsparse_complex_numIfES2_S2_S2_EEvbbT2_NS_24const_host_device_scalarIT6_EEPKT1_S9_PKS3_PKT3_PKT4_PT5_21rocsparse_index_base_b,comdat
	.globl	_ZN9rocsparseL21csrmvt_general_kernelILj256ELj32Eli21rocsparse_complex_numIfES2_S2_S2_EEvbbT2_NS_24const_host_device_scalarIT6_EEPKT1_S9_PKS3_PKT3_PKT4_PT5_21rocsparse_index_base_b ; -- Begin function _ZN9rocsparseL21csrmvt_general_kernelILj256ELj32Eli21rocsparse_complex_numIfES2_S2_S2_EEvbbT2_NS_24const_host_device_scalarIT6_EEPKT1_S9_PKS3_PKT3_PKT4_PT5_21rocsparse_index_base_b
	.p2align	8
	.type	_ZN9rocsparseL21csrmvt_general_kernelILj256ELj32Eli21rocsparse_complex_numIfES2_S2_S2_EEvbbT2_NS_24const_host_device_scalarIT6_EEPKT1_S9_PKS3_PKT3_PKT4_PT5_21rocsparse_index_base_b,@function
_ZN9rocsparseL21csrmvt_general_kernelILj256ELj32Eli21rocsparse_complex_numIfES2_S2_S2_EEvbbT2_NS_24const_host_device_scalarIT6_EEPKT1_S9_PKS3_PKT3_PKT4_PT5_21rocsparse_index_base_b: ; @_ZN9rocsparseL21csrmvt_general_kernelILj256ELj32Eli21rocsparse_complex_numIfES2_S2_S2_EEvbbT2_NS_24const_host_device_scalarIT6_EEPKT1_S9_PKS3_PKT3_PKT4_PT5_21rocsparse_index_base_b
; %bb.0:
	s_load_dwordx2 s[20:21], s[4:5], 0x40
	s_load_dwordx4 s[16:19], s[4:5], 0x0
	s_load_dwordx4 s[0:3], s[4:5], 0x8
	s_waitcnt lgkmcnt(0)
	s_bitcmp1_b32 s21, 0
	s_cselect_b64 s[10:11], -1, 0
	s_xor_b64 s[8:9], s[10:11], -1
	s_and_b64 vcc, exec, s[10:11]
	v_mov_b32_e32 v14, s18
	s_cbranch_vccnz .LBB86_2
; %bb.1:
	v_pk_mov_b32 v[2:3], s[0:1], s[0:1] op_sel:[0,1]
	flat_load_dword v14, v[2:3]
.LBB86_2:
	s_andn2_b64 vcc, exec, s[8:9]
	v_mov_b32_e32 v15, s19
	s_cbranch_vccnz .LBB86_4
; %bb.3:
	v_pk_mov_b32 v[2:3], s[0:1], s[0:1] op_sel:[0,1]
	flat_load_dword v15, v[2:3] offset:4
.LBB86_4:
	s_waitcnt vmcnt(0) lgkmcnt(0)
	v_cmp_neq_f32_e32 vcc, 0, v14
	v_cmp_neq_f32_e64 s[0:1], 0, v15
	s_or_b64 s[0:1], vcc, s[0:1]
	s_and_saveexec_b64 s[8:9], s[0:1]
	s_cbranch_execz .LBB86_29
; %bb.5:
	s_load_dword s0, s[4:5], 0x0
	s_load_dwordx2 s[18:19], s[4:5], 0x38
	s_load_dword s1, s[4:5], 0x48
	s_load_dwordx8 s[8:15], s[4:5], 0x18
	v_and_b32_e32 v1, 31, v0
	s_waitcnt lgkmcnt(0)
	s_and_b32 s0, s0, 1
	s_bitcmp1_b32 s16, 8
	v_lshl_or_b32 v0, s6, 8, v0
	s_cselect_b64 s[4:5], -1, 0
	s_lshl_b32 s16, s1, 3
	v_lshrrev_b32_e32 v0, 5, v0
	s_cmp_eq_u32 s0, 0
	v_cmp_gt_i32_e64 s[0:1], s17, v0
	s_mov_b64 s[6:7], -1
	s_cbranch_scc0 .LBB86_17
; %bb.6:
	s_and_saveexec_b64 s[6:7], s[0:1]
	s_cbranch_execz .LBB86_16
; %bb.7:
	v_subrev_co_u32_e32 v16, vcc, s20, v1
	s_mov_b32 s21, 0
	v_subb_co_u32_e64 v17, s[22:23], 0, 0, vcc
	s_mov_b64 s[22:23], 0
	v_mov_b32_e32 v18, s3
	v_mov_b32_e32 v19, s9
	;; [unrolled: 1-line block ×4, first 2 shown]
	s_branch .LBB86_9
.LBB86_8:                               ;   in Loop: Header=BB86_9 Depth=1
	s_or_b64 exec, exec, s[24:25]
	v_add_u32_e32 v2, s16, v2
	v_cmp_le_i32_e32 vcc, s17, v2
	s_or_b64 s[22:23], vcc, s[22:23]
	s_andn2_b64 exec, exec, s[22:23]
	s_cbranch_execz .LBB86_16
.LBB86_9:                               ; =>This Loop Header: Depth=1
                                        ;     Child Loop BB86_11 Depth 2
                                        ;       Child Loop BB86_12 Depth 3
                                        ;       Child Loop BB86_14 Depth 3
	v_ashrrev_i32_e32 v3, 31, v2
	v_lshlrev_b64 v[8:9], 3, v[2:3]
	v_add_co_u32_e32 v4, vcc, s8, v8
	v_addc_co_u32_e32 v5, vcc, v19, v9, vcc
	global_load_dwordx2 v[4:5], v[4:5], off
	v_add_co_u32_e32 v6, vcc, s2, v8
	v_addc_co_u32_e32 v7, vcc, v18, v9, vcc
	global_load_dwordx2 v[6:7], v[6:7], off
	s_waitcnt vmcnt(1)
	v_subrev_co_u32_e32 v4, vcc, s20, v4
	v_subb_co_u32_e32 v5, vcc, v5, v20, vcc
	s_waitcnt vmcnt(0)
	v_add_co_u32_e32 v6, vcc, v6, v16
	v_addc_co_u32_e32 v7, vcc, v7, v17, vcc
	v_cmp_lt_i64_e32 vcc, v[6:7], v[4:5]
	s_and_saveexec_b64 s[24:25], vcc
	s_cbranch_execz .LBB86_8
; %bb.10:                               ;   in Loop: Header=BB86_9 Depth=1
	v_mov_b32_e32 v3, s15
	v_add_co_u32_e32 v8, vcc, s14, v8
	v_addc_co_u32_e32 v9, vcc, v3, v9, vcc
	global_load_dwordx2 v[8:9], v[8:9], off
	s_mov_b64 s[26:27], 0
	s_waitcnt vmcnt(0)
	v_mul_f32_e64 v3, v9, -v15
	v_mul_f32_e32 v21, v14, v9
	v_fmac_f32_e32 v3, v14, v8
	v_fmac_f32_e32 v21, v15, v8
.LBB86_11:                              ;   Parent Loop BB86_9 Depth=1
                                        ; =>  This Loop Header: Depth=2
                                        ;       Child Loop BB86_12 Depth 3
                                        ;       Child Loop BB86_14 Depth 3
	v_lshlrev_b64 v[8:9], 2, v[6:7]
	v_mov_b32_e32 v10, s11
	v_add_co_u32_e32 v8, vcc, s10, v8
	v_addc_co_u32_e32 v9, vcc, v10, v9, vcc
	global_load_dword v12, v[8:9], off
	v_lshlrev_b64 v[8:9], 3, v[6:7]
	v_mov_b32_e32 v10, s13
	v_add_co_u32_e32 v8, vcc, s12, v8
	v_addc_co_u32_e32 v9, vcc, v10, v9, vcc
	global_load_dwordx2 v[10:11], v[8:9], off
	v_mov_b32_e32 v13, s19
	s_mov_b64 s[28:29], 0
	s_waitcnt vmcnt(1)
	v_subrev_u32_e32 v8, s20, v12
	v_ashrrev_i32_e32 v9, 31, v8
	v_lshlrev_b64 v[8:9], 3, v[8:9]
	v_add_co_u32_e32 v8, vcc, s18, v8
	v_addc_co_u32_e32 v9, vcc, v13, v9, vcc
	global_load_dword v13, v[8:9], off
	s_waitcnt vmcnt(1)
	v_cndmask_b32_e64 v22, v11, -v11, s[4:5]
	v_mul_f32_e64 v11, v22, -v21
	v_fmac_f32_e32 v11, v3, v10
.LBB86_12:                              ;   Parent Loop BB86_9 Depth=1
                                        ;     Parent Loop BB86_11 Depth=2
                                        ; =>    This Inner Loop Header: Depth=3
	s_waitcnt vmcnt(0)
	v_add_f32_e32 v12, v13, v11
	global_atomic_cmpswap v12, v[8:9], v[12:13], off glc
	s_waitcnt vmcnt(0)
	v_cmp_eq_u32_e32 vcc, v12, v13
	s_or_b64 s[28:29], vcc, s[28:29]
	v_mov_b32_e32 v13, v12
	s_andn2_b64 exec, exec, s[28:29]
	s_cbranch_execnz .LBB86_12
; %bb.13:                               ;   in Loop: Header=BB86_11 Depth=2
	s_or_b64 exec, exec, s[28:29]
	global_load_dword v11, v[8:9], off offset:4
	v_mul_f32_e32 v12, v3, v22
	v_fmac_f32_e32 v12, v21, v10
	s_mov_b64 s[28:29], 0
.LBB86_14:                              ;   Parent Loop BB86_9 Depth=1
                                        ;     Parent Loop BB86_11 Depth=2
                                        ; =>    This Inner Loop Header: Depth=3
	s_waitcnt vmcnt(0)
	v_add_f32_e32 v10, v11, v12
	global_atomic_cmpswap v10, v[8:9], v[10:11], off offset:4 glc
	s_waitcnt vmcnt(0)
	v_cmp_eq_u32_e32 vcc, v10, v11
	s_or_b64 s[28:29], vcc, s[28:29]
	v_mov_b32_e32 v11, v10
	s_andn2_b64 exec, exec, s[28:29]
	s_cbranch_execnz .LBB86_14
; %bb.15:                               ;   in Loop: Header=BB86_11 Depth=2
	s_or_b64 exec, exec, s[28:29]
	v_add_co_u32_e32 v6, vcc, 32, v6
	v_addc_co_u32_e32 v7, vcc, 0, v7, vcc
	v_cmp_ge_i64_e32 vcc, v[6:7], v[4:5]
	s_or_b64 s[26:27], vcc, s[26:27]
	s_andn2_b64 exec, exec, s[26:27]
	s_cbranch_execnz .LBB86_11
	s_branch .LBB86_8
.LBB86_16:
	s_or_b64 exec, exec, s[6:7]
	s_mov_b64 s[6:7], 0
.LBB86_17:
	s_andn2_b64 vcc, exec, s[6:7]
	s_cbranch_vccnz .LBB86_29
; %bb.18:
	s_and_b64 exec, exec, s[0:1]
	s_cbranch_execz .LBB86_29
; %bb.19:
	v_subrev_co_u32_e32 v12, vcc, s20, v1
	s_mov_b32 s6, 0
	v_subb_co_u32_e64 v13, s[0:1], 0, 0, vcc
	s_mov_b64 s[0:1], 0
	v_mov_b32_e32 v16, s3
	v_mov_b32_e32 v17, s9
	;; [unrolled: 1-line block ×3, first 2 shown]
	s_branch .LBB86_21
.LBB86_20:                              ;   in Loop: Header=BB86_21 Depth=1
	s_or_b64 exec, exec, s[6:7]
	v_add_u32_e32 v0, s16, v0
	v_cmp_le_i32_e32 vcc, s17, v0
	s_or_b64 s[0:1], vcc, s[0:1]
	s_andn2_b64 exec, exec, s[0:1]
	s_cbranch_execz .LBB86_29
.LBB86_21:                              ; =>This Loop Header: Depth=1
                                        ;     Child Loop BB86_24 Depth 2
                                        ;       Child Loop BB86_26 Depth 3
                                        ;       Child Loop BB86_28 Depth 3
	v_ashrrev_i32_e32 v1, 31, v0
	v_lshlrev_b64 v[6:7], 3, v[0:1]
	v_add_co_u32_e32 v2, vcc, s8, v6
	v_addc_co_u32_e32 v3, vcc, v17, v7, vcc
	global_load_dwordx2 v[2:3], v[2:3], off
	v_add_co_u32_e32 v4, vcc, s2, v6
	v_addc_co_u32_e32 v5, vcc, v16, v7, vcc
	global_load_dwordx2 v[4:5], v[4:5], off
	s_waitcnt vmcnt(1)
	v_subrev_co_u32_e32 v2, vcc, s20, v2
	v_subb_co_u32_e32 v3, vcc, v3, v18, vcc
	s_waitcnt vmcnt(0)
	v_add_co_u32_e32 v4, vcc, v4, v12
	v_addc_co_u32_e32 v5, vcc, v5, v13, vcc
	v_cmp_lt_i64_e32 vcc, v[4:5], v[2:3]
	s_and_saveexec_b64 s[6:7], vcc
	s_cbranch_execz .LBB86_20
; %bb.22:                               ;   in Loop: Header=BB86_21 Depth=1
	v_mov_b32_e32 v1, s15
	v_add_co_u32_e32 v6, vcc, s14, v6
	v_addc_co_u32_e32 v7, vcc, v1, v7, vcc
	global_load_dwordx2 v[6:7], v[6:7], off
	s_mov_b64 s[22:23], 0
	s_waitcnt vmcnt(0)
	v_mul_f32_e64 v1, v7, -v15
	v_mul_f32_e32 v19, v14, v7
	v_fmac_f32_e32 v1, v14, v6
	v_fmac_f32_e32 v19, v15, v6
	s_branch .LBB86_24
.LBB86_23:                              ;   in Loop: Header=BB86_24 Depth=2
	s_or_b64 exec, exec, s[24:25]
	v_add_co_u32_e32 v4, vcc, 32, v4
	v_addc_co_u32_e32 v5, vcc, 0, v5, vcc
	v_cmp_ge_i64_e32 vcc, v[4:5], v[2:3]
	s_or_b64 s[22:23], vcc, s[22:23]
	s_andn2_b64 exec, exec, s[22:23]
	s_cbranch_execz .LBB86_20
.LBB86_24:                              ;   Parent Loop BB86_21 Depth=1
                                        ; =>  This Loop Header: Depth=2
                                        ;       Child Loop BB86_26 Depth 3
                                        ;       Child Loop BB86_28 Depth 3
	v_lshlrev_b64 v[6:7], 2, v[4:5]
	v_mov_b32_e32 v8, s11
	v_add_co_u32_e32 v6, vcc, s10, v6
	v_addc_co_u32_e32 v7, vcc, v8, v7, vcc
	global_load_dword v6, v[6:7], off
	s_waitcnt vmcnt(0)
	v_subrev_u32_e32 v6, s20, v6
	v_cmp_ne_u32_e32 vcc, v6, v0
	s_and_saveexec_b64 s[24:25], vcc
	s_cbranch_execz .LBB86_23
; %bb.25:                               ;   in Loop: Header=BB86_24 Depth=2
	v_lshlrev_b64 v[8:9], 3, v[4:5]
	v_mov_b32_e32 v7, s13
	v_add_co_u32_e32 v8, vcc, s12, v8
	v_addc_co_u32_e32 v9, vcc, v7, v9, vcc
	v_ashrrev_i32_e32 v7, 31, v6
	global_load_dwordx2 v[8:9], v[8:9], off
	v_lshlrev_b64 v[6:7], 3, v[6:7]
	v_mov_b32_e32 v10, s19
	v_add_co_u32_e32 v6, vcc, s18, v6
	v_addc_co_u32_e32 v7, vcc, v10, v7, vcc
	global_load_dword v11, v[6:7], off
	s_mov_b64 s[26:27], 0
	s_waitcnt vmcnt(1)
	v_cndmask_b32_e64 v20, v9, -v9, s[4:5]
	v_mul_f32_e64 v9, v20, -v19
	v_fmac_f32_e32 v9, v1, v8
.LBB86_26:                              ;   Parent Loop BB86_21 Depth=1
                                        ;     Parent Loop BB86_24 Depth=2
                                        ; =>    This Inner Loop Header: Depth=3
	s_waitcnt vmcnt(0)
	v_add_f32_e32 v10, v11, v9
	global_atomic_cmpswap v10, v[6:7], v[10:11], off glc
	s_waitcnt vmcnt(0)
	v_cmp_eq_u32_e32 vcc, v10, v11
	s_or_b64 s[26:27], vcc, s[26:27]
	v_mov_b32_e32 v11, v10
	s_andn2_b64 exec, exec, s[26:27]
	s_cbranch_execnz .LBB86_26
; %bb.27:                               ;   in Loop: Header=BB86_24 Depth=2
	s_or_b64 exec, exec, s[26:27]
	global_load_dword v9, v[6:7], off offset:4
	v_mul_f32_e32 v10, v1, v20
	v_fmac_f32_e32 v10, v19, v8
	s_mov_b64 s[26:27], 0
.LBB86_28:                              ;   Parent Loop BB86_21 Depth=1
                                        ;     Parent Loop BB86_24 Depth=2
                                        ; =>    This Inner Loop Header: Depth=3
	s_waitcnt vmcnt(0)
	v_add_f32_e32 v8, v9, v10
	global_atomic_cmpswap v8, v[6:7], v[8:9], off offset:4 glc
	s_waitcnt vmcnt(0)
	v_cmp_eq_u32_e32 vcc, v8, v9
	s_or_b64 s[26:27], vcc, s[26:27]
	v_mov_b32_e32 v9, v8
	s_andn2_b64 exec, exec, s[26:27]
	s_cbranch_execnz .LBB86_28
	s_branch .LBB86_23
.LBB86_29:
	s_endpgm
	.section	.rodata,"a",@progbits
	.p2align	6, 0x0
	.amdhsa_kernel _ZN9rocsparseL21csrmvt_general_kernelILj256ELj32Eli21rocsparse_complex_numIfES2_S2_S2_EEvbbT2_NS_24const_host_device_scalarIT6_EEPKT1_S9_PKS3_PKT3_PKT4_PT5_21rocsparse_index_base_b
		.amdhsa_group_segment_fixed_size 0
		.amdhsa_private_segment_fixed_size 0
		.amdhsa_kernarg_size 328
		.amdhsa_user_sgpr_count 6
		.amdhsa_user_sgpr_private_segment_buffer 1
		.amdhsa_user_sgpr_dispatch_ptr 0
		.amdhsa_user_sgpr_queue_ptr 0
		.amdhsa_user_sgpr_kernarg_segment_ptr 1
		.amdhsa_user_sgpr_dispatch_id 0
		.amdhsa_user_sgpr_flat_scratch_init 0
		.amdhsa_user_sgpr_kernarg_preload_length 0
		.amdhsa_user_sgpr_kernarg_preload_offset 0
		.amdhsa_user_sgpr_private_segment_size 0
		.amdhsa_uses_dynamic_stack 0
		.amdhsa_system_sgpr_private_segment_wavefront_offset 0
		.amdhsa_system_sgpr_workgroup_id_x 1
		.amdhsa_system_sgpr_workgroup_id_y 0
		.amdhsa_system_sgpr_workgroup_id_z 0
		.amdhsa_system_sgpr_workgroup_info 0
		.amdhsa_system_vgpr_workitem_id 0
		.amdhsa_next_free_vgpr 23
		.amdhsa_next_free_sgpr 30
		.amdhsa_accum_offset 24
		.amdhsa_reserve_vcc 1
		.amdhsa_reserve_flat_scratch 0
		.amdhsa_float_round_mode_32 0
		.amdhsa_float_round_mode_16_64 0
		.amdhsa_float_denorm_mode_32 3
		.amdhsa_float_denorm_mode_16_64 3
		.amdhsa_dx10_clamp 1
		.amdhsa_ieee_mode 1
		.amdhsa_fp16_overflow 0
		.amdhsa_tg_split 0
		.amdhsa_exception_fp_ieee_invalid_op 0
		.amdhsa_exception_fp_denorm_src 0
		.amdhsa_exception_fp_ieee_div_zero 0
		.amdhsa_exception_fp_ieee_overflow 0
		.amdhsa_exception_fp_ieee_underflow 0
		.amdhsa_exception_fp_ieee_inexact 0
		.amdhsa_exception_int_div_zero 0
	.end_amdhsa_kernel
	.section	.text._ZN9rocsparseL21csrmvt_general_kernelILj256ELj32Eli21rocsparse_complex_numIfES2_S2_S2_EEvbbT2_NS_24const_host_device_scalarIT6_EEPKT1_S9_PKS3_PKT3_PKT4_PT5_21rocsparse_index_base_b,"axG",@progbits,_ZN9rocsparseL21csrmvt_general_kernelILj256ELj32Eli21rocsparse_complex_numIfES2_S2_S2_EEvbbT2_NS_24const_host_device_scalarIT6_EEPKT1_S9_PKS3_PKT3_PKT4_PT5_21rocsparse_index_base_b,comdat
.Lfunc_end86:
	.size	_ZN9rocsparseL21csrmvt_general_kernelILj256ELj32Eli21rocsparse_complex_numIfES2_S2_S2_EEvbbT2_NS_24const_host_device_scalarIT6_EEPKT1_S9_PKS3_PKT3_PKT4_PT5_21rocsparse_index_base_b, .Lfunc_end86-_ZN9rocsparseL21csrmvt_general_kernelILj256ELj32Eli21rocsparse_complex_numIfES2_S2_S2_EEvbbT2_NS_24const_host_device_scalarIT6_EEPKT1_S9_PKS3_PKT3_PKT4_PT5_21rocsparse_index_base_b
                                        ; -- End function
	.section	.AMDGPU.csdata,"",@progbits
; Kernel info:
; codeLenInByte = 1164
; NumSgprs: 34
; NumVgprs: 23
; NumAgprs: 0
; TotalNumVgprs: 23
; ScratchSize: 0
; MemoryBound: 0
; FloatMode: 240
; IeeeMode: 1
; LDSByteSize: 0 bytes/workgroup (compile time only)
; SGPRBlocks: 4
; VGPRBlocks: 2
; NumSGPRsForWavesPerEU: 34
; NumVGPRsForWavesPerEU: 23
; AccumOffset: 24
; Occupancy: 8
; WaveLimiterHint : 1
; COMPUTE_PGM_RSRC2:SCRATCH_EN: 0
; COMPUTE_PGM_RSRC2:USER_SGPR: 6
; COMPUTE_PGM_RSRC2:TRAP_HANDLER: 0
; COMPUTE_PGM_RSRC2:TGID_X_EN: 1
; COMPUTE_PGM_RSRC2:TGID_Y_EN: 0
; COMPUTE_PGM_RSRC2:TGID_Z_EN: 0
; COMPUTE_PGM_RSRC2:TIDIG_COMP_CNT: 0
; COMPUTE_PGM_RSRC3_GFX90A:ACCUM_OFFSET: 5
; COMPUTE_PGM_RSRC3_GFX90A:TG_SPLIT: 0
	.section	.text._ZN9rocsparseL21csrmvt_general_kernelILj256ELj64Eli21rocsparse_complex_numIfES2_S2_S2_EEvbbT2_NS_24const_host_device_scalarIT6_EEPKT1_S9_PKS3_PKT3_PKT4_PT5_21rocsparse_index_base_b,"axG",@progbits,_ZN9rocsparseL21csrmvt_general_kernelILj256ELj64Eli21rocsparse_complex_numIfES2_S2_S2_EEvbbT2_NS_24const_host_device_scalarIT6_EEPKT1_S9_PKS3_PKT3_PKT4_PT5_21rocsparse_index_base_b,comdat
	.globl	_ZN9rocsparseL21csrmvt_general_kernelILj256ELj64Eli21rocsparse_complex_numIfES2_S2_S2_EEvbbT2_NS_24const_host_device_scalarIT6_EEPKT1_S9_PKS3_PKT3_PKT4_PT5_21rocsparse_index_base_b ; -- Begin function _ZN9rocsparseL21csrmvt_general_kernelILj256ELj64Eli21rocsparse_complex_numIfES2_S2_S2_EEvbbT2_NS_24const_host_device_scalarIT6_EEPKT1_S9_PKS3_PKT3_PKT4_PT5_21rocsparse_index_base_b
	.p2align	8
	.type	_ZN9rocsparseL21csrmvt_general_kernelILj256ELj64Eli21rocsparse_complex_numIfES2_S2_S2_EEvbbT2_NS_24const_host_device_scalarIT6_EEPKT1_S9_PKS3_PKT3_PKT4_PT5_21rocsparse_index_base_b,@function
_ZN9rocsparseL21csrmvt_general_kernelILj256ELj64Eli21rocsparse_complex_numIfES2_S2_S2_EEvbbT2_NS_24const_host_device_scalarIT6_EEPKT1_S9_PKS3_PKT3_PKT4_PT5_21rocsparse_index_base_b: ; @_ZN9rocsparseL21csrmvt_general_kernelILj256ELj64Eli21rocsparse_complex_numIfES2_S2_S2_EEvbbT2_NS_24const_host_device_scalarIT6_EEPKT1_S9_PKS3_PKT3_PKT4_PT5_21rocsparse_index_base_b
; %bb.0:
	s_load_dwordx2 s[20:21], s[4:5], 0x40
	s_load_dwordx4 s[16:19], s[4:5], 0x0
	s_load_dwordx4 s[0:3], s[4:5], 0x8
	s_waitcnt lgkmcnt(0)
	s_bitcmp1_b32 s21, 0
	s_cselect_b64 s[10:11], -1, 0
	s_xor_b64 s[8:9], s[10:11], -1
	s_and_b64 vcc, exec, s[10:11]
	v_mov_b32_e32 v14, s18
	s_cbranch_vccnz .LBB87_2
; %bb.1:
	v_pk_mov_b32 v[2:3], s[0:1], s[0:1] op_sel:[0,1]
	flat_load_dword v14, v[2:3]
.LBB87_2:
	s_andn2_b64 vcc, exec, s[8:9]
	v_mov_b32_e32 v15, s19
	s_cbranch_vccnz .LBB87_4
; %bb.3:
	v_pk_mov_b32 v[2:3], s[0:1], s[0:1] op_sel:[0,1]
	flat_load_dword v15, v[2:3] offset:4
.LBB87_4:
	s_waitcnt vmcnt(0) lgkmcnt(0)
	v_cmp_neq_f32_e32 vcc, 0, v14
	v_cmp_neq_f32_e64 s[0:1], 0, v15
	s_or_b64 s[0:1], vcc, s[0:1]
	s_and_saveexec_b64 s[8:9], s[0:1]
	s_cbranch_execz .LBB87_29
; %bb.5:
	s_load_dword s0, s[4:5], 0x0
	s_load_dwordx2 s[18:19], s[4:5], 0x38
	s_load_dword s1, s[4:5], 0x48
	s_load_dwordx8 s[8:15], s[4:5], 0x18
	v_and_b32_e32 v1, 63, v0
	s_waitcnt lgkmcnt(0)
	s_and_b32 s0, s0, 1
	s_bitcmp1_b32 s16, 8
	v_lshl_or_b32 v0, s6, 8, v0
	s_cselect_b64 s[4:5], -1, 0
	s_lshl_b32 s16, s1, 2
	v_lshrrev_b32_e32 v0, 6, v0
	s_cmp_eq_u32 s0, 0
	v_cmp_gt_i32_e64 s[0:1], s17, v0
	s_mov_b64 s[6:7], -1
	s_cbranch_scc0 .LBB87_17
; %bb.6:
	s_and_saveexec_b64 s[6:7], s[0:1]
	s_cbranch_execz .LBB87_16
; %bb.7:
	v_subrev_co_u32_e32 v16, vcc, s20, v1
	s_mov_b32 s21, 0
	v_subb_co_u32_e64 v17, s[22:23], 0, 0, vcc
	s_mov_b64 s[22:23], 0
	v_mov_b32_e32 v18, s3
	v_mov_b32_e32 v19, s9
	;; [unrolled: 1-line block ×4, first 2 shown]
	s_branch .LBB87_9
.LBB87_8:                               ;   in Loop: Header=BB87_9 Depth=1
	s_or_b64 exec, exec, s[24:25]
	v_add_u32_e32 v2, s16, v2
	v_cmp_le_i32_e32 vcc, s17, v2
	s_or_b64 s[22:23], vcc, s[22:23]
	s_andn2_b64 exec, exec, s[22:23]
	s_cbranch_execz .LBB87_16
.LBB87_9:                               ; =>This Loop Header: Depth=1
                                        ;     Child Loop BB87_11 Depth 2
                                        ;       Child Loop BB87_12 Depth 3
                                        ;       Child Loop BB87_14 Depth 3
	v_ashrrev_i32_e32 v3, 31, v2
	v_lshlrev_b64 v[8:9], 3, v[2:3]
	v_add_co_u32_e32 v4, vcc, s8, v8
	v_addc_co_u32_e32 v5, vcc, v19, v9, vcc
	global_load_dwordx2 v[4:5], v[4:5], off
	v_add_co_u32_e32 v6, vcc, s2, v8
	v_addc_co_u32_e32 v7, vcc, v18, v9, vcc
	global_load_dwordx2 v[6:7], v[6:7], off
	s_waitcnt vmcnt(1)
	v_subrev_co_u32_e32 v4, vcc, s20, v4
	v_subb_co_u32_e32 v5, vcc, v5, v20, vcc
	s_waitcnt vmcnt(0)
	v_add_co_u32_e32 v6, vcc, v6, v16
	v_addc_co_u32_e32 v7, vcc, v7, v17, vcc
	v_cmp_lt_i64_e32 vcc, v[6:7], v[4:5]
	s_and_saveexec_b64 s[24:25], vcc
	s_cbranch_execz .LBB87_8
; %bb.10:                               ;   in Loop: Header=BB87_9 Depth=1
	v_mov_b32_e32 v3, s15
	v_add_co_u32_e32 v8, vcc, s14, v8
	v_addc_co_u32_e32 v9, vcc, v3, v9, vcc
	global_load_dwordx2 v[8:9], v[8:9], off
	s_mov_b64 s[26:27], 0
	s_waitcnt vmcnt(0)
	v_mul_f32_e64 v3, v9, -v15
	v_mul_f32_e32 v21, v14, v9
	v_fmac_f32_e32 v3, v14, v8
	v_fmac_f32_e32 v21, v15, v8
.LBB87_11:                              ;   Parent Loop BB87_9 Depth=1
                                        ; =>  This Loop Header: Depth=2
                                        ;       Child Loop BB87_12 Depth 3
                                        ;       Child Loop BB87_14 Depth 3
	v_lshlrev_b64 v[8:9], 2, v[6:7]
	v_mov_b32_e32 v10, s11
	v_add_co_u32_e32 v8, vcc, s10, v8
	v_addc_co_u32_e32 v9, vcc, v10, v9, vcc
	global_load_dword v12, v[8:9], off
	v_lshlrev_b64 v[8:9], 3, v[6:7]
	v_mov_b32_e32 v10, s13
	v_add_co_u32_e32 v8, vcc, s12, v8
	v_addc_co_u32_e32 v9, vcc, v10, v9, vcc
	global_load_dwordx2 v[10:11], v[8:9], off
	v_mov_b32_e32 v13, s19
	s_mov_b64 s[28:29], 0
	s_waitcnt vmcnt(1)
	v_subrev_u32_e32 v8, s20, v12
	v_ashrrev_i32_e32 v9, 31, v8
	v_lshlrev_b64 v[8:9], 3, v[8:9]
	v_add_co_u32_e32 v8, vcc, s18, v8
	v_addc_co_u32_e32 v9, vcc, v13, v9, vcc
	global_load_dword v13, v[8:9], off
	s_waitcnt vmcnt(1)
	v_cndmask_b32_e64 v22, v11, -v11, s[4:5]
	v_mul_f32_e64 v11, v22, -v21
	v_fmac_f32_e32 v11, v3, v10
.LBB87_12:                              ;   Parent Loop BB87_9 Depth=1
                                        ;     Parent Loop BB87_11 Depth=2
                                        ; =>    This Inner Loop Header: Depth=3
	s_waitcnt vmcnt(0)
	v_add_f32_e32 v12, v13, v11
	global_atomic_cmpswap v12, v[8:9], v[12:13], off glc
	s_waitcnt vmcnt(0)
	v_cmp_eq_u32_e32 vcc, v12, v13
	s_or_b64 s[28:29], vcc, s[28:29]
	v_mov_b32_e32 v13, v12
	s_andn2_b64 exec, exec, s[28:29]
	s_cbranch_execnz .LBB87_12
; %bb.13:                               ;   in Loop: Header=BB87_11 Depth=2
	s_or_b64 exec, exec, s[28:29]
	global_load_dword v11, v[8:9], off offset:4
	v_mul_f32_e32 v12, v3, v22
	v_fmac_f32_e32 v12, v21, v10
	s_mov_b64 s[28:29], 0
.LBB87_14:                              ;   Parent Loop BB87_9 Depth=1
                                        ;     Parent Loop BB87_11 Depth=2
                                        ; =>    This Inner Loop Header: Depth=3
	s_waitcnt vmcnt(0)
	v_add_f32_e32 v10, v11, v12
	global_atomic_cmpswap v10, v[8:9], v[10:11], off offset:4 glc
	s_waitcnt vmcnt(0)
	v_cmp_eq_u32_e32 vcc, v10, v11
	s_or_b64 s[28:29], vcc, s[28:29]
	v_mov_b32_e32 v11, v10
	s_andn2_b64 exec, exec, s[28:29]
	s_cbranch_execnz .LBB87_14
; %bb.15:                               ;   in Loop: Header=BB87_11 Depth=2
	s_or_b64 exec, exec, s[28:29]
	v_add_co_u32_e32 v6, vcc, 64, v6
	v_addc_co_u32_e32 v7, vcc, 0, v7, vcc
	v_cmp_ge_i64_e32 vcc, v[6:7], v[4:5]
	s_or_b64 s[26:27], vcc, s[26:27]
	s_andn2_b64 exec, exec, s[26:27]
	s_cbranch_execnz .LBB87_11
	s_branch .LBB87_8
.LBB87_16:
	s_or_b64 exec, exec, s[6:7]
	s_mov_b64 s[6:7], 0
.LBB87_17:
	s_andn2_b64 vcc, exec, s[6:7]
	s_cbranch_vccnz .LBB87_29
; %bb.18:
	s_and_b64 exec, exec, s[0:1]
	s_cbranch_execz .LBB87_29
; %bb.19:
	v_subrev_co_u32_e32 v12, vcc, s20, v1
	s_mov_b32 s6, 0
	v_subb_co_u32_e64 v13, s[0:1], 0, 0, vcc
	s_mov_b64 s[0:1], 0
	v_mov_b32_e32 v16, s3
	v_mov_b32_e32 v17, s9
	;; [unrolled: 1-line block ×3, first 2 shown]
	s_branch .LBB87_21
.LBB87_20:                              ;   in Loop: Header=BB87_21 Depth=1
	s_or_b64 exec, exec, s[6:7]
	v_add_u32_e32 v0, s16, v0
	v_cmp_le_i32_e32 vcc, s17, v0
	s_or_b64 s[0:1], vcc, s[0:1]
	s_andn2_b64 exec, exec, s[0:1]
	s_cbranch_execz .LBB87_29
.LBB87_21:                              ; =>This Loop Header: Depth=1
                                        ;     Child Loop BB87_24 Depth 2
                                        ;       Child Loop BB87_26 Depth 3
                                        ;       Child Loop BB87_28 Depth 3
	v_ashrrev_i32_e32 v1, 31, v0
	v_lshlrev_b64 v[6:7], 3, v[0:1]
	v_add_co_u32_e32 v2, vcc, s8, v6
	v_addc_co_u32_e32 v3, vcc, v17, v7, vcc
	global_load_dwordx2 v[2:3], v[2:3], off
	v_add_co_u32_e32 v4, vcc, s2, v6
	v_addc_co_u32_e32 v5, vcc, v16, v7, vcc
	global_load_dwordx2 v[4:5], v[4:5], off
	s_waitcnt vmcnt(1)
	v_subrev_co_u32_e32 v2, vcc, s20, v2
	v_subb_co_u32_e32 v3, vcc, v3, v18, vcc
	s_waitcnt vmcnt(0)
	v_add_co_u32_e32 v4, vcc, v4, v12
	v_addc_co_u32_e32 v5, vcc, v5, v13, vcc
	v_cmp_lt_i64_e32 vcc, v[4:5], v[2:3]
	s_and_saveexec_b64 s[6:7], vcc
	s_cbranch_execz .LBB87_20
; %bb.22:                               ;   in Loop: Header=BB87_21 Depth=1
	v_mov_b32_e32 v1, s15
	v_add_co_u32_e32 v6, vcc, s14, v6
	v_addc_co_u32_e32 v7, vcc, v1, v7, vcc
	global_load_dwordx2 v[6:7], v[6:7], off
	s_mov_b64 s[22:23], 0
	s_waitcnt vmcnt(0)
	v_mul_f32_e64 v1, v7, -v15
	v_mul_f32_e32 v19, v14, v7
	v_fmac_f32_e32 v1, v14, v6
	v_fmac_f32_e32 v19, v15, v6
	s_branch .LBB87_24
.LBB87_23:                              ;   in Loop: Header=BB87_24 Depth=2
	s_or_b64 exec, exec, s[24:25]
	v_add_co_u32_e32 v4, vcc, 64, v4
	v_addc_co_u32_e32 v5, vcc, 0, v5, vcc
	v_cmp_ge_i64_e32 vcc, v[4:5], v[2:3]
	s_or_b64 s[22:23], vcc, s[22:23]
	s_andn2_b64 exec, exec, s[22:23]
	s_cbranch_execz .LBB87_20
.LBB87_24:                              ;   Parent Loop BB87_21 Depth=1
                                        ; =>  This Loop Header: Depth=2
                                        ;       Child Loop BB87_26 Depth 3
                                        ;       Child Loop BB87_28 Depth 3
	v_lshlrev_b64 v[6:7], 2, v[4:5]
	v_mov_b32_e32 v8, s11
	v_add_co_u32_e32 v6, vcc, s10, v6
	v_addc_co_u32_e32 v7, vcc, v8, v7, vcc
	global_load_dword v6, v[6:7], off
	s_waitcnt vmcnt(0)
	v_subrev_u32_e32 v6, s20, v6
	v_cmp_ne_u32_e32 vcc, v6, v0
	s_and_saveexec_b64 s[24:25], vcc
	s_cbranch_execz .LBB87_23
; %bb.25:                               ;   in Loop: Header=BB87_24 Depth=2
	v_lshlrev_b64 v[8:9], 3, v[4:5]
	v_mov_b32_e32 v7, s13
	v_add_co_u32_e32 v8, vcc, s12, v8
	v_addc_co_u32_e32 v9, vcc, v7, v9, vcc
	v_ashrrev_i32_e32 v7, 31, v6
	global_load_dwordx2 v[8:9], v[8:9], off
	v_lshlrev_b64 v[6:7], 3, v[6:7]
	v_mov_b32_e32 v10, s19
	v_add_co_u32_e32 v6, vcc, s18, v6
	v_addc_co_u32_e32 v7, vcc, v10, v7, vcc
	global_load_dword v11, v[6:7], off
	s_mov_b64 s[26:27], 0
	s_waitcnt vmcnt(1)
	v_cndmask_b32_e64 v20, v9, -v9, s[4:5]
	v_mul_f32_e64 v9, v20, -v19
	v_fmac_f32_e32 v9, v1, v8
.LBB87_26:                              ;   Parent Loop BB87_21 Depth=1
                                        ;     Parent Loop BB87_24 Depth=2
                                        ; =>    This Inner Loop Header: Depth=3
	s_waitcnt vmcnt(0)
	v_add_f32_e32 v10, v11, v9
	global_atomic_cmpswap v10, v[6:7], v[10:11], off glc
	s_waitcnt vmcnt(0)
	v_cmp_eq_u32_e32 vcc, v10, v11
	s_or_b64 s[26:27], vcc, s[26:27]
	v_mov_b32_e32 v11, v10
	s_andn2_b64 exec, exec, s[26:27]
	s_cbranch_execnz .LBB87_26
; %bb.27:                               ;   in Loop: Header=BB87_24 Depth=2
	s_or_b64 exec, exec, s[26:27]
	global_load_dword v9, v[6:7], off offset:4
	v_mul_f32_e32 v10, v1, v20
	v_fmac_f32_e32 v10, v19, v8
	s_mov_b64 s[26:27], 0
.LBB87_28:                              ;   Parent Loop BB87_21 Depth=1
                                        ;     Parent Loop BB87_24 Depth=2
                                        ; =>    This Inner Loop Header: Depth=3
	s_waitcnt vmcnt(0)
	v_add_f32_e32 v8, v9, v10
	global_atomic_cmpswap v8, v[6:7], v[8:9], off offset:4 glc
	s_waitcnt vmcnt(0)
	v_cmp_eq_u32_e32 vcc, v8, v9
	s_or_b64 s[26:27], vcc, s[26:27]
	v_mov_b32_e32 v9, v8
	s_andn2_b64 exec, exec, s[26:27]
	s_cbranch_execnz .LBB87_28
	s_branch .LBB87_23
.LBB87_29:
	s_endpgm
	.section	.rodata,"a",@progbits
	.p2align	6, 0x0
	.amdhsa_kernel _ZN9rocsparseL21csrmvt_general_kernelILj256ELj64Eli21rocsparse_complex_numIfES2_S2_S2_EEvbbT2_NS_24const_host_device_scalarIT6_EEPKT1_S9_PKS3_PKT3_PKT4_PT5_21rocsparse_index_base_b
		.amdhsa_group_segment_fixed_size 0
		.amdhsa_private_segment_fixed_size 0
		.amdhsa_kernarg_size 328
		.amdhsa_user_sgpr_count 6
		.amdhsa_user_sgpr_private_segment_buffer 1
		.amdhsa_user_sgpr_dispatch_ptr 0
		.amdhsa_user_sgpr_queue_ptr 0
		.amdhsa_user_sgpr_kernarg_segment_ptr 1
		.amdhsa_user_sgpr_dispatch_id 0
		.amdhsa_user_sgpr_flat_scratch_init 0
		.amdhsa_user_sgpr_kernarg_preload_length 0
		.amdhsa_user_sgpr_kernarg_preload_offset 0
		.amdhsa_user_sgpr_private_segment_size 0
		.amdhsa_uses_dynamic_stack 0
		.amdhsa_system_sgpr_private_segment_wavefront_offset 0
		.amdhsa_system_sgpr_workgroup_id_x 1
		.amdhsa_system_sgpr_workgroup_id_y 0
		.amdhsa_system_sgpr_workgroup_id_z 0
		.amdhsa_system_sgpr_workgroup_info 0
		.amdhsa_system_vgpr_workitem_id 0
		.amdhsa_next_free_vgpr 23
		.amdhsa_next_free_sgpr 30
		.amdhsa_accum_offset 24
		.amdhsa_reserve_vcc 1
		.amdhsa_reserve_flat_scratch 0
		.amdhsa_float_round_mode_32 0
		.amdhsa_float_round_mode_16_64 0
		.amdhsa_float_denorm_mode_32 3
		.amdhsa_float_denorm_mode_16_64 3
		.amdhsa_dx10_clamp 1
		.amdhsa_ieee_mode 1
		.amdhsa_fp16_overflow 0
		.amdhsa_tg_split 0
		.amdhsa_exception_fp_ieee_invalid_op 0
		.amdhsa_exception_fp_denorm_src 0
		.amdhsa_exception_fp_ieee_div_zero 0
		.amdhsa_exception_fp_ieee_overflow 0
		.amdhsa_exception_fp_ieee_underflow 0
		.amdhsa_exception_fp_ieee_inexact 0
		.amdhsa_exception_int_div_zero 0
	.end_amdhsa_kernel
	.section	.text._ZN9rocsparseL21csrmvt_general_kernelILj256ELj64Eli21rocsparse_complex_numIfES2_S2_S2_EEvbbT2_NS_24const_host_device_scalarIT6_EEPKT1_S9_PKS3_PKT3_PKT4_PT5_21rocsparse_index_base_b,"axG",@progbits,_ZN9rocsparseL21csrmvt_general_kernelILj256ELj64Eli21rocsparse_complex_numIfES2_S2_S2_EEvbbT2_NS_24const_host_device_scalarIT6_EEPKT1_S9_PKS3_PKT3_PKT4_PT5_21rocsparse_index_base_b,comdat
.Lfunc_end87:
	.size	_ZN9rocsparseL21csrmvt_general_kernelILj256ELj64Eli21rocsparse_complex_numIfES2_S2_S2_EEvbbT2_NS_24const_host_device_scalarIT6_EEPKT1_S9_PKS3_PKT3_PKT4_PT5_21rocsparse_index_base_b, .Lfunc_end87-_ZN9rocsparseL21csrmvt_general_kernelILj256ELj64Eli21rocsparse_complex_numIfES2_S2_S2_EEvbbT2_NS_24const_host_device_scalarIT6_EEPKT1_S9_PKS3_PKT3_PKT4_PT5_21rocsparse_index_base_b
                                        ; -- End function
	.section	.AMDGPU.csdata,"",@progbits
; Kernel info:
; codeLenInByte = 1164
; NumSgprs: 34
; NumVgprs: 23
; NumAgprs: 0
; TotalNumVgprs: 23
; ScratchSize: 0
; MemoryBound: 0
; FloatMode: 240
; IeeeMode: 1
; LDSByteSize: 0 bytes/workgroup (compile time only)
; SGPRBlocks: 4
; VGPRBlocks: 2
; NumSGPRsForWavesPerEU: 34
; NumVGPRsForWavesPerEU: 23
; AccumOffset: 24
; Occupancy: 8
; WaveLimiterHint : 1
; COMPUTE_PGM_RSRC2:SCRATCH_EN: 0
; COMPUTE_PGM_RSRC2:USER_SGPR: 6
; COMPUTE_PGM_RSRC2:TRAP_HANDLER: 0
; COMPUTE_PGM_RSRC2:TGID_X_EN: 1
; COMPUTE_PGM_RSRC2:TGID_Y_EN: 0
; COMPUTE_PGM_RSRC2:TGID_Z_EN: 0
; COMPUTE_PGM_RSRC2:TIDIG_COMP_CNT: 0
; COMPUTE_PGM_RSRC3_GFX90A:ACCUM_OFFSET: 5
; COMPUTE_PGM_RSRC3_GFX90A:TG_SPLIT: 0
	.section	.text._ZN9rocsparseL21csrmvn_general_kernelILj256ELj2Ell21rocsparse_complex_numIfES2_S2_S2_EEvbT2_NS_24const_host_device_scalarIT6_EEPKT1_S9_PKS3_PKT3_PKT4_S6_PT5_21rocsparse_index_base_b,"axG",@progbits,_ZN9rocsparseL21csrmvn_general_kernelILj256ELj2Ell21rocsparse_complex_numIfES2_S2_S2_EEvbT2_NS_24const_host_device_scalarIT6_EEPKT1_S9_PKS3_PKT3_PKT4_S6_PT5_21rocsparse_index_base_b,comdat
	.globl	_ZN9rocsparseL21csrmvn_general_kernelILj256ELj2Ell21rocsparse_complex_numIfES2_S2_S2_EEvbT2_NS_24const_host_device_scalarIT6_EEPKT1_S9_PKS3_PKT3_PKT4_S6_PT5_21rocsparse_index_base_b ; -- Begin function _ZN9rocsparseL21csrmvn_general_kernelILj256ELj2Ell21rocsparse_complex_numIfES2_S2_S2_EEvbT2_NS_24const_host_device_scalarIT6_EEPKT1_S9_PKS3_PKT3_PKT4_S6_PT5_21rocsparse_index_base_b
	.p2align	8
	.type	_ZN9rocsparseL21csrmvn_general_kernelILj256ELj2Ell21rocsparse_complex_numIfES2_S2_S2_EEvbT2_NS_24const_host_device_scalarIT6_EEPKT1_S9_PKS3_PKT3_PKT4_S6_PT5_21rocsparse_index_base_b,@function
_ZN9rocsparseL21csrmvn_general_kernelILj256ELj2Ell21rocsparse_complex_numIfES2_S2_S2_EEvbT2_NS_24const_host_device_scalarIT6_EEPKT1_S9_PKS3_PKT3_PKT4_S6_PT5_21rocsparse_index_base_b: ; @_ZN9rocsparseL21csrmvn_general_kernelILj256ELj2Ell21rocsparse_complex_numIfES2_S2_S2_EEvbT2_NS_24const_host_device_scalarIT6_EEPKT1_S9_PKS3_PKT3_PKT4_S6_PT5_21rocsparse_index_base_b
; %bb.0:
	s_load_dwordx2 s[20:21], s[4:5], 0x50
	s_load_dwordx2 s[2:3], s[4:5], 0x40
	s_load_dwordx8 s[8:15], s[4:5], 0x8
	s_waitcnt lgkmcnt(0)
	s_bitcmp1_b32 s21, 0
	s_cselect_b64 s[0:1], -1, 0
	s_xor_b64 s[16:17], s[0:1], -1
	s_and_b64 vcc, exec, s[0:1]
	v_mov_b32_e32 v2, s10
	s_cbranch_vccnz .LBB88_2
; %bb.1:
	v_pk_mov_b32 v[2:3], s[10:11], s[10:11] op_sel:[0,1]
	flat_load_dword v2, v[2:3]
.LBB88_2:
	v_cndmask_b32_e64 v1, 0, 1, s[16:17]
	v_cmp_ne_u32_e64 s[0:1], 1, v1
	s_andn2_b64 vcc, exec, s[16:17]
	v_mov_b32_e32 v3, s11
	s_cbranch_vccz .LBB88_21
; %bb.3:
	s_and_b64 vcc, exec, s[0:1]
	v_mov_b32_e32 v4, s2
	s_cbranch_vccz .LBB88_22
.LBB88_4:
	s_and_b64 vcc, exec, s[0:1]
	v_mov_b32_e32 v5, s3
	s_cbranch_vccnz .LBB88_6
.LBB88_5:
	v_pk_mov_b32 v[6:7], s[2:3], s[2:3] op_sel:[0,1]
	flat_load_dword v5, v[6:7] offset:4
.LBB88_6:
	s_waitcnt vmcnt(0) lgkmcnt(0)
	v_and_b32_e32 v1, 0x7fffffff, v2
	v_cmp_eq_u32_e32 vcc, 0, v1
	v_cmp_eq_f32_e64 s[0:1], 0, v3
	s_and_b64 s[10:11], vcc, s[0:1]
	s_mov_b64 s[0:1], -1
	s_and_saveexec_b64 s[2:3], s[10:11]
; %bb.7:
	v_and_b32_e32 v1, 0x7fffffff, v5
	v_cmp_neq_f32_e32 vcc, 1.0, v4
	v_cmp_ne_u32_e64 s[0:1], 0, v1
	s_or_b64 s[0:1], vcc, s[0:1]
	s_orn2_b64 s[0:1], s[0:1], exec
; %bb.8:
	s_or_b64 exec, exec, s[2:3]
	s_and_saveexec_b64 s[2:3], s[0:1]
	s_cbranch_execz .LBB88_20
; %bb.9:
	v_lshl_or_b32 v1, s6, 8, v0
	v_lshrrev_b32_e32 v6, 1, v1
	v_mov_b32_e32 v7, 0
	v_cmp_gt_i64_e32 vcc, s[8:9], v[6:7]
	s_and_b64 exec, exec, vcc
	s_cbranch_execz .LBB88_20
; %bb.10:
	s_load_dword s2, s[4:5], 0x58
	s_load_dwordx4 s[16:19], s[4:5], 0x28
	s_load_dword s3, s[4:5], 0x0
	s_load_dwordx2 s[6:7], s[4:5], 0x48
	s_load_dwordx2 s[0:1], s[4:5], 0x38
	v_and_b32_e32 v1, 1, v0
	s_waitcnt lgkmcnt(0)
	s_lshl_b32 s21, s2, 7
	v_subrev_co_u32_e32 v22, vcc, s20, v1
	s_bitcmp1_b32 s3, 0
	v_subb_co_u32_e64 v23, s[2:3], 0, 0, vcc
	s_cselect_b64 s[4:5], -1, 0
	s_ashr_i32 s3, s20, 31
	s_mov_b32 s2, s20
	s_lshl_b64 s[2:3], s[2:3], 3
	s_sub_u32 s25, s0, s2
	v_cmp_eq_u32_e32 vcc, 1, v1
	v_and_b32_e32 v1, 0x7fffffff, v4
	s_subb_u32 s23, s1, s3
	v_cmp_ne_u32_e64 s[0:1], 0, v1
	v_cmp_neq_f32_e64 s[2:3], 0, v5
	s_or_b64 s[2:3], s[0:1], s[2:3]
	s_mov_b32 s24, 0
	s_add_u32 s26, s18, 4
	v_xor_b32_e32 v0, 0x80000000, v3
	v_xor_b32_e32 v8, 0x80000000, v5
	v_mov_b32_e32 v9, v4
	v_mov_b32_e32 v1, v2
	s_addc_u32 s27, s19, 0
	s_mov_b64 s[10:11], 0
	v_mov_b32_e32 v24, s13
	v_mov_b32_e32 v25, s15
	;; [unrolled: 1-line block ×4, first 2 shown]
	s_branch .LBB88_13
.LBB88_11:                              ;   in Loop: Header=BB88_13 Depth=1
	s_or_b64 exec, exec, s[0:1]
	global_store_dwordx2 v[10:11], v[12:13], off
.LBB88_12:                              ;   in Loop: Header=BB88_13 Depth=1
	s_or_b64 exec, exec, s[18:19]
	v_mov_b32_e32 v10, s24
	v_add_co_u32_e64 v6, s[0:1], s21, v6
	v_addc_co_u32_e64 v7, s[0:1], v7, v10, s[0:1]
	v_cmp_le_i64_e64 s[0:1], s[8:9], v[6:7]
	s_or_b64 s[10:11], s[0:1], s[10:11]
	s_andn2_b64 exec, exec, s[10:11]
	s_cbranch_execz .LBB88_20
.LBB88_13:                              ; =>This Loop Header: Depth=1
                                        ;     Child Loop BB88_15 Depth 2
	v_lshlrev_b64 v[10:11], 3, v[6:7]
	v_add_co_u32_e64 v12, s[0:1], s14, v10
	v_addc_co_u32_e64 v13, s[0:1], v25, v11, s[0:1]
	global_load_dwordx2 v[14:15], v[12:13], off
	v_add_co_u32_e64 v12, s[0:1], s12, v10
	v_addc_co_u32_e64 v13, s[0:1], v24, v11, s[0:1]
	global_load_dwordx2 v[16:17], v[12:13], off
	v_mov_b32_e32 v13, 0
	v_mov_b32_e32 v12, v13
	s_waitcnt vmcnt(1)
	v_subrev_co_u32_e64 v14, s[0:1], s20, v14
	v_subb_co_u32_e64 v15, s[0:1], v15, v26, s[0:1]
	s_waitcnt vmcnt(0)
	v_add_co_u32_e64 v16, s[0:1], v16, v22
	v_addc_co_u32_e64 v17, s[0:1], v17, v23, s[0:1]
	v_cmp_lt_i64_e64 s[0:1], v[16:17], v[14:15]
	s_and_saveexec_b64 s[18:19], s[0:1]
	s_cbranch_execz .LBB88_17
; %bb.14:                               ;   in Loop: Header=BB88_13 Depth=1
	v_lshlrev_b64 v[12:13], 3, v[16:17]
	v_mov_b32_e32 v19, s27
	v_add_co_u32_e64 v18, s[0:1], s26, v12
	v_addc_co_u32_e64 v19, s[0:1], v19, v13, s[0:1]
	v_mov_b32_e32 v21, s17
	v_add_co_u32_e64 v20, s[0:1], s16, v12
	v_mov_b32_e32 v12, 0
	v_addc_co_u32_e64 v21, s[0:1], v21, v13, s[0:1]
	s_mov_b64 s[22:23], 0
	v_mov_b32_e32 v13, v12
.LBB88_15:                              ;   Parent Loop BB88_13 Depth=1
                                        ; =>  This Inner Loop Header: Depth=2
	global_load_dwordx2 v[28:29], v[20:21], off
	global_load_dwordx2 v[30:31], v[18:19], off offset:-4
	s_waitcnt vmcnt(1)
	v_lshlrev_b64 v[28:29], 3, v[28:29]
	v_add_co_u32_e64 v28, s[0:1], s25, v28
	v_addc_co_u32_e64 v29, s[0:1], v27, v29, s[0:1]
	global_load_dwordx2 v[28:29], v[28:29], off
	v_add_co_u32_e64 v16, s[0:1], 2, v16
	v_addc_co_u32_e64 v17, s[0:1], 0, v17, s[0:1]
	v_add_co_u32_e64 v18, s[0:1], 16, v18
	v_addc_co_u32_e64 v19, s[0:1], 0, v19, s[0:1]
	s_waitcnt vmcnt(1)
	v_cndmask_b32_e64 v32, v31, -v31, s[4:5]
	v_add_co_u32_e64 v20, s[0:1], 16, v20
	v_pk_mul_f32 v[32:33], v[32:33], v[0:1] op_sel_hi:[0,1]
	v_addc_co_u32_e64 v21, s[0:1], 0, v21, s[0:1]
	v_pk_fma_f32 v[30:31], v[2:3], v[30:31], v[32:33] op_sel_hi:[1,0,1]
	v_cmp_ge_i64_e64 s[0:1], v[16:17], v[14:15]
	s_or_b64 s[22:23], s[0:1], s[22:23]
	s_waitcnt vmcnt(0)
	v_pk_fma_f32 v[12:13], v[30:31], v[28:29], v[12:13] op_sel_hi:[1,0,1]
	v_pk_fma_f32 v[12:13], v[30:31], v[28:29], v[12:13] op_sel:[1,1,0] op_sel_hi:[0,1,1] neg_lo:[1,0,0]
	s_andn2_b64 exec, exec, s[22:23]
	s_cbranch_execnz .LBB88_15
; %bb.16:                               ;   in Loop: Header=BB88_13 Depth=1
	s_or_b64 exec, exec, s[22:23]
.LBB88_17:                              ;   in Loop: Header=BB88_13 Depth=1
	s_or_b64 exec, exec, s[18:19]
	v_mov_b32_dpp v14, v12 row_shr:1 row_mask:0xf bank_mask:0xf
	v_mov_b32_dpp v15, v13 row_shr:1 row_mask:0xf bank_mask:0xf
	s_and_saveexec_b64 s[18:19], vcc
	s_cbranch_execz .LBB88_12
; %bb.18:                               ;   in Loop: Header=BB88_13 Depth=1
	v_pk_add_f32 v[12:13], v[12:13], v[14:15]
	v_mov_b32_e32 v14, s7
	v_add_co_u32_e64 v10, s[0:1], s6, v10
	v_addc_co_u32_e64 v11, s[0:1], v14, v11, s[0:1]
	s_and_saveexec_b64 s[0:1], s[2:3]
	s_cbranch_execz .LBB88_11
; %bb.19:                               ;   in Loop: Header=BB88_13 Depth=1
	global_load_dwordx2 v[14:15], v[10:11], off
	s_waitcnt vmcnt(0)
	v_pk_fma_f32 v[12:13], v[4:5], v[14:15], v[12:13] op_sel_hi:[1,0,1]
	v_pk_fma_f32 v[12:13], v[8:9], v[14:15], v[12:13] op_sel:[0,1,0]
	s_branch .LBB88_11
.LBB88_20:
	s_endpgm
.LBB88_21:
	v_pk_mov_b32 v[4:5], s[10:11], s[10:11] op_sel:[0,1]
	flat_load_dword v3, v[4:5] offset:4
	s_and_b64 vcc, exec, s[0:1]
	v_mov_b32_e32 v4, s2
	s_cbranch_vccnz .LBB88_4
.LBB88_22:
	v_pk_mov_b32 v[4:5], s[2:3], s[2:3] op_sel:[0,1]
	flat_load_dword v4, v[4:5]
	s_and_b64 vcc, exec, s[0:1]
	v_mov_b32_e32 v5, s3
	s_cbranch_vccz .LBB88_5
	s_branch .LBB88_6
	.section	.rodata,"a",@progbits
	.p2align	6, 0x0
	.amdhsa_kernel _ZN9rocsparseL21csrmvn_general_kernelILj256ELj2Ell21rocsparse_complex_numIfES2_S2_S2_EEvbT2_NS_24const_host_device_scalarIT6_EEPKT1_S9_PKS3_PKT3_PKT4_S6_PT5_21rocsparse_index_base_b
		.amdhsa_group_segment_fixed_size 0
		.amdhsa_private_segment_fixed_size 0
		.amdhsa_kernarg_size 344
		.amdhsa_user_sgpr_count 6
		.amdhsa_user_sgpr_private_segment_buffer 1
		.amdhsa_user_sgpr_dispatch_ptr 0
		.amdhsa_user_sgpr_queue_ptr 0
		.amdhsa_user_sgpr_kernarg_segment_ptr 1
		.amdhsa_user_sgpr_dispatch_id 0
		.amdhsa_user_sgpr_flat_scratch_init 0
		.amdhsa_user_sgpr_kernarg_preload_length 0
		.amdhsa_user_sgpr_kernarg_preload_offset 0
		.amdhsa_user_sgpr_private_segment_size 0
		.amdhsa_uses_dynamic_stack 0
		.amdhsa_system_sgpr_private_segment_wavefront_offset 0
		.amdhsa_system_sgpr_workgroup_id_x 1
		.amdhsa_system_sgpr_workgroup_id_y 0
		.amdhsa_system_sgpr_workgroup_id_z 0
		.amdhsa_system_sgpr_workgroup_info 0
		.amdhsa_system_vgpr_workitem_id 0
		.amdhsa_next_free_vgpr 34
		.amdhsa_next_free_sgpr 28
		.amdhsa_accum_offset 36
		.amdhsa_reserve_vcc 1
		.amdhsa_reserve_flat_scratch 0
		.amdhsa_float_round_mode_32 0
		.amdhsa_float_round_mode_16_64 0
		.amdhsa_float_denorm_mode_32 3
		.amdhsa_float_denorm_mode_16_64 3
		.amdhsa_dx10_clamp 1
		.amdhsa_ieee_mode 1
		.amdhsa_fp16_overflow 0
		.amdhsa_tg_split 0
		.amdhsa_exception_fp_ieee_invalid_op 0
		.amdhsa_exception_fp_denorm_src 0
		.amdhsa_exception_fp_ieee_div_zero 0
		.amdhsa_exception_fp_ieee_overflow 0
		.amdhsa_exception_fp_ieee_underflow 0
		.amdhsa_exception_fp_ieee_inexact 0
		.amdhsa_exception_int_div_zero 0
	.end_amdhsa_kernel
	.section	.text._ZN9rocsparseL21csrmvn_general_kernelILj256ELj2Ell21rocsparse_complex_numIfES2_S2_S2_EEvbT2_NS_24const_host_device_scalarIT6_EEPKT1_S9_PKS3_PKT3_PKT4_S6_PT5_21rocsparse_index_base_b,"axG",@progbits,_ZN9rocsparseL21csrmvn_general_kernelILj256ELj2Ell21rocsparse_complex_numIfES2_S2_S2_EEvbT2_NS_24const_host_device_scalarIT6_EEPKT1_S9_PKS3_PKT3_PKT4_S6_PT5_21rocsparse_index_base_b,comdat
.Lfunc_end88:
	.size	_ZN9rocsparseL21csrmvn_general_kernelILj256ELj2Ell21rocsparse_complex_numIfES2_S2_S2_EEvbT2_NS_24const_host_device_scalarIT6_EEPKT1_S9_PKS3_PKT3_PKT4_S6_PT5_21rocsparse_index_base_b, .Lfunc_end88-_ZN9rocsparseL21csrmvn_general_kernelILj256ELj2Ell21rocsparse_complex_numIfES2_S2_S2_EEvbT2_NS_24const_host_device_scalarIT6_EEPKT1_S9_PKS3_PKT3_PKT4_S6_PT5_21rocsparse_index_base_b
                                        ; -- End function
	.section	.AMDGPU.csdata,"",@progbits
; Kernel info:
; codeLenInByte = 992
; NumSgprs: 32
; NumVgprs: 34
; NumAgprs: 0
; TotalNumVgprs: 34
; ScratchSize: 0
; MemoryBound: 0
; FloatMode: 240
; IeeeMode: 1
; LDSByteSize: 0 bytes/workgroup (compile time only)
; SGPRBlocks: 3
; VGPRBlocks: 4
; NumSGPRsForWavesPerEU: 32
; NumVGPRsForWavesPerEU: 34
; AccumOffset: 36
; Occupancy: 8
; WaveLimiterHint : 1
; COMPUTE_PGM_RSRC2:SCRATCH_EN: 0
; COMPUTE_PGM_RSRC2:USER_SGPR: 6
; COMPUTE_PGM_RSRC2:TRAP_HANDLER: 0
; COMPUTE_PGM_RSRC2:TGID_X_EN: 1
; COMPUTE_PGM_RSRC2:TGID_Y_EN: 0
; COMPUTE_PGM_RSRC2:TGID_Z_EN: 0
; COMPUTE_PGM_RSRC2:TIDIG_COMP_CNT: 0
; COMPUTE_PGM_RSRC3_GFX90A:ACCUM_OFFSET: 8
; COMPUTE_PGM_RSRC3_GFX90A:TG_SPLIT: 0
	.section	.text._ZN9rocsparseL21csrmvn_general_kernelILj256ELj4Ell21rocsparse_complex_numIfES2_S2_S2_EEvbT2_NS_24const_host_device_scalarIT6_EEPKT1_S9_PKS3_PKT3_PKT4_S6_PT5_21rocsparse_index_base_b,"axG",@progbits,_ZN9rocsparseL21csrmvn_general_kernelILj256ELj4Ell21rocsparse_complex_numIfES2_S2_S2_EEvbT2_NS_24const_host_device_scalarIT6_EEPKT1_S9_PKS3_PKT3_PKT4_S6_PT5_21rocsparse_index_base_b,comdat
	.globl	_ZN9rocsparseL21csrmvn_general_kernelILj256ELj4Ell21rocsparse_complex_numIfES2_S2_S2_EEvbT2_NS_24const_host_device_scalarIT6_EEPKT1_S9_PKS3_PKT3_PKT4_S6_PT5_21rocsparse_index_base_b ; -- Begin function _ZN9rocsparseL21csrmvn_general_kernelILj256ELj4Ell21rocsparse_complex_numIfES2_S2_S2_EEvbT2_NS_24const_host_device_scalarIT6_EEPKT1_S9_PKS3_PKT3_PKT4_S6_PT5_21rocsparse_index_base_b
	.p2align	8
	.type	_ZN9rocsparseL21csrmvn_general_kernelILj256ELj4Ell21rocsparse_complex_numIfES2_S2_S2_EEvbT2_NS_24const_host_device_scalarIT6_EEPKT1_S9_PKS3_PKT3_PKT4_S6_PT5_21rocsparse_index_base_b,@function
_ZN9rocsparseL21csrmvn_general_kernelILj256ELj4Ell21rocsparse_complex_numIfES2_S2_S2_EEvbT2_NS_24const_host_device_scalarIT6_EEPKT1_S9_PKS3_PKT3_PKT4_S6_PT5_21rocsparse_index_base_b: ; @_ZN9rocsparseL21csrmvn_general_kernelILj256ELj4Ell21rocsparse_complex_numIfES2_S2_S2_EEvbT2_NS_24const_host_device_scalarIT6_EEPKT1_S9_PKS3_PKT3_PKT4_S6_PT5_21rocsparse_index_base_b
; %bb.0:
	s_load_dwordx2 s[20:21], s[4:5], 0x50
	s_load_dwordx2 s[2:3], s[4:5], 0x40
	s_load_dwordx8 s[8:15], s[4:5], 0x8
	s_waitcnt lgkmcnt(0)
	s_bitcmp1_b32 s21, 0
	s_cselect_b64 s[0:1], -1, 0
	s_xor_b64 s[16:17], s[0:1], -1
	s_and_b64 vcc, exec, s[0:1]
	v_mov_b32_e32 v2, s10
	s_cbranch_vccnz .LBB89_2
; %bb.1:
	v_pk_mov_b32 v[2:3], s[10:11], s[10:11] op_sel:[0,1]
	flat_load_dword v2, v[2:3]
.LBB89_2:
	v_cndmask_b32_e64 v1, 0, 1, s[16:17]
	v_cmp_ne_u32_e64 s[0:1], 1, v1
	s_andn2_b64 vcc, exec, s[16:17]
	v_mov_b32_e32 v3, s11
	s_cbranch_vccz .LBB89_21
; %bb.3:
	s_and_b64 vcc, exec, s[0:1]
	v_mov_b32_e32 v4, s2
	s_cbranch_vccz .LBB89_22
.LBB89_4:
	s_and_b64 vcc, exec, s[0:1]
	v_mov_b32_e32 v5, s3
	s_cbranch_vccnz .LBB89_6
.LBB89_5:
	v_pk_mov_b32 v[6:7], s[2:3], s[2:3] op_sel:[0,1]
	flat_load_dword v5, v[6:7] offset:4
.LBB89_6:
	s_waitcnt vmcnt(0) lgkmcnt(0)
	v_and_b32_e32 v1, 0x7fffffff, v2
	v_cmp_eq_u32_e32 vcc, 0, v1
	v_cmp_eq_f32_e64 s[0:1], 0, v3
	s_and_b64 s[10:11], vcc, s[0:1]
	s_mov_b64 s[0:1], -1
	s_and_saveexec_b64 s[2:3], s[10:11]
; %bb.7:
	v_and_b32_e32 v1, 0x7fffffff, v5
	v_cmp_neq_f32_e32 vcc, 1.0, v4
	v_cmp_ne_u32_e64 s[0:1], 0, v1
	s_or_b64 s[0:1], vcc, s[0:1]
	s_orn2_b64 s[0:1], s[0:1], exec
; %bb.8:
	s_or_b64 exec, exec, s[2:3]
	s_and_saveexec_b64 s[2:3], s[0:1]
	s_cbranch_execz .LBB89_20
; %bb.9:
	v_lshl_or_b32 v1, s6, 8, v0
	v_lshrrev_b32_e32 v6, 2, v1
	v_mov_b32_e32 v7, 0
	v_cmp_gt_i64_e32 vcc, s[8:9], v[6:7]
	s_and_b64 exec, exec, vcc
	s_cbranch_execz .LBB89_20
; %bb.10:
	s_load_dword s2, s[4:5], 0x58
	s_load_dwordx4 s[16:19], s[4:5], 0x28
	s_load_dword s3, s[4:5], 0x0
	s_load_dwordx2 s[6:7], s[4:5], 0x48
	s_load_dwordx2 s[0:1], s[4:5], 0x38
	v_and_b32_e32 v1, 3, v0
	s_waitcnt lgkmcnt(0)
	s_lshl_b32 s21, s2, 6
	v_subrev_co_u32_e32 v22, vcc, s20, v1
	s_bitcmp1_b32 s3, 0
	v_subb_co_u32_e64 v23, s[2:3], 0, 0, vcc
	s_cselect_b64 s[4:5], -1, 0
	s_ashr_i32 s3, s20, 31
	s_mov_b32 s2, s20
	s_lshl_b64 s[2:3], s[2:3], 3
	s_sub_u32 s25, s0, s2
	v_cmp_eq_u32_e32 vcc, 3, v1
	v_and_b32_e32 v1, 0x7fffffff, v4
	s_subb_u32 s23, s1, s3
	v_cmp_ne_u32_e64 s[0:1], 0, v1
	v_cmp_neq_f32_e64 s[2:3], 0, v5
	s_or_b64 s[2:3], s[0:1], s[2:3]
	s_mov_b32 s24, 0
	s_add_u32 s26, s18, 4
	v_xor_b32_e32 v0, 0x80000000, v3
	v_xor_b32_e32 v8, 0x80000000, v5
	v_mov_b32_e32 v9, v4
	v_mov_b32_e32 v1, v2
	s_addc_u32 s27, s19, 0
	s_mov_b64 s[10:11], 0
	v_mov_b32_e32 v24, s13
	v_mov_b32_e32 v25, s15
	;; [unrolled: 1-line block ×4, first 2 shown]
	s_branch .LBB89_13
.LBB89_11:                              ;   in Loop: Header=BB89_13 Depth=1
	s_or_b64 exec, exec, s[0:1]
	global_store_dwordx2 v[10:11], v[12:13], off
.LBB89_12:                              ;   in Loop: Header=BB89_13 Depth=1
	s_or_b64 exec, exec, s[18:19]
	v_mov_b32_e32 v10, s24
	v_add_co_u32_e64 v6, s[0:1], s21, v6
	v_addc_co_u32_e64 v7, s[0:1], v7, v10, s[0:1]
	v_cmp_le_i64_e64 s[0:1], s[8:9], v[6:7]
	s_or_b64 s[10:11], s[0:1], s[10:11]
	s_andn2_b64 exec, exec, s[10:11]
	s_cbranch_execz .LBB89_20
.LBB89_13:                              ; =>This Loop Header: Depth=1
                                        ;     Child Loop BB89_15 Depth 2
	v_lshlrev_b64 v[10:11], 3, v[6:7]
	v_add_co_u32_e64 v12, s[0:1], s14, v10
	v_addc_co_u32_e64 v13, s[0:1], v25, v11, s[0:1]
	global_load_dwordx2 v[14:15], v[12:13], off
	v_add_co_u32_e64 v12, s[0:1], s12, v10
	v_addc_co_u32_e64 v13, s[0:1], v24, v11, s[0:1]
	global_load_dwordx2 v[16:17], v[12:13], off
	v_mov_b32_e32 v13, 0
	v_mov_b32_e32 v12, v13
	s_waitcnt vmcnt(1)
	v_subrev_co_u32_e64 v14, s[0:1], s20, v14
	v_subb_co_u32_e64 v15, s[0:1], v15, v26, s[0:1]
	s_waitcnt vmcnt(0)
	v_add_co_u32_e64 v16, s[0:1], v16, v22
	v_addc_co_u32_e64 v17, s[0:1], v17, v23, s[0:1]
	v_cmp_lt_i64_e64 s[0:1], v[16:17], v[14:15]
	s_and_saveexec_b64 s[18:19], s[0:1]
	s_cbranch_execz .LBB89_17
; %bb.14:                               ;   in Loop: Header=BB89_13 Depth=1
	v_lshlrev_b64 v[12:13], 3, v[16:17]
	v_mov_b32_e32 v19, s27
	v_add_co_u32_e64 v18, s[0:1], s26, v12
	v_addc_co_u32_e64 v19, s[0:1], v19, v13, s[0:1]
	v_mov_b32_e32 v21, s17
	v_add_co_u32_e64 v20, s[0:1], s16, v12
	v_mov_b32_e32 v12, 0
	v_addc_co_u32_e64 v21, s[0:1], v21, v13, s[0:1]
	s_mov_b64 s[22:23], 0
	v_mov_b32_e32 v13, v12
.LBB89_15:                              ;   Parent Loop BB89_13 Depth=1
                                        ; =>  This Inner Loop Header: Depth=2
	global_load_dwordx2 v[28:29], v[20:21], off
	global_load_dwordx2 v[30:31], v[18:19], off offset:-4
	s_waitcnt vmcnt(1)
	v_lshlrev_b64 v[28:29], 3, v[28:29]
	v_add_co_u32_e64 v28, s[0:1], s25, v28
	v_addc_co_u32_e64 v29, s[0:1], v27, v29, s[0:1]
	global_load_dwordx2 v[28:29], v[28:29], off
	v_add_co_u32_e64 v16, s[0:1], 4, v16
	v_addc_co_u32_e64 v17, s[0:1], 0, v17, s[0:1]
	v_add_co_u32_e64 v18, s[0:1], 32, v18
	v_addc_co_u32_e64 v19, s[0:1], 0, v19, s[0:1]
	s_waitcnt vmcnt(1)
	v_cndmask_b32_e64 v32, v31, -v31, s[4:5]
	v_add_co_u32_e64 v20, s[0:1], 32, v20
	v_pk_mul_f32 v[32:33], v[32:33], v[0:1] op_sel_hi:[0,1]
	v_addc_co_u32_e64 v21, s[0:1], 0, v21, s[0:1]
	v_pk_fma_f32 v[30:31], v[2:3], v[30:31], v[32:33] op_sel_hi:[1,0,1]
	v_cmp_ge_i64_e64 s[0:1], v[16:17], v[14:15]
	s_or_b64 s[22:23], s[0:1], s[22:23]
	s_waitcnt vmcnt(0)
	v_pk_fma_f32 v[12:13], v[30:31], v[28:29], v[12:13] op_sel_hi:[1,0,1]
	v_pk_fma_f32 v[12:13], v[30:31], v[28:29], v[12:13] op_sel:[1,1,0] op_sel_hi:[0,1,1] neg_lo:[1,0,0]
	s_andn2_b64 exec, exec, s[22:23]
	s_cbranch_execnz .LBB89_15
; %bb.16:                               ;   in Loop: Header=BB89_13 Depth=1
	s_or_b64 exec, exec, s[22:23]
.LBB89_17:                              ;   in Loop: Header=BB89_13 Depth=1
	s_or_b64 exec, exec, s[18:19]
	v_mov_b32_dpp v14, v12 row_shr:1 row_mask:0xf bank_mask:0xf
	v_mov_b32_dpp v15, v13 row_shr:1 row_mask:0xf bank_mask:0xf
	v_pk_add_f32 v[12:13], v[12:13], v[14:15]
	s_nop 1
	v_mov_b32_dpp v14, v12 row_shr:2 row_mask:0xf bank_mask:0xf
	v_mov_b32_dpp v15, v13 row_shr:2 row_mask:0xf bank_mask:0xf
	s_and_saveexec_b64 s[18:19], vcc
	s_cbranch_execz .LBB89_12
; %bb.18:                               ;   in Loop: Header=BB89_13 Depth=1
	v_pk_add_f32 v[12:13], v[12:13], v[14:15]
	v_mov_b32_e32 v14, s7
	v_add_co_u32_e64 v10, s[0:1], s6, v10
	v_addc_co_u32_e64 v11, s[0:1], v14, v11, s[0:1]
	s_and_saveexec_b64 s[0:1], s[2:3]
	s_cbranch_execz .LBB89_11
; %bb.19:                               ;   in Loop: Header=BB89_13 Depth=1
	global_load_dwordx2 v[14:15], v[10:11], off
	s_waitcnt vmcnt(0)
	v_pk_fma_f32 v[12:13], v[4:5], v[14:15], v[12:13] op_sel_hi:[1,0,1]
	v_pk_fma_f32 v[12:13], v[8:9], v[14:15], v[12:13] op_sel:[0,1,0]
	s_branch .LBB89_11
.LBB89_20:
	s_endpgm
.LBB89_21:
	v_pk_mov_b32 v[4:5], s[10:11], s[10:11] op_sel:[0,1]
	flat_load_dword v3, v[4:5] offset:4
	s_and_b64 vcc, exec, s[0:1]
	v_mov_b32_e32 v4, s2
	s_cbranch_vccnz .LBB89_4
.LBB89_22:
	v_pk_mov_b32 v[4:5], s[2:3], s[2:3] op_sel:[0,1]
	flat_load_dword v4, v[4:5]
	s_and_b64 vcc, exec, s[0:1]
	v_mov_b32_e32 v5, s3
	s_cbranch_vccz .LBB89_5
	s_branch .LBB89_6
	.section	.rodata,"a",@progbits
	.p2align	6, 0x0
	.amdhsa_kernel _ZN9rocsparseL21csrmvn_general_kernelILj256ELj4Ell21rocsparse_complex_numIfES2_S2_S2_EEvbT2_NS_24const_host_device_scalarIT6_EEPKT1_S9_PKS3_PKT3_PKT4_S6_PT5_21rocsparse_index_base_b
		.amdhsa_group_segment_fixed_size 0
		.amdhsa_private_segment_fixed_size 0
		.amdhsa_kernarg_size 344
		.amdhsa_user_sgpr_count 6
		.amdhsa_user_sgpr_private_segment_buffer 1
		.amdhsa_user_sgpr_dispatch_ptr 0
		.amdhsa_user_sgpr_queue_ptr 0
		.amdhsa_user_sgpr_kernarg_segment_ptr 1
		.amdhsa_user_sgpr_dispatch_id 0
		.amdhsa_user_sgpr_flat_scratch_init 0
		.amdhsa_user_sgpr_kernarg_preload_length 0
		.amdhsa_user_sgpr_kernarg_preload_offset 0
		.amdhsa_user_sgpr_private_segment_size 0
		.amdhsa_uses_dynamic_stack 0
		.amdhsa_system_sgpr_private_segment_wavefront_offset 0
		.amdhsa_system_sgpr_workgroup_id_x 1
		.amdhsa_system_sgpr_workgroup_id_y 0
		.amdhsa_system_sgpr_workgroup_id_z 0
		.amdhsa_system_sgpr_workgroup_info 0
		.amdhsa_system_vgpr_workitem_id 0
		.amdhsa_next_free_vgpr 34
		.amdhsa_next_free_sgpr 28
		.amdhsa_accum_offset 36
		.amdhsa_reserve_vcc 1
		.amdhsa_reserve_flat_scratch 0
		.amdhsa_float_round_mode_32 0
		.amdhsa_float_round_mode_16_64 0
		.amdhsa_float_denorm_mode_32 3
		.amdhsa_float_denorm_mode_16_64 3
		.amdhsa_dx10_clamp 1
		.amdhsa_ieee_mode 1
		.amdhsa_fp16_overflow 0
		.amdhsa_tg_split 0
		.amdhsa_exception_fp_ieee_invalid_op 0
		.amdhsa_exception_fp_denorm_src 0
		.amdhsa_exception_fp_ieee_div_zero 0
		.amdhsa_exception_fp_ieee_overflow 0
		.amdhsa_exception_fp_ieee_underflow 0
		.amdhsa_exception_fp_ieee_inexact 0
		.amdhsa_exception_int_div_zero 0
	.end_amdhsa_kernel
	.section	.text._ZN9rocsparseL21csrmvn_general_kernelILj256ELj4Ell21rocsparse_complex_numIfES2_S2_S2_EEvbT2_NS_24const_host_device_scalarIT6_EEPKT1_S9_PKS3_PKT3_PKT4_S6_PT5_21rocsparse_index_base_b,"axG",@progbits,_ZN9rocsparseL21csrmvn_general_kernelILj256ELj4Ell21rocsparse_complex_numIfES2_S2_S2_EEvbT2_NS_24const_host_device_scalarIT6_EEPKT1_S9_PKS3_PKT3_PKT4_S6_PT5_21rocsparse_index_base_b,comdat
.Lfunc_end89:
	.size	_ZN9rocsparseL21csrmvn_general_kernelILj256ELj4Ell21rocsparse_complex_numIfES2_S2_S2_EEvbT2_NS_24const_host_device_scalarIT6_EEPKT1_S9_PKS3_PKT3_PKT4_S6_PT5_21rocsparse_index_base_b, .Lfunc_end89-_ZN9rocsparseL21csrmvn_general_kernelILj256ELj4Ell21rocsparse_complex_numIfES2_S2_S2_EEvbT2_NS_24const_host_device_scalarIT6_EEPKT1_S9_PKS3_PKT3_PKT4_S6_PT5_21rocsparse_index_base_b
                                        ; -- End function
	.section	.AMDGPU.csdata,"",@progbits
; Kernel info:
; codeLenInByte = 1020
; NumSgprs: 32
; NumVgprs: 34
; NumAgprs: 0
; TotalNumVgprs: 34
; ScratchSize: 0
; MemoryBound: 0
; FloatMode: 240
; IeeeMode: 1
; LDSByteSize: 0 bytes/workgroup (compile time only)
; SGPRBlocks: 3
; VGPRBlocks: 4
; NumSGPRsForWavesPerEU: 32
; NumVGPRsForWavesPerEU: 34
; AccumOffset: 36
; Occupancy: 8
; WaveLimiterHint : 1
; COMPUTE_PGM_RSRC2:SCRATCH_EN: 0
; COMPUTE_PGM_RSRC2:USER_SGPR: 6
; COMPUTE_PGM_RSRC2:TRAP_HANDLER: 0
; COMPUTE_PGM_RSRC2:TGID_X_EN: 1
; COMPUTE_PGM_RSRC2:TGID_Y_EN: 0
; COMPUTE_PGM_RSRC2:TGID_Z_EN: 0
; COMPUTE_PGM_RSRC2:TIDIG_COMP_CNT: 0
; COMPUTE_PGM_RSRC3_GFX90A:ACCUM_OFFSET: 8
; COMPUTE_PGM_RSRC3_GFX90A:TG_SPLIT: 0
	.section	.text._ZN9rocsparseL21csrmvn_general_kernelILj256ELj8Ell21rocsparse_complex_numIfES2_S2_S2_EEvbT2_NS_24const_host_device_scalarIT6_EEPKT1_S9_PKS3_PKT3_PKT4_S6_PT5_21rocsparse_index_base_b,"axG",@progbits,_ZN9rocsparseL21csrmvn_general_kernelILj256ELj8Ell21rocsparse_complex_numIfES2_S2_S2_EEvbT2_NS_24const_host_device_scalarIT6_EEPKT1_S9_PKS3_PKT3_PKT4_S6_PT5_21rocsparse_index_base_b,comdat
	.globl	_ZN9rocsparseL21csrmvn_general_kernelILj256ELj8Ell21rocsparse_complex_numIfES2_S2_S2_EEvbT2_NS_24const_host_device_scalarIT6_EEPKT1_S9_PKS3_PKT3_PKT4_S6_PT5_21rocsparse_index_base_b ; -- Begin function _ZN9rocsparseL21csrmvn_general_kernelILj256ELj8Ell21rocsparse_complex_numIfES2_S2_S2_EEvbT2_NS_24const_host_device_scalarIT6_EEPKT1_S9_PKS3_PKT3_PKT4_S6_PT5_21rocsparse_index_base_b
	.p2align	8
	.type	_ZN9rocsparseL21csrmvn_general_kernelILj256ELj8Ell21rocsparse_complex_numIfES2_S2_S2_EEvbT2_NS_24const_host_device_scalarIT6_EEPKT1_S9_PKS3_PKT3_PKT4_S6_PT5_21rocsparse_index_base_b,@function
_ZN9rocsparseL21csrmvn_general_kernelILj256ELj8Ell21rocsparse_complex_numIfES2_S2_S2_EEvbT2_NS_24const_host_device_scalarIT6_EEPKT1_S9_PKS3_PKT3_PKT4_S6_PT5_21rocsparse_index_base_b: ; @_ZN9rocsparseL21csrmvn_general_kernelILj256ELj8Ell21rocsparse_complex_numIfES2_S2_S2_EEvbT2_NS_24const_host_device_scalarIT6_EEPKT1_S9_PKS3_PKT3_PKT4_S6_PT5_21rocsparse_index_base_b
; %bb.0:
	s_load_dwordx2 s[20:21], s[4:5], 0x50
	s_load_dwordx2 s[2:3], s[4:5], 0x40
	s_load_dwordx8 s[8:15], s[4:5], 0x8
	s_waitcnt lgkmcnt(0)
	s_bitcmp1_b32 s21, 0
	s_cselect_b64 s[0:1], -1, 0
	s_xor_b64 s[16:17], s[0:1], -1
	s_and_b64 vcc, exec, s[0:1]
	v_mov_b32_e32 v2, s10
	s_cbranch_vccnz .LBB90_2
; %bb.1:
	v_pk_mov_b32 v[2:3], s[10:11], s[10:11] op_sel:[0,1]
	flat_load_dword v2, v[2:3]
.LBB90_2:
	v_cndmask_b32_e64 v1, 0, 1, s[16:17]
	v_cmp_ne_u32_e64 s[0:1], 1, v1
	s_andn2_b64 vcc, exec, s[16:17]
	v_mov_b32_e32 v3, s11
	s_cbranch_vccz .LBB90_21
; %bb.3:
	s_and_b64 vcc, exec, s[0:1]
	v_mov_b32_e32 v4, s2
	s_cbranch_vccz .LBB90_22
.LBB90_4:
	s_and_b64 vcc, exec, s[0:1]
	v_mov_b32_e32 v5, s3
	s_cbranch_vccnz .LBB90_6
.LBB90_5:
	v_pk_mov_b32 v[6:7], s[2:3], s[2:3] op_sel:[0,1]
	flat_load_dword v5, v[6:7] offset:4
.LBB90_6:
	s_waitcnt vmcnt(0) lgkmcnt(0)
	v_and_b32_e32 v1, 0x7fffffff, v2
	v_cmp_eq_u32_e32 vcc, 0, v1
	v_cmp_eq_f32_e64 s[0:1], 0, v3
	s_and_b64 s[10:11], vcc, s[0:1]
	s_mov_b64 s[0:1], -1
	s_and_saveexec_b64 s[2:3], s[10:11]
; %bb.7:
	v_and_b32_e32 v1, 0x7fffffff, v5
	v_cmp_neq_f32_e32 vcc, 1.0, v4
	v_cmp_ne_u32_e64 s[0:1], 0, v1
	s_or_b64 s[0:1], vcc, s[0:1]
	s_orn2_b64 s[0:1], s[0:1], exec
; %bb.8:
	s_or_b64 exec, exec, s[2:3]
	s_and_saveexec_b64 s[2:3], s[0:1]
	s_cbranch_execz .LBB90_20
; %bb.9:
	v_lshl_or_b32 v1, s6, 8, v0
	v_lshrrev_b32_e32 v6, 3, v1
	v_mov_b32_e32 v7, 0
	v_cmp_gt_i64_e32 vcc, s[8:9], v[6:7]
	s_and_b64 exec, exec, vcc
	s_cbranch_execz .LBB90_20
; %bb.10:
	s_load_dword s2, s[4:5], 0x58
	s_load_dwordx4 s[16:19], s[4:5], 0x28
	s_load_dword s3, s[4:5], 0x0
	s_load_dwordx2 s[6:7], s[4:5], 0x48
	s_load_dwordx2 s[0:1], s[4:5], 0x38
	v_and_b32_e32 v1, 7, v0
	s_waitcnt lgkmcnt(0)
	s_lshl_b32 s21, s2, 5
	v_subrev_co_u32_e32 v22, vcc, s20, v1
	s_bitcmp1_b32 s3, 0
	v_subb_co_u32_e64 v23, s[2:3], 0, 0, vcc
	s_cselect_b64 s[4:5], -1, 0
	s_ashr_i32 s3, s20, 31
	s_mov_b32 s2, s20
	s_lshl_b64 s[2:3], s[2:3], 3
	s_sub_u32 s25, s0, s2
	v_cmp_eq_u32_e32 vcc, 7, v1
	v_and_b32_e32 v1, 0x7fffffff, v4
	s_subb_u32 s23, s1, s3
	v_cmp_ne_u32_e64 s[0:1], 0, v1
	v_cmp_neq_f32_e64 s[2:3], 0, v5
	s_or_b64 s[2:3], s[0:1], s[2:3]
	s_mov_b32 s24, 0
	s_add_u32 s26, s18, 4
	v_xor_b32_e32 v0, 0x80000000, v3
	v_xor_b32_e32 v8, 0x80000000, v5
	v_mov_b32_e32 v9, v4
	v_mov_b32_e32 v1, v2
	s_addc_u32 s27, s19, 0
	s_mov_b64 s[10:11], 0
	v_mov_b32_e32 v24, s13
	v_mov_b32_e32 v25, s15
	;; [unrolled: 1-line block ×4, first 2 shown]
	s_branch .LBB90_13
.LBB90_11:                              ;   in Loop: Header=BB90_13 Depth=1
	s_or_b64 exec, exec, s[0:1]
	global_store_dwordx2 v[10:11], v[12:13], off
.LBB90_12:                              ;   in Loop: Header=BB90_13 Depth=1
	s_or_b64 exec, exec, s[18:19]
	v_mov_b32_e32 v10, s24
	v_add_co_u32_e64 v6, s[0:1], s21, v6
	v_addc_co_u32_e64 v7, s[0:1], v7, v10, s[0:1]
	v_cmp_le_i64_e64 s[0:1], s[8:9], v[6:7]
	s_or_b64 s[10:11], s[0:1], s[10:11]
	s_andn2_b64 exec, exec, s[10:11]
	s_cbranch_execz .LBB90_20
.LBB90_13:                              ; =>This Loop Header: Depth=1
                                        ;     Child Loop BB90_15 Depth 2
	v_lshlrev_b64 v[10:11], 3, v[6:7]
	v_add_co_u32_e64 v12, s[0:1], s14, v10
	v_addc_co_u32_e64 v13, s[0:1], v25, v11, s[0:1]
	global_load_dwordx2 v[14:15], v[12:13], off
	v_add_co_u32_e64 v12, s[0:1], s12, v10
	v_addc_co_u32_e64 v13, s[0:1], v24, v11, s[0:1]
	global_load_dwordx2 v[16:17], v[12:13], off
	v_mov_b32_e32 v13, 0
	v_mov_b32_e32 v12, v13
	s_waitcnt vmcnt(1)
	v_subrev_co_u32_e64 v14, s[0:1], s20, v14
	v_subb_co_u32_e64 v15, s[0:1], v15, v26, s[0:1]
	s_waitcnt vmcnt(0)
	v_add_co_u32_e64 v16, s[0:1], v16, v22
	v_addc_co_u32_e64 v17, s[0:1], v17, v23, s[0:1]
	v_cmp_lt_i64_e64 s[0:1], v[16:17], v[14:15]
	s_and_saveexec_b64 s[18:19], s[0:1]
	s_cbranch_execz .LBB90_17
; %bb.14:                               ;   in Loop: Header=BB90_13 Depth=1
	v_lshlrev_b64 v[12:13], 3, v[16:17]
	v_mov_b32_e32 v19, s27
	v_add_co_u32_e64 v18, s[0:1], s26, v12
	v_addc_co_u32_e64 v19, s[0:1], v19, v13, s[0:1]
	v_mov_b32_e32 v21, s17
	v_add_co_u32_e64 v20, s[0:1], s16, v12
	v_mov_b32_e32 v12, 0
	v_addc_co_u32_e64 v21, s[0:1], v21, v13, s[0:1]
	s_mov_b64 s[22:23], 0
	v_mov_b32_e32 v13, v12
.LBB90_15:                              ;   Parent Loop BB90_13 Depth=1
                                        ; =>  This Inner Loop Header: Depth=2
	global_load_dwordx2 v[28:29], v[20:21], off
	global_load_dwordx2 v[30:31], v[18:19], off offset:-4
	s_waitcnt vmcnt(1)
	v_lshlrev_b64 v[28:29], 3, v[28:29]
	v_add_co_u32_e64 v28, s[0:1], s25, v28
	v_addc_co_u32_e64 v29, s[0:1], v27, v29, s[0:1]
	global_load_dwordx2 v[28:29], v[28:29], off
	v_add_co_u32_e64 v16, s[0:1], 8, v16
	v_addc_co_u32_e64 v17, s[0:1], 0, v17, s[0:1]
	v_add_co_u32_e64 v18, s[0:1], 64, v18
	v_addc_co_u32_e64 v19, s[0:1], 0, v19, s[0:1]
	s_waitcnt vmcnt(1)
	v_cndmask_b32_e64 v32, v31, -v31, s[4:5]
	v_add_co_u32_e64 v20, s[0:1], 64, v20
	v_pk_mul_f32 v[32:33], v[32:33], v[0:1] op_sel_hi:[0,1]
	v_addc_co_u32_e64 v21, s[0:1], 0, v21, s[0:1]
	v_pk_fma_f32 v[30:31], v[2:3], v[30:31], v[32:33] op_sel_hi:[1,0,1]
	v_cmp_ge_i64_e64 s[0:1], v[16:17], v[14:15]
	s_or_b64 s[22:23], s[0:1], s[22:23]
	s_waitcnt vmcnt(0)
	v_pk_fma_f32 v[12:13], v[30:31], v[28:29], v[12:13] op_sel_hi:[1,0,1]
	v_pk_fma_f32 v[12:13], v[30:31], v[28:29], v[12:13] op_sel:[1,1,0] op_sel_hi:[0,1,1] neg_lo:[1,0,0]
	s_andn2_b64 exec, exec, s[22:23]
	s_cbranch_execnz .LBB90_15
; %bb.16:                               ;   in Loop: Header=BB90_13 Depth=1
	s_or_b64 exec, exec, s[22:23]
.LBB90_17:                              ;   in Loop: Header=BB90_13 Depth=1
	s_or_b64 exec, exec, s[18:19]
	v_mov_b32_dpp v14, v12 row_shr:1 row_mask:0xf bank_mask:0xf
	v_mov_b32_dpp v15, v13 row_shr:1 row_mask:0xf bank_mask:0xf
	v_pk_add_f32 v[12:13], v[12:13], v[14:15]
	s_nop 1
	v_mov_b32_dpp v14, v12 row_shr:2 row_mask:0xf bank_mask:0xf
	v_mov_b32_dpp v15, v13 row_shr:2 row_mask:0xf bank_mask:0xf
	v_pk_add_f32 v[12:13], v[12:13], v[14:15]
	s_nop 1
	v_mov_b32_dpp v14, v12 row_shr:4 row_mask:0xf bank_mask:0xe
	v_mov_b32_dpp v15, v13 row_shr:4 row_mask:0xf bank_mask:0xe
	s_and_saveexec_b64 s[18:19], vcc
	s_cbranch_execz .LBB90_12
; %bb.18:                               ;   in Loop: Header=BB90_13 Depth=1
	v_pk_add_f32 v[12:13], v[12:13], v[14:15]
	v_mov_b32_e32 v14, s7
	v_add_co_u32_e64 v10, s[0:1], s6, v10
	v_addc_co_u32_e64 v11, s[0:1], v14, v11, s[0:1]
	s_and_saveexec_b64 s[0:1], s[2:3]
	s_cbranch_execz .LBB90_11
; %bb.19:                               ;   in Loop: Header=BB90_13 Depth=1
	global_load_dwordx2 v[14:15], v[10:11], off
	s_waitcnt vmcnt(0)
	v_pk_fma_f32 v[12:13], v[4:5], v[14:15], v[12:13] op_sel_hi:[1,0,1]
	v_pk_fma_f32 v[12:13], v[8:9], v[14:15], v[12:13] op_sel:[0,1,0]
	s_branch .LBB90_11
.LBB90_20:
	s_endpgm
.LBB90_21:
	v_pk_mov_b32 v[4:5], s[10:11], s[10:11] op_sel:[0,1]
	flat_load_dword v3, v[4:5] offset:4
	s_and_b64 vcc, exec, s[0:1]
	v_mov_b32_e32 v4, s2
	s_cbranch_vccnz .LBB90_4
.LBB90_22:
	v_pk_mov_b32 v[4:5], s[2:3], s[2:3] op_sel:[0,1]
	flat_load_dword v4, v[4:5]
	s_and_b64 vcc, exec, s[0:1]
	v_mov_b32_e32 v5, s3
	s_cbranch_vccz .LBB90_5
	s_branch .LBB90_6
	.section	.rodata,"a",@progbits
	.p2align	6, 0x0
	.amdhsa_kernel _ZN9rocsparseL21csrmvn_general_kernelILj256ELj8Ell21rocsparse_complex_numIfES2_S2_S2_EEvbT2_NS_24const_host_device_scalarIT6_EEPKT1_S9_PKS3_PKT3_PKT4_S6_PT5_21rocsparse_index_base_b
		.amdhsa_group_segment_fixed_size 0
		.amdhsa_private_segment_fixed_size 0
		.amdhsa_kernarg_size 344
		.amdhsa_user_sgpr_count 6
		.amdhsa_user_sgpr_private_segment_buffer 1
		.amdhsa_user_sgpr_dispatch_ptr 0
		.amdhsa_user_sgpr_queue_ptr 0
		.amdhsa_user_sgpr_kernarg_segment_ptr 1
		.amdhsa_user_sgpr_dispatch_id 0
		.amdhsa_user_sgpr_flat_scratch_init 0
		.amdhsa_user_sgpr_kernarg_preload_length 0
		.amdhsa_user_sgpr_kernarg_preload_offset 0
		.amdhsa_user_sgpr_private_segment_size 0
		.amdhsa_uses_dynamic_stack 0
		.amdhsa_system_sgpr_private_segment_wavefront_offset 0
		.amdhsa_system_sgpr_workgroup_id_x 1
		.amdhsa_system_sgpr_workgroup_id_y 0
		.amdhsa_system_sgpr_workgroup_id_z 0
		.amdhsa_system_sgpr_workgroup_info 0
		.amdhsa_system_vgpr_workitem_id 0
		.amdhsa_next_free_vgpr 34
		.amdhsa_next_free_sgpr 28
		.amdhsa_accum_offset 36
		.amdhsa_reserve_vcc 1
		.amdhsa_reserve_flat_scratch 0
		.amdhsa_float_round_mode_32 0
		.amdhsa_float_round_mode_16_64 0
		.amdhsa_float_denorm_mode_32 3
		.amdhsa_float_denorm_mode_16_64 3
		.amdhsa_dx10_clamp 1
		.amdhsa_ieee_mode 1
		.amdhsa_fp16_overflow 0
		.amdhsa_tg_split 0
		.amdhsa_exception_fp_ieee_invalid_op 0
		.amdhsa_exception_fp_denorm_src 0
		.amdhsa_exception_fp_ieee_div_zero 0
		.amdhsa_exception_fp_ieee_overflow 0
		.amdhsa_exception_fp_ieee_underflow 0
		.amdhsa_exception_fp_ieee_inexact 0
		.amdhsa_exception_int_div_zero 0
	.end_amdhsa_kernel
	.section	.text._ZN9rocsparseL21csrmvn_general_kernelILj256ELj8Ell21rocsparse_complex_numIfES2_S2_S2_EEvbT2_NS_24const_host_device_scalarIT6_EEPKT1_S9_PKS3_PKT3_PKT4_S6_PT5_21rocsparse_index_base_b,"axG",@progbits,_ZN9rocsparseL21csrmvn_general_kernelILj256ELj8Ell21rocsparse_complex_numIfES2_S2_S2_EEvbT2_NS_24const_host_device_scalarIT6_EEPKT1_S9_PKS3_PKT3_PKT4_S6_PT5_21rocsparse_index_base_b,comdat
.Lfunc_end90:
	.size	_ZN9rocsparseL21csrmvn_general_kernelILj256ELj8Ell21rocsparse_complex_numIfES2_S2_S2_EEvbT2_NS_24const_host_device_scalarIT6_EEPKT1_S9_PKS3_PKT3_PKT4_S6_PT5_21rocsparse_index_base_b, .Lfunc_end90-_ZN9rocsparseL21csrmvn_general_kernelILj256ELj8Ell21rocsparse_complex_numIfES2_S2_S2_EEvbT2_NS_24const_host_device_scalarIT6_EEPKT1_S9_PKS3_PKT3_PKT4_S6_PT5_21rocsparse_index_base_b
                                        ; -- End function
	.section	.AMDGPU.csdata,"",@progbits
; Kernel info:
; codeLenInByte = 1048
; NumSgprs: 32
; NumVgprs: 34
; NumAgprs: 0
; TotalNumVgprs: 34
; ScratchSize: 0
; MemoryBound: 0
; FloatMode: 240
; IeeeMode: 1
; LDSByteSize: 0 bytes/workgroup (compile time only)
; SGPRBlocks: 3
; VGPRBlocks: 4
; NumSGPRsForWavesPerEU: 32
; NumVGPRsForWavesPerEU: 34
; AccumOffset: 36
; Occupancy: 8
; WaveLimiterHint : 1
; COMPUTE_PGM_RSRC2:SCRATCH_EN: 0
; COMPUTE_PGM_RSRC2:USER_SGPR: 6
; COMPUTE_PGM_RSRC2:TRAP_HANDLER: 0
; COMPUTE_PGM_RSRC2:TGID_X_EN: 1
; COMPUTE_PGM_RSRC2:TGID_Y_EN: 0
; COMPUTE_PGM_RSRC2:TGID_Z_EN: 0
; COMPUTE_PGM_RSRC2:TIDIG_COMP_CNT: 0
; COMPUTE_PGM_RSRC3_GFX90A:ACCUM_OFFSET: 8
; COMPUTE_PGM_RSRC3_GFX90A:TG_SPLIT: 0
	.section	.text._ZN9rocsparseL21csrmvn_general_kernelILj256ELj16Ell21rocsparse_complex_numIfES2_S2_S2_EEvbT2_NS_24const_host_device_scalarIT6_EEPKT1_S9_PKS3_PKT3_PKT4_S6_PT5_21rocsparse_index_base_b,"axG",@progbits,_ZN9rocsparseL21csrmvn_general_kernelILj256ELj16Ell21rocsparse_complex_numIfES2_S2_S2_EEvbT2_NS_24const_host_device_scalarIT6_EEPKT1_S9_PKS3_PKT3_PKT4_S6_PT5_21rocsparse_index_base_b,comdat
	.globl	_ZN9rocsparseL21csrmvn_general_kernelILj256ELj16Ell21rocsparse_complex_numIfES2_S2_S2_EEvbT2_NS_24const_host_device_scalarIT6_EEPKT1_S9_PKS3_PKT3_PKT4_S6_PT5_21rocsparse_index_base_b ; -- Begin function _ZN9rocsparseL21csrmvn_general_kernelILj256ELj16Ell21rocsparse_complex_numIfES2_S2_S2_EEvbT2_NS_24const_host_device_scalarIT6_EEPKT1_S9_PKS3_PKT3_PKT4_S6_PT5_21rocsparse_index_base_b
	.p2align	8
	.type	_ZN9rocsparseL21csrmvn_general_kernelILj256ELj16Ell21rocsparse_complex_numIfES2_S2_S2_EEvbT2_NS_24const_host_device_scalarIT6_EEPKT1_S9_PKS3_PKT3_PKT4_S6_PT5_21rocsparse_index_base_b,@function
_ZN9rocsparseL21csrmvn_general_kernelILj256ELj16Ell21rocsparse_complex_numIfES2_S2_S2_EEvbT2_NS_24const_host_device_scalarIT6_EEPKT1_S9_PKS3_PKT3_PKT4_S6_PT5_21rocsparse_index_base_b: ; @_ZN9rocsparseL21csrmvn_general_kernelILj256ELj16Ell21rocsparse_complex_numIfES2_S2_S2_EEvbT2_NS_24const_host_device_scalarIT6_EEPKT1_S9_PKS3_PKT3_PKT4_S6_PT5_21rocsparse_index_base_b
; %bb.0:
	s_load_dwordx2 s[20:21], s[4:5], 0x50
	s_load_dwordx2 s[2:3], s[4:5], 0x40
	s_load_dwordx8 s[8:15], s[4:5], 0x8
	s_waitcnt lgkmcnt(0)
	s_bitcmp1_b32 s21, 0
	s_cselect_b64 s[0:1], -1, 0
	s_xor_b64 s[16:17], s[0:1], -1
	s_and_b64 vcc, exec, s[0:1]
	v_mov_b32_e32 v2, s10
	s_cbranch_vccnz .LBB91_2
; %bb.1:
	v_pk_mov_b32 v[2:3], s[10:11], s[10:11] op_sel:[0,1]
	flat_load_dword v2, v[2:3]
.LBB91_2:
	v_cndmask_b32_e64 v1, 0, 1, s[16:17]
	v_cmp_ne_u32_e64 s[0:1], 1, v1
	s_andn2_b64 vcc, exec, s[16:17]
	v_mov_b32_e32 v3, s11
	s_cbranch_vccz .LBB91_21
; %bb.3:
	s_and_b64 vcc, exec, s[0:1]
	v_mov_b32_e32 v4, s2
	s_cbranch_vccz .LBB91_22
.LBB91_4:
	s_and_b64 vcc, exec, s[0:1]
	v_mov_b32_e32 v5, s3
	s_cbranch_vccnz .LBB91_6
.LBB91_5:
	v_pk_mov_b32 v[6:7], s[2:3], s[2:3] op_sel:[0,1]
	flat_load_dword v5, v[6:7] offset:4
.LBB91_6:
	s_waitcnt vmcnt(0) lgkmcnt(0)
	v_and_b32_e32 v1, 0x7fffffff, v2
	v_cmp_eq_u32_e32 vcc, 0, v1
	v_cmp_eq_f32_e64 s[0:1], 0, v3
	s_and_b64 s[10:11], vcc, s[0:1]
	s_mov_b64 s[0:1], -1
	s_and_saveexec_b64 s[2:3], s[10:11]
; %bb.7:
	v_and_b32_e32 v1, 0x7fffffff, v5
	v_cmp_neq_f32_e32 vcc, 1.0, v4
	v_cmp_ne_u32_e64 s[0:1], 0, v1
	s_or_b64 s[0:1], vcc, s[0:1]
	s_orn2_b64 s[0:1], s[0:1], exec
; %bb.8:
	s_or_b64 exec, exec, s[2:3]
	s_and_saveexec_b64 s[2:3], s[0:1]
	s_cbranch_execz .LBB91_20
; %bb.9:
	v_lshl_or_b32 v1, s6, 8, v0
	v_lshrrev_b32_e32 v6, 4, v1
	v_mov_b32_e32 v7, 0
	v_cmp_gt_i64_e32 vcc, s[8:9], v[6:7]
	s_and_b64 exec, exec, vcc
	s_cbranch_execz .LBB91_20
; %bb.10:
	s_load_dword s2, s[4:5], 0x58
	s_load_dwordx4 s[16:19], s[4:5], 0x28
	s_load_dword s3, s[4:5], 0x0
	s_load_dwordx2 s[6:7], s[4:5], 0x48
	s_load_dwordx2 s[0:1], s[4:5], 0x38
	v_and_b32_e32 v1, 15, v0
	s_waitcnt lgkmcnt(0)
	s_lshl_b32 s21, s2, 4
	v_subrev_co_u32_e32 v22, vcc, s20, v1
	s_bitcmp1_b32 s3, 0
	v_subb_co_u32_e64 v23, s[2:3], 0, 0, vcc
	s_cselect_b64 s[4:5], -1, 0
	s_ashr_i32 s3, s20, 31
	s_mov_b32 s2, s20
	s_lshl_b64 s[2:3], s[2:3], 3
	s_sub_u32 s27, s0, s2
	s_subb_u32 s23, s1, s3
	v_cmp_eq_u32_e64 s[0:1], 15, v1
	v_and_b32_e32 v1, 0x7fffffff, v4
	v_cmp_ne_u32_e32 vcc, 0, v1
	v_cmp_neq_f32_e64 s[2:3], 0, v5
	s_or_b64 s[10:11], vcc, s[2:3]
	s_mov_b32 s26, 0
	s_add_u32 s28, s18, 4
	v_xor_b32_e32 v0, 0x80000000, v3
	v_xor_b32_e32 v8, 0x80000000, v5
	v_mov_b32_e32 v9, v4
	v_mov_b32_e32 v1, v2
	s_addc_u32 s29, s19, 0
	s_mov_b64 s[18:19], 0
	v_mov_b32_e32 v24, s13
	v_mov_b32_e32 v25, s15
	;; [unrolled: 1-line block ×4, first 2 shown]
	s_branch .LBB91_13
.LBB91_11:                              ;   in Loop: Header=BB91_13 Depth=1
	s_or_b64 exec, exec, s[22:23]
	global_store_dwordx2 v[10:11], v[12:13], off
.LBB91_12:                              ;   in Loop: Header=BB91_13 Depth=1
	s_or_b64 exec, exec, s[2:3]
	v_mov_b32_e32 v10, s26
	v_add_co_u32_e32 v6, vcc, s21, v6
	v_addc_co_u32_e32 v7, vcc, v7, v10, vcc
	v_cmp_le_i64_e32 vcc, s[8:9], v[6:7]
	s_or_b64 s[18:19], vcc, s[18:19]
	s_andn2_b64 exec, exec, s[18:19]
	s_cbranch_execz .LBB91_20
.LBB91_13:                              ; =>This Loop Header: Depth=1
                                        ;     Child Loop BB91_15 Depth 2
	v_lshlrev_b64 v[10:11], 3, v[6:7]
	v_add_co_u32_e32 v12, vcc, s14, v10
	v_addc_co_u32_e32 v13, vcc, v25, v11, vcc
	global_load_dwordx2 v[14:15], v[12:13], off
	v_add_co_u32_e32 v12, vcc, s12, v10
	v_addc_co_u32_e32 v13, vcc, v24, v11, vcc
	global_load_dwordx2 v[16:17], v[12:13], off
	v_mov_b32_e32 v13, 0
	v_mov_b32_e32 v12, v13
	s_waitcnt vmcnt(1)
	v_subrev_co_u32_e32 v14, vcc, s20, v14
	v_subb_co_u32_e32 v15, vcc, v15, v26, vcc
	s_waitcnt vmcnt(0)
	v_add_co_u32_e32 v16, vcc, v16, v22
	v_addc_co_u32_e32 v17, vcc, v17, v23, vcc
	v_cmp_lt_i64_e32 vcc, v[16:17], v[14:15]
	s_and_saveexec_b64 s[22:23], vcc
	s_cbranch_execz .LBB91_17
; %bb.14:                               ;   in Loop: Header=BB91_13 Depth=1
	v_lshlrev_b64 v[12:13], 3, v[16:17]
	v_mov_b32_e32 v19, s29
	v_add_co_u32_e32 v18, vcc, s28, v12
	v_addc_co_u32_e32 v19, vcc, v19, v13, vcc
	v_mov_b32_e32 v21, s17
	v_add_co_u32_e32 v20, vcc, s16, v12
	v_mov_b32_e32 v12, 0
	v_addc_co_u32_e32 v21, vcc, v21, v13, vcc
	s_mov_b64 s[24:25], 0
	v_mov_b32_e32 v13, v12
.LBB91_15:                              ;   Parent Loop BB91_13 Depth=1
                                        ; =>  This Inner Loop Header: Depth=2
	global_load_dwordx2 v[28:29], v[20:21], off
	global_load_dwordx2 v[30:31], v[18:19], off offset:-4
	s_waitcnt vmcnt(1)
	v_lshlrev_b64 v[28:29], 3, v[28:29]
	v_add_co_u32_e32 v28, vcc, s27, v28
	v_addc_co_u32_e32 v29, vcc, v27, v29, vcc
	global_load_dwordx2 v[28:29], v[28:29], off
	v_add_co_u32_e32 v16, vcc, 16, v16
	v_addc_co_u32_e32 v17, vcc, 0, v17, vcc
	s_waitcnt vmcnt(1)
	v_cndmask_b32_e64 v32, v31, -v31, s[4:5]
	v_add_co_u32_e32 v18, vcc, 0x80, v18
	v_pk_mul_f32 v[32:33], v[32:33], v[0:1] op_sel_hi:[0,1]
	v_addc_co_u32_e32 v19, vcc, 0, v19, vcc
	v_pk_fma_f32 v[30:31], v[2:3], v[30:31], v[32:33] op_sel_hi:[1,0,1]
	v_add_co_u32_e32 v20, vcc, 0x80, v20
	v_cmp_ge_i64_e64 s[2:3], v[16:17], v[14:15]
	v_addc_co_u32_e32 v21, vcc, 0, v21, vcc
	s_or_b64 s[24:25], s[2:3], s[24:25]
	s_waitcnt vmcnt(0)
	v_pk_fma_f32 v[12:13], v[30:31], v[28:29], v[12:13] op_sel_hi:[1,0,1]
	v_pk_fma_f32 v[12:13], v[30:31], v[28:29], v[12:13] op_sel:[1,1,0] op_sel_hi:[0,1,1] neg_lo:[1,0,0]
	s_andn2_b64 exec, exec, s[24:25]
	s_cbranch_execnz .LBB91_15
; %bb.16:                               ;   in Loop: Header=BB91_13 Depth=1
	s_or_b64 exec, exec, s[24:25]
.LBB91_17:                              ;   in Loop: Header=BB91_13 Depth=1
	s_or_b64 exec, exec, s[22:23]
	v_mov_b32_dpp v14, v12 row_shr:1 row_mask:0xf bank_mask:0xf
	v_mov_b32_dpp v15, v13 row_shr:1 row_mask:0xf bank_mask:0xf
	v_pk_add_f32 v[12:13], v[12:13], v[14:15]
	s_nop 1
	v_mov_b32_dpp v14, v12 row_shr:2 row_mask:0xf bank_mask:0xf
	v_mov_b32_dpp v15, v13 row_shr:2 row_mask:0xf bank_mask:0xf
	v_pk_add_f32 v[12:13], v[12:13], v[14:15]
	s_nop 1
	;; [unrolled: 4-line block ×3, first 2 shown]
	v_mov_b32_dpp v14, v12 row_shr:8 row_mask:0xf bank_mask:0xc
	v_mov_b32_dpp v15, v13 row_shr:8 row_mask:0xf bank_mask:0xc
	s_and_saveexec_b64 s[2:3], s[0:1]
	s_cbranch_execz .LBB91_12
; %bb.18:                               ;   in Loop: Header=BB91_13 Depth=1
	v_pk_add_f32 v[12:13], v[12:13], v[14:15]
	v_mov_b32_e32 v14, s7
	v_add_co_u32_e32 v10, vcc, s6, v10
	v_addc_co_u32_e32 v11, vcc, v14, v11, vcc
	s_and_saveexec_b64 s[22:23], s[10:11]
	s_cbranch_execz .LBB91_11
; %bb.19:                               ;   in Loop: Header=BB91_13 Depth=1
	global_load_dwordx2 v[14:15], v[10:11], off
	s_waitcnt vmcnt(0)
	v_pk_fma_f32 v[12:13], v[4:5], v[14:15], v[12:13] op_sel_hi:[1,0,1]
	v_pk_fma_f32 v[12:13], v[8:9], v[14:15], v[12:13] op_sel:[0,1,0]
	s_branch .LBB91_11
.LBB91_20:
	s_endpgm
.LBB91_21:
	v_pk_mov_b32 v[4:5], s[10:11], s[10:11] op_sel:[0,1]
	flat_load_dword v3, v[4:5] offset:4
	s_and_b64 vcc, exec, s[0:1]
	v_mov_b32_e32 v4, s2
	s_cbranch_vccnz .LBB91_4
.LBB91_22:
	v_pk_mov_b32 v[4:5], s[2:3], s[2:3] op_sel:[0,1]
	flat_load_dword v4, v[4:5]
	s_and_b64 vcc, exec, s[0:1]
	v_mov_b32_e32 v5, s3
	s_cbranch_vccz .LBB91_5
	s_branch .LBB91_6
	.section	.rodata,"a",@progbits
	.p2align	6, 0x0
	.amdhsa_kernel _ZN9rocsparseL21csrmvn_general_kernelILj256ELj16Ell21rocsparse_complex_numIfES2_S2_S2_EEvbT2_NS_24const_host_device_scalarIT6_EEPKT1_S9_PKS3_PKT3_PKT4_S6_PT5_21rocsparse_index_base_b
		.amdhsa_group_segment_fixed_size 0
		.amdhsa_private_segment_fixed_size 0
		.amdhsa_kernarg_size 344
		.amdhsa_user_sgpr_count 6
		.amdhsa_user_sgpr_private_segment_buffer 1
		.amdhsa_user_sgpr_dispatch_ptr 0
		.amdhsa_user_sgpr_queue_ptr 0
		.amdhsa_user_sgpr_kernarg_segment_ptr 1
		.amdhsa_user_sgpr_dispatch_id 0
		.amdhsa_user_sgpr_flat_scratch_init 0
		.amdhsa_user_sgpr_kernarg_preload_length 0
		.amdhsa_user_sgpr_kernarg_preload_offset 0
		.amdhsa_user_sgpr_private_segment_size 0
		.amdhsa_uses_dynamic_stack 0
		.amdhsa_system_sgpr_private_segment_wavefront_offset 0
		.amdhsa_system_sgpr_workgroup_id_x 1
		.amdhsa_system_sgpr_workgroup_id_y 0
		.amdhsa_system_sgpr_workgroup_id_z 0
		.amdhsa_system_sgpr_workgroup_info 0
		.amdhsa_system_vgpr_workitem_id 0
		.amdhsa_next_free_vgpr 34
		.amdhsa_next_free_sgpr 30
		.amdhsa_accum_offset 36
		.amdhsa_reserve_vcc 1
		.amdhsa_reserve_flat_scratch 0
		.amdhsa_float_round_mode_32 0
		.amdhsa_float_round_mode_16_64 0
		.amdhsa_float_denorm_mode_32 3
		.amdhsa_float_denorm_mode_16_64 3
		.amdhsa_dx10_clamp 1
		.amdhsa_ieee_mode 1
		.amdhsa_fp16_overflow 0
		.amdhsa_tg_split 0
		.amdhsa_exception_fp_ieee_invalid_op 0
		.amdhsa_exception_fp_denorm_src 0
		.amdhsa_exception_fp_ieee_div_zero 0
		.amdhsa_exception_fp_ieee_overflow 0
		.amdhsa_exception_fp_ieee_underflow 0
		.amdhsa_exception_fp_ieee_inexact 0
		.amdhsa_exception_int_div_zero 0
	.end_amdhsa_kernel
	.section	.text._ZN9rocsparseL21csrmvn_general_kernelILj256ELj16Ell21rocsparse_complex_numIfES2_S2_S2_EEvbT2_NS_24const_host_device_scalarIT6_EEPKT1_S9_PKS3_PKT3_PKT4_S6_PT5_21rocsparse_index_base_b,"axG",@progbits,_ZN9rocsparseL21csrmvn_general_kernelILj256ELj16Ell21rocsparse_complex_numIfES2_S2_S2_EEvbT2_NS_24const_host_device_scalarIT6_EEPKT1_S9_PKS3_PKT3_PKT4_S6_PT5_21rocsparse_index_base_b,comdat
.Lfunc_end91:
	.size	_ZN9rocsparseL21csrmvn_general_kernelILj256ELj16Ell21rocsparse_complex_numIfES2_S2_S2_EEvbT2_NS_24const_host_device_scalarIT6_EEPKT1_S9_PKS3_PKT3_PKT4_S6_PT5_21rocsparse_index_base_b, .Lfunc_end91-_ZN9rocsparseL21csrmvn_general_kernelILj256ELj16Ell21rocsparse_complex_numIfES2_S2_S2_EEvbT2_NS_24const_host_device_scalarIT6_EEPKT1_S9_PKS3_PKT3_PKT4_S6_PT5_21rocsparse_index_base_b
                                        ; -- End function
	.section	.AMDGPU.csdata,"",@progbits
; Kernel info:
; codeLenInByte = 980
; NumSgprs: 34
; NumVgprs: 34
; NumAgprs: 0
; TotalNumVgprs: 34
; ScratchSize: 0
; MemoryBound: 0
; FloatMode: 240
; IeeeMode: 1
; LDSByteSize: 0 bytes/workgroup (compile time only)
; SGPRBlocks: 4
; VGPRBlocks: 4
; NumSGPRsForWavesPerEU: 34
; NumVGPRsForWavesPerEU: 34
; AccumOffset: 36
; Occupancy: 8
; WaveLimiterHint : 1
; COMPUTE_PGM_RSRC2:SCRATCH_EN: 0
; COMPUTE_PGM_RSRC2:USER_SGPR: 6
; COMPUTE_PGM_RSRC2:TRAP_HANDLER: 0
; COMPUTE_PGM_RSRC2:TGID_X_EN: 1
; COMPUTE_PGM_RSRC2:TGID_Y_EN: 0
; COMPUTE_PGM_RSRC2:TGID_Z_EN: 0
; COMPUTE_PGM_RSRC2:TIDIG_COMP_CNT: 0
; COMPUTE_PGM_RSRC3_GFX90A:ACCUM_OFFSET: 8
; COMPUTE_PGM_RSRC3_GFX90A:TG_SPLIT: 0
	.section	.text._ZN9rocsparseL21csrmvn_general_kernelILj256ELj32Ell21rocsparse_complex_numIfES2_S2_S2_EEvbT2_NS_24const_host_device_scalarIT6_EEPKT1_S9_PKS3_PKT3_PKT4_S6_PT5_21rocsparse_index_base_b,"axG",@progbits,_ZN9rocsparseL21csrmvn_general_kernelILj256ELj32Ell21rocsparse_complex_numIfES2_S2_S2_EEvbT2_NS_24const_host_device_scalarIT6_EEPKT1_S9_PKS3_PKT3_PKT4_S6_PT5_21rocsparse_index_base_b,comdat
	.globl	_ZN9rocsparseL21csrmvn_general_kernelILj256ELj32Ell21rocsparse_complex_numIfES2_S2_S2_EEvbT2_NS_24const_host_device_scalarIT6_EEPKT1_S9_PKS3_PKT3_PKT4_S6_PT5_21rocsparse_index_base_b ; -- Begin function _ZN9rocsparseL21csrmvn_general_kernelILj256ELj32Ell21rocsparse_complex_numIfES2_S2_S2_EEvbT2_NS_24const_host_device_scalarIT6_EEPKT1_S9_PKS3_PKT3_PKT4_S6_PT5_21rocsparse_index_base_b
	.p2align	8
	.type	_ZN9rocsparseL21csrmvn_general_kernelILj256ELj32Ell21rocsparse_complex_numIfES2_S2_S2_EEvbT2_NS_24const_host_device_scalarIT6_EEPKT1_S9_PKS3_PKT3_PKT4_S6_PT5_21rocsparse_index_base_b,@function
_ZN9rocsparseL21csrmvn_general_kernelILj256ELj32Ell21rocsparse_complex_numIfES2_S2_S2_EEvbT2_NS_24const_host_device_scalarIT6_EEPKT1_S9_PKS3_PKT3_PKT4_S6_PT5_21rocsparse_index_base_b: ; @_ZN9rocsparseL21csrmvn_general_kernelILj256ELj32Ell21rocsparse_complex_numIfES2_S2_S2_EEvbT2_NS_24const_host_device_scalarIT6_EEPKT1_S9_PKS3_PKT3_PKT4_S6_PT5_21rocsparse_index_base_b
; %bb.0:
	s_load_dwordx2 s[20:21], s[4:5], 0x50
	s_load_dwordx2 s[2:3], s[4:5], 0x40
	s_load_dwordx8 s[8:15], s[4:5], 0x8
	s_waitcnt lgkmcnt(0)
	s_bitcmp1_b32 s21, 0
	s_cselect_b64 s[0:1], -1, 0
	s_xor_b64 s[16:17], s[0:1], -1
	s_and_b64 vcc, exec, s[0:1]
	v_mov_b32_e32 v2, s10
	s_cbranch_vccnz .LBB92_2
; %bb.1:
	v_pk_mov_b32 v[2:3], s[10:11], s[10:11] op_sel:[0,1]
	flat_load_dword v2, v[2:3]
.LBB92_2:
	v_cndmask_b32_e64 v1, 0, 1, s[16:17]
	v_cmp_ne_u32_e64 s[0:1], 1, v1
	s_andn2_b64 vcc, exec, s[16:17]
	v_mov_b32_e32 v3, s11
	s_cbranch_vccz .LBB92_21
; %bb.3:
	s_and_b64 vcc, exec, s[0:1]
	v_mov_b32_e32 v4, s2
	s_cbranch_vccz .LBB92_22
.LBB92_4:
	s_and_b64 vcc, exec, s[0:1]
	v_mov_b32_e32 v5, s3
	s_cbranch_vccnz .LBB92_6
.LBB92_5:
	v_pk_mov_b32 v[6:7], s[2:3], s[2:3] op_sel:[0,1]
	flat_load_dword v5, v[6:7] offset:4
.LBB92_6:
	s_waitcnt vmcnt(0) lgkmcnt(0)
	v_and_b32_e32 v1, 0x7fffffff, v2
	v_cmp_eq_u32_e32 vcc, 0, v1
	v_cmp_eq_f32_e64 s[0:1], 0, v3
	s_and_b64 s[10:11], vcc, s[0:1]
	s_mov_b64 s[0:1], -1
	s_and_saveexec_b64 s[2:3], s[10:11]
; %bb.7:
	v_and_b32_e32 v1, 0x7fffffff, v5
	v_cmp_neq_f32_e32 vcc, 1.0, v4
	v_cmp_ne_u32_e64 s[0:1], 0, v1
	s_or_b64 s[0:1], vcc, s[0:1]
	s_orn2_b64 s[0:1], s[0:1], exec
; %bb.8:
	s_or_b64 exec, exec, s[2:3]
	s_and_saveexec_b64 s[2:3], s[0:1]
	s_cbranch_execz .LBB92_20
; %bb.9:
	v_lshl_or_b32 v1, s6, 8, v0
	v_lshrrev_b32_e32 v6, 5, v1
	v_mov_b32_e32 v7, 0
	v_cmp_gt_i64_e32 vcc, s[8:9], v[6:7]
	s_and_b64 exec, exec, vcc
	s_cbranch_execz .LBB92_20
; %bb.10:
	s_load_dword s2, s[4:5], 0x58
	s_load_dwordx4 s[16:19], s[4:5], 0x28
	s_load_dword s3, s[4:5], 0x0
	s_load_dwordx2 s[6:7], s[4:5], 0x48
	s_load_dwordx2 s[0:1], s[4:5], 0x38
	v_and_b32_e32 v1, 31, v0
	s_waitcnt lgkmcnt(0)
	s_lshl_b32 s21, s2, 3
	v_subrev_co_u32_e32 v22, vcc, s20, v1
	s_bitcmp1_b32 s3, 0
	v_subb_co_u32_e64 v23, s[2:3], 0, 0, vcc
	s_cselect_b64 s[4:5], -1, 0
	s_ashr_i32 s3, s20, 31
	s_mov_b32 s2, s20
	s_lshl_b64 s[2:3], s[2:3], 3
	s_sub_u32 s27, s0, s2
	s_subb_u32 s23, s1, s3
	v_cmp_eq_u32_e64 s[0:1], 31, v1
	v_and_b32_e32 v1, 0x7fffffff, v4
	v_cmp_ne_u32_e32 vcc, 0, v1
	v_cmp_neq_f32_e64 s[2:3], 0, v5
	s_or_b64 s[10:11], vcc, s[2:3]
	s_mov_b32 s26, 0
	s_add_u32 s28, s18, 4
	v_xor_b32_e32 v0, 0x80000000, v3
	v_xor_b32_e32 v8, 0x80000000, v5
	v_mov_b32_e32 v9, v4
	v_mov_b32_e32 v1, v2
	s_addc_u32 s29, s19, 0
	s_mov_b64 s[18:19], 0
	v_mov_b32_e32 v24, s13
	v_mov_b32_e32 v25, s15
	;; [unrolled: 1-line block ×4, first 2 shown]
	s_branch .LBB92_13
.LBB92_11:                              ;   in Loop: Header=BB92_13 Depth=1
	s_or_b64 exec, exec, s[22:23]
	global_store_dwordx2 v[10:11], v[12:13], off
.LBB92_12:                              ;   in Loop: Header=BB92_13 Depth=1
	s_or_b64 exec, exec, s[2:3]
	v_mov_b32_e32 v10, s26
	v_add_co_u32_e32 v6, vcc, s21, v6
	v_addc_co_u32_e32 v7, vcc, v7, v10, vcc
	v_cmp_le_i64_e32 vcc, s[8:9], v[6:7]
	s_or_b64 s[18:19], vcc, s[18:19]
	s_andn2_b64 exec, exec, s[18:19]
	s_cbranch_execz .LBB92_20
.LBB92_13:                              ; =>This Loop Header: Depth=1
                                        ;     Child Loop BB92_15 Depth 2
	v_lshlrev_b64 v[10:11], 3, v[6:7]
	v_add_co_u32_e32 v12, vcc, s14, v10
	v_addc_co_u32_e32 v13, vcc, v25, v11, vcc
	global_load_dwordx2 v[14:15], v[12:13], off
	v_add_co_u32_e32 v12, vcc, s12, v10
	v_addc_co_u32_e32 v13, vcc, v24, v11, vcc
	global_load_dwordx2 v[16:17], v[12:13], off
	v_mov_b32_e32 v13, 0
	v_mov_b32_e32 v12, v13
	s_waitcnt vmcnt(1)
	v_subrev_co_u32_e32 v14, vcc, s20, v14
	v_subb_co_u32_e32 v15, vcc, v15, v26, vcc
	s_waitcnt vmcnt(0)
	v_add_co_u32_e32 v16, vcc, v16, v22
	v_addc_co_u32_e32 v17, vcc, v17, v23, vcc
	v_cmp_lt_i64_e32 vcc, v[16:17], v[14:15]
	s_and_saveexec_b64 s[22:23], vcc
	s_cbranch_execz .LBB92_17
; %bb.14:                               ;   in Loop: Header=BB92_13 Depth=1
	v_lshlrev_b64 v[12:13], 3, v[16:17]
	v_mov_b32_e32 v19, s29
	v_add_co_u32_e32 v18, vcc, s28, v12
	v_addc_co_u32_e32 v19, vcc, v19, v13, vcc
	v_mov_b32_e32 v21, s17
	v_add_co_u32_e32 v20, vcc, s16, v12
	v_addc_co_u32_e32 v21, vcc, v21, v13, vcc
	v_mov_b32_e32 v13, 0
	s_mov_b64 s[24:25], 0
	v_mov_b32_e32 v12, v13
.LBB92_15:                              ;   Parent Loop BB92_13 Depth=1
                                        ; =>  This Inner Loop Header: Depth=2
	global_load_dwordx2 v[28:29], v[20:21], off
	global_load_dwordx2 v[30:31], v[18:19], off offset:-4
	s_waitcnt vmcnt(1)
	v_lshlrev_b64 v[28:29], 3, v[28:29]
	v_add_co_u32_e32 v28, vcc, s27, v28
	v_addc_co_u32_e32 v29, vcc, v27, v29, vcc
	global_load_dwordx2 v[28:29], v[28:29], off
	v_add_co_u32_e32 v16, vcc, 32, v16
	v_addc_co_u32_e32 v17, vcc, 0, v17, vcc
	s_waitcnt vmcnt(1)
	v_cndmask_b32_e64 v32, v31, -v31, s[4:5]
	v_add_co_u32_e32 v18, vcc, 0x100, v18
	v_pk_mul_f32 v[32:33], v[32:33], v[0:1] op_sel_hi:[0,1]
	v_addc_co_u32_e32 v19, vcc, 0, v19, vcc
	v_pk_fma_f32 v[30:31], v[2:3], v[30:31], v[32:33] op_sel_hi:[1,0,1]
	v_add_co_u32_e32 v20, vcc, 0x100, v20
	v_cmp_ge_i64_e64 s[2:3], v[16:17], v[14:15]
	v_addc_co_u32_e32 v21, vcc, 0, v21, vcc
	s_or_b64 s[24:25], s[2:3], s[24:25]
	s_waitcnt vmcnt(0)
	v_pk_fma_f32 v[12:13], v[30:31], v[28:29], v[12:13] op_sel_hi:[1,0,1]
	v_pk_fma_f32 v[12:13], v[30:31], v[28:29], v[12:13] op_sel:[1,1,0] op_sel_hi:[0,1,1] neg_lo:[1,0,0]
	s_andn2_b64 exec, exec, s[24:25]
	s_cbranch_execnz .LBB92_15
; %bb.16:                               ;   in Loop: Header=BB92_13 Depth=1
	s_or_b64 exec, exec, s[24:25]
.LBB92_17:                              ;   in Loop: Header=BB92_13 Depth=1
	s_or_b64 exec, exec, s[22:23]
	v_mov_b32_dpp v14, v12 row_shr:1 row_mask:0xf bank_mask:0xf
	v_mov_b32_dpp v15, v13 row_shr:1 row_mask:0xf bank_mask:0xf
	v_pk_add_f32 v[12:13], v[12:13], v[14:15]
	s_nop 1
	v_mov_b32_dpp v14, v12 row_shr:2 row_mask:0xf bank_mask:0xf
	v_mov_b32_dpp v15, v13 row_shr:2 row_mask:0xf bank_mask:0xf
	v_pk_add_f32 v[12:13], v[12:13], v[14:15]
	s_nop 1
	;; [unrolled: 4-line block ×4, first 2 shown]
	v_mov_b32_dpp v14, v12 row_bcast:15 row_mask:0xa bank_mask:0xf
	v_mov_b32_dpp v15, v13 row_bcast:15 row_mask:0xa bank_mask:0xf
	s_and_saveexec_b64 s[2:3], s[0:1]
	s_cbranch_execz .LBB92_12
; %bb.18:                               ;   in Loop: Header=BB92_13 Depth=1
	v_pk_add_f32 v[12:13], v[12:13], v[14:15]
	v_mov_b32_e32 v14, s7
	v_add_co_u32_e32 v10, vcc, s6, v10
	v_addc_co_u32_e32 v11, vcc, v14, v11, vcc
	s_and_saveexec_b64 s[22:23], s[10:11]
	s_cbranch_execz .LBB92_11
; %bb.19:                               ;   in Loop: Header=BB92_13 Depth=1
	global_load_dwordx2 v[14:15], v[10:11], off
	s_waitcnt vmcnt(0)
	v_pk_fma_f32 v[12:13], v[4:5], v[14:15], v[12:13] op_sel_hi:[1,0,1]
	v_pk_fma_f32 v[12:13], v[8:9], v[14:15], v[12:13] op_sel:[0,1,0]
	s_branch .LBB92_11
.LBB92_20:
	s_endpgm
.LBB92_21:
	v_pk_mov_b32 v[4:5], s[10:11], s[10:11] op_sel:[0,1]
	flat_load_dword v3, v[4:5] offset:4
	s_and_b64 vcc, exec, s[0:1]
	v_mov_b32_e32 v4, s2
	s_cbranch_vccnz .LBB92_4
.LBB92_22:
	v_pk_mov_b32 v[4:5], s[2:3], s[2:3] op_sel:[0,1]
	flat_load_dword v4, v[4:5]
	s_and_b64 vcc, exec, s[0:1]
	v_mov_b32_e32 v5, s3
	s_cbranch_vccz .LBB92_5
	s_branch .LBB92_6
	.section	.rodata,"a",@progbits
	.p2align	6, 0x0
	.amdhsa_kernel _ZN9rocsparseL21csrmvn_general_kernelILj256ELj32Ell21rocsparse_complex_numIfES2_S2_S2_EEvbT2_NS_24const_host_device_scalarIT6_EEPKT1_S9_PKS3_PKT3_PKT4_S6_PT5_21rocsparse_index_base_b
		.amdhsa_group_segment_fixed_size 0
		.amdhsa_private_segment_fixed_size 0
		.amdhsa_kernarg_size 344
		.amdhsa_user_sgpr_count 6
		.amdhsa_user_sgpr_private_segment_buffer 1
		.amdhsa_user_sgpr_dispatch_ptr 0
		.amdhsa_user_sgpr_queue_ptr 0
		.amdhsa_user_sgpr_kernarg_segment_ptr 1
		.amdhsa_user_sgpr_dispatch_id 0
		.amdhsa_user_sgpr_flat_scratch_init 0
		.amdhsa_user_sgpr_kernarg_preload_length 0
		.amdhsa_user_sgpr_kernarg_preload_offset 0
		.amdhsa_user_sgpr_private_segment_size 0
		.amdhsa_uses_dynamic_stack 0
		.amdhsa_system_sgpr_private_segment_wavefront_offset 0
		.amdhsa_system_sgpr_workgroup_id_x 1
		.amdhsa_system_sgpr_workgroup_id_y 0
		.amdhsa_system_sgpr_workgroup_id_z 0
		.amdhsa_system_sgpr_workgroup_info 0
		.amdhsa_system_vgpr_workitem_id 0
		.amdhsa_next_free_vgpr 34
		.amdhsa_next_free_sgpr 30
		.amdhsa_accum_offset 36
		.amdhsa_reserve_vcc 1
		.amdhsa_reserve_flat_scratch 0
		.amdhsa_float_round_mode_32 0
		.amdhsa_float_round_mode_16_64 0
		.amdhsa_float_denorm_mode_32 3
		.amdhsa_float_denorm_mode_16_64 3
		.amdhsa_dx10_clamp 1
		.amdhsa_ieee_mode 1
		.amdhsa_fp16_overflow 0
		.amdhsa_tg_split 0
		.amdhsa_exception_fp_ieee_invalid_op 0
		.amdhsa_exception_fp_denorm_src 0
		.amdhsa_exception_fp_ieee_div_zero 0
		.amdhsa_exception_fp_ieee_overflow 0
		.amdhsa_exception_fp_ieee_underflow 0
		.amdhsa_exception_fp_ieee_inexact 0
		.amdhsa_exception_int_div_zero 0
	.end_amdhsa_kernel
	.section	.text._ZN9rocsparseL21csrmvn_general_kernelILj256ELj32Ell21rocsparse_complex_numIfES2_S2_S2_EEvbT2_NS_24const_host_device_scalarIT6_EEPKT1_S9_PKS3_PKT3_PKT4_S6_PT5_21rocsparse_index_base_b,"axG",@progbits,_ZN9rocsparseL21csrmvn_general_kernelILj256ELj32Ell21rocsparse_complex_numIfES2_S2_S2_EEvbT2_NS_24const_host_device_scalarIT6_EEPKT1_S9_PKS3_PKT3_PKT4_S6_PT5_21rocsparse_index_base_b,comdat
.Lfunc_end92:
	.size	_ZN9rocsparseL21csrmvn_general_kernelILj256ELj32Ell21rocsparse_complex_numIfES2_S2_S2_EEvbT2_NS_24const_host_device_scalarIT6_EEPKT1_S9_PKS3_PKT3_PKT4_S6_PT5_21rocsparse_index_base_b, .Lfunc_end92-_ZN9rocsparseL21csrmvn_general_kernelILj256ELj32Ell21rocsparse_complex_numIfES2_S2_S2_EEvbT2_NS_24const_host_device_scalarIT6_EEPKT1_S9_PKS3_PKT3_PKT4_S6_PT5_21rocsparse_index_base_b
                                        ; -- End function
	.section	.AMDGPU.csdata,"",@progbits
; Kernel info:
; codeLenInByte = 1008
; NumSgprs: 34
; NumVgprs: 34
; NumAgprs: 0
; TotalNumVgprs: 34
; ScratchSize: 0
; MemoryBound: 0
; FloatMode: 240
; IeeeMode: 1
; LDSByteSize: 0 bytes/workgroup (compile time only)
; SGPRBlocks: 4
; VGPRBlocks: 4
; NumSGPRsForWavesPerEU: 34
; NumVGPRsForWavesPerEU: 34
; AccumOffset: 36
; Occupancy: 8
; WaveLimiterHint : 1
; COMPUTE_PGM_RSRC2:SCRATCH_EN: 0
; COMPUTE_PGM_RSRC2:USER_SGPR: 6
; COMPUTE_PGM_RSRC2:TRAP_HANDLER: 0
; COMPUTE_PGM_RSRC2:TGID_X_EN: 1
; COMPUTE_PGM_RSRC2:TGID_Y_EN: 0
; COMPUTE_PGM_RSRC2:TGID_Z_EN: 0
; COMPUTE_PGM_RSRC2:TIDIG_COMP_CNT: 0
; COMPUTE_PGM_RSRC3_GFX90A:ACCUM_OFFSET: 8
; COMPUTE_PGM_RSRC3_GFX90A:TG_SPLIT: 0
	.section	.text._ZN9rocsparseL21csrmvn_general_kernelILj256ELj64Ell21rocsparse_complex_numIfES2_S2_S2_EEvbT2_NS_24const_host_device_scalarIT6_EEPKT1_S9_PKS3_PKT3_PKT4_S6_PT5_21rocsparse_index_base_b,"axG",@progbits,_ZN9rocsparseL21csrmvn_general_kernelILj256ELj64Ell21rocsparse_complex_numIfES2_S2_S2_EEvbT2_NS_24const_host_device_scalarIT6_EEPKT1_S9_PKS3_PKT3_PKT4_S6_PT5_21rocsparse_index_base_b,comdat
	.globl	_ZN9rocsparseL21csrmvn_general_kernelILj256ELj64Ell21rocsparse_complex_numIfES2_S2_S2_EEvbT2_NS_24const_host_device_scalarIT6_EEPKT1_S9_PKS3_PKT3_PKT4_S6_PT5_21rocsparse_index_base_b ; -- Begin function _ZN9rocsparseL21csrmvn_general_kernelILj256ELj64Ell21rocsparse_complex_numIfES2_S2_S2_EEvbT2_NS_24const_host_device_scalarIT6_EEPKT1_S9_PKS3_PKT3_PKT4_S6_PT5_21rocsparse_index_base_b
	.p2align	8
	.type	_ZN9rocsparseL21csrmvn_general_kernelILj256ELj64Ell21rocsparse_complex_numIfES2_S2_S2_EEvbT2_NS_24const_host_device_scalarIT6_EEPKT1_S9_PKS3_PKT3_PKT4_S6_PT5_21rocsparse_index_base_b,@function
_ZN9rocsparseL21csrmvn_general_kernelILj256ELj64Ell21rocsparse_complex_numIfES2_S2_S2_EEvbT2_NS_24const_host_device_scalarIT6_EEPKT1_S9_PKS3_PKT3_PKT4_S6_PT5_21rocsparse_index_base_b: ; @_ZN9rocsparseL21csrmvn_general_kernelILj256ELj64Ell21rocsparse_complex_numIfES2_S2_S2_EEvbT2_NS_24const_host_device_scalarIT6_EEPKT1_S9_PKS3_PKT3_PKT4_S6_PT5_21rocsparse_index_base_b
; %bb.0:
	s_load_dwordx2 s[20:21], s[4:5], 0x50
	s_load_dwordx2 s[2:3], s[4:5], 0x40
	s_load_dwordx8 s[8:15], s[4:5], 0x8
	s_waitcnt lgkmcnt(0)
	s_bitcmp1_b32 s21, 0
	s_cselect_b64 s[0:1], -1, 0
	s_xor_b64 s[16:17], s[0:1], -1
	s_and_b64 vcc, exec, s[0:1]
	v_mov_b32_e32 v2, s10
	s_cbranch_vccnz .LBB93_2
; %bb.1:
	v_pk_mov_b32 v[2:3], s[10:11], s[10:11] op_sel:[0,1]
	flat_load_dword v2, v[2:3]
.LBB93_2:
	v_cndmask_b32_e64 v1, 0, 1, s[16:17]
	v_cmp_ne_u32_e64 s[0:1], 1, v1
	s_andn2_b64 vcc, exec, s[16:17]
	v_mov_b32_e32 v3, s11
	s_cbranch_vccz .LBB93_21
; %bb.3:
	s_and_b64 vcc, exec, s[0:1]
	v_mov_b32_e32 v4, s2
	s_cbranch_vccz .LBB93_22
.LBB93_4:
	s_and_b64 vcc, exec, s[0:1]
	v_mov_b32_e32 v5, s3
	s_cbranch_vccnz .LBB93_6
.LBB93_5:
	v_pk_mov_b32 v[6:7], s[2:3], s[2:3] op_sel:[0,1]
	flat_load_dword v5, v[6:7] offset:4
.LBB93_6:
	s_waitcnt vmcnt(0) lgkmcnt(0)
	v_and_b32_e32 v1, 0x7fffffff, v2
	v_cmp_eq_u32_e32 vcc, 0, v1
	v_cmp_eq_f32_e64 s[0:1], 0, v3
	s_and_b64 s[10:11], vcc, s[0:1]
	s_mov_b64 s[0:1], -1
	s_and_saveexec_b64 s[2:3], s[10:11]
; %bb.7:
	v_and_b32_e32 v1, 0x7fffffff, v5
	v_cmp_neq_f32_e32 vcc, 1.0, v4
	v_cmp_ne_u32_e64 s[0:1], 0, v1
	s_or_b64 s[0:1], vcc, s[0:1]
	s_orn2_b64 s[0:1], s[0:1], exec
; %bb.8:
	s_or_b64 exec, exec, s[2:3]
	s_and_saveexec_b64 s[2:3], s[0:1]
	s_cbranch_execz .LBB93_20
; %bb.9:
	v_lshl_or_b32 v1, s6, 8, v0
	v_lshrrev_b32_e32 v6, 6, v1
	v_mov_b32_e32 v7, 0
	v_cmp_gt_i64_e32 vcc, s[8:9], v[6:7]
	s_and_b64 exec, exec, vcc
	s_cbranch_execz .LBB93_20
; %bb.10:
	s_load_dword s2, s[4:5], 0x58
	s_load_dwordx4 s[16:19], s[4:5], 0x28
	s_load_dword s3, s[4:5], 0x0
	s_load_dwordx2 s[6:7], s[4:5], 0x48
	s_load_dwordx2 s[0:1], s[4:5], 0x38
	v_and_b32_e32 v1, 63, v0
	s_waitcnt lgkmcnt(0)
	s_lshl_b32 s21, s2, 2
	v_subrev_co_u32_e32 v22, vcc, s20, v1
	s_bitcmp1_b32 s3, 0
	v_subb_co_u32_e64 v23, s[2:3], 0, 0, vcc
	s_cselect_b64 s[4:5], -1, 0
	s_ashr_i32 s3, s20, 31
	s_mov_b32 s2, s20
	s_lshl_b64 s[2:3], s[2:3], 3
	s_sub_u32 s27, s0, s2
	s_subb_u32 s23, s1, s3
	v_cmp_eq_u32_e64 s[0:1], 63, v1
	v_and_b32_e32 v1, 0x7fffffff, v4
	v_cmp_ne_u32_e32 vcc, 0, v1
	v_cmp_neq_f32_e64 s[2:3], 0, v5
	s_or_b64 s[10:11], vcc, s[2:3]
	s_mov_b32 s26, 0
	s_add_u32 s28, s18, 4
	v_xor_b32_e32 v0, 0x80000000, v3
	v_xor_b32_e32 v8, 0x80000000, v5
	v_mov_b32_e32 v9, v4
	v_mov_b32_e32 v1, v2
	s_addc_u32 s29, s19, 0
	s_mov_b64 s[18:19], 0
	v_mov_b32_e32 v24, s13
	v_mov_b32_e32 v25, s15
	;; [unrolled: 1-line block ×4, first 2 shown]
	s_branch .LBB93_13
.LBB93_11:                              ;   in Loop: Header=BB93_13 Depth=1
	s_or_b64 exec, exec, s[22:23]
	global_store_dwordx2 v[10:11], v[12:13], off
.LBB93_12:                              ;   in Loop: Header=BB93_13 Depth=1
	s_or_b64 exec, exec, s[2:3]
	v_mov_b32_e32 v10, s26
	v_add_co_u32_e32 v6, vcc, s21, v6
	v_addc_co_u32_e32 v7, vcc, v7, v10, vcc
	v_cmp_le_i64_e32 vcc, s[8:9], v[6:7]
	s_or_b64 s[18:19], vcc, s[18:19]
	s_andn2_b64 exec, exec, s[18:19]
	s_cbranch_execz .LBB93_20
.LBB93_13:                              ; =>This Loop Header: Depth=1
                                        ;     Child Loop BB93_15 Depth 2
	v_lshlrev_b64 v[10:11], 3, v[6:7]
	v_add_co_u32_e32 v12, vcc, s14, v10
	v_addc_co_u32_e32 v13, vcc, v25, v11, vcc
	global_load_dwordx2 v[14:15], v[12:13], off
	v_add_co_u32_e32 v12, vcc, s12, v10
	v_addc_co_u32_e32 v13, vcc, v24, v11, vcc
	global_load_dwordx2 v[16:17], v[12:13], off
	v_mov_b32_e32 v13, 0
	v_mov_b32_e32 v12, v13
	s_waitcnt vmcnt(1)
	v_subrev_co_u32_e32 v14, vcc, s20, v14
	v_subb_co_u32_e32 v15, vcc, v15, v26, vcc
	s_waitcnt vmcnt(0)
	v_add_co_u32_e32 v16, vcc, v16, v22
	v_addc_co_u32_e32 v17, vcc, v17, v23, vcc
	v_cmp_lt_i64_e32 vcc, v[16:17], v[14:15]
	s_and_saveexec_b64 s[22:23], vcc
	s_cbranch_execz .LBB93_17
; %bb.14:                               ;   in Loop: Header=BB93_13 Depth=1
	v_lshlrev_b64 v[12:13], 3, v[16:17]
	v_mov_b32_e32 v19, s29
	v_add_co_u32_e32 v18, vcc, s28, v12
	v_addc_co_u32_e32 v19, vcc, v19, v13, vcc
	v_mov_b32_e32 v21, s17
	v_add_co_u32_e32 v20, vcc, s16, v12
	v_mov_b32_e32 v12, 0
	v_addc_co_u32_e32 v21, vcc, v21, v13, vcc
	s_mov_b64 s[24:25], 0
	v_mov_b32_e32 v13, v12
.LBB93_15:                              ;   Parent Loop BB93_13 Depth=1
                                        ; =>  This Inner Loop Header: Depth=2
	global_load_dwordx2 v[28:29], v[20:21], off
	global_load_dwordx2 v[30:31], v[18:19], off offset:-4
	s_waitcnt vmcnt(1)
	v_lshlrev_b64 v[28:29], 3, v[28:29]
	v_add_co_u32_e32 v28, vcc, s27, v28
	v_addc_co_u32_e32 v29, vcc, v27, v29, vcc
	global_load_dwordx2 v[28:29], v[28:29], off
	v_add_co_u32_e32 v16, vcc, 64, v16
	v_addc_co_u32_e32 v17, vcc, 0, v17, vcc
	s_waitcnt vmcnt(1)
	v_cndmask_b32_e64 v32, v31, -v31, s[4:5]
	v_add_co_u32_e32 v18, vcc, 0x200, v18
	v_pk_mul_f32 v[32:33], v[32:33], v[0:1] op_sel_hi:[0,1]
	v_addc_co_u32_e32 v19, vcc, 0, v19, vcc
	v_pk_fma_f32 v[30:31], v[2:3], v[30:31], v[32:33] op_sel_hi:[1,0,1]
	v_add_co_u32_e32 v20, vcc, 0x200, v20
	v_cmp_ge_i64_e64 s[2:3], v[16:17], v[14:15]
	v_addc_co_u32_e32 v21, vcc, 0, v21, vcc
	s_or_b64 s[24:25], s[2:3], s[24:25]
	s_waitcnt vmcnt(0)
	v_pk_fma_f32 v[12:13], v[30:31], v[28:29], v[12:13] op_sel_hi:[1,0,1]
	v_pk_fma_f32 v[12:13], v[30:31], v[28:29], v[12:13] op_sel:[1,1,0] op_sel_hi:[0,1,1] neg_lo:[1,0,0]
	s_andn2_b64 exec, exec, s[24:25]
	s_cbranch_execnz .LBB93_15
; %bb.16:                               ;   in Loop: Header=BB93_13 Depth=1
	s_or_b64 exec, exec, s[24:25]
.LBB93_17:                              ;   in Loop: Header=BB93_13 Depth=1
	s_or_b64 exec, exec, s[22:23]
	v_mov_b32_dpp v14, v12 row_shr:1 row_mask:0xf bank_mask:0xf
	v_mov_b32_dpp v15, v13 row_shr:1 row_mask:0xf bank_mask:0xf
	v_pk_add_f32 v[12:13], v[12:13], v[14:15]
	s_nop 1
	v_mov_b32_dpp v14, v12 row_shr:2 row_mask:0xf bank_mask:0xf
	v_mov_b32_dpp v15, v13 row_shr:2 row_mask:0xf bank_mask:0xf
	v_pk_add_f32 v[12:13], v[12:13], v[14:15]
	s_nop 1
	;; [unrolled: 4-line block ×4, first 2 shown]
	v_mov_b32_dpp v14, v12 row_bcast:15 row_mask:0xa bank_mask:0xf
	v_mov_b32_dpp v15, v13 row_bcast:15 row_mask:0xa bank_mask:0xf
	v_pk_add_f32 v[12:13], v[12:13], v[14:15]
	s_nop 1
	v_mov_b32_dpp v14, v12 row_bcast:31 row_mask:0xc bank_mask:0xf
	v_mov_b32_dpp v15, v13 row_bcast:31 row_mask:0xc bank_mask:0xf
	s_and_saveexec_b64 s[2:3], s[0:1]
	s_cbranch_execz .LBB93_12
; %bb.18:                               ;   in Loop: Header=BB93_13 Depth=1
	v_pk_add_f32 v[12:13], v[12:13], v[14:15]
	v_mov_b32_e32 v14, s7
	v_add_co_u32_e32 v10, vcc, s6, v10
	v_addc_co_u32_e32 v11, vcc, v14, v11, vcc
	s_and_saveexec_b64 s[22:23], s[10:11]
	s_cbranch_execz .LBB93_11
; %bb.19:                               ;   in Loop: Header=BB93_13 Depth=1
	global_load_dwordx2 v[14:15], v[10:11], off
	s_waitcnt vmcnt(0)
	v_pk_fma_f32 v[12:13], v[4:5], v[14:15], v[12:13] op_sel_hi:[1,0,1]
	v_pk_fma_f32 v[12:13], v[8:9], v[14:15], v[12:13] op_sel:[0,1,0]
	s_branch .LBB93_11
.LBB93_20:
	s_endpgm
.LBB93_21:
	v_pk_mov_b32 v[4:5], s[10:11], s[10:11] op_sel:[0,1]
	flat_load_dword v3, v[4:5] offset:4
	s_and_b64 vcc, exec, s[0:1]
	v_mov_b32_e32 v4, s2
	s_cbranch_vccnz .LBB93_4
.LBB93_22:
	v_pk_mov_b32 v[4:5], s[2:3], s[2:3] op_sel:[0,1]
	flat_load_dword v4, v[4:5]
	s_and_b64 vcc, exec, s[0:1]
	v_mov_b32_e32 v5, s3
	s_cbranch_vccz .LBB93_5
	s_branch .LBB93_6
	.section	.rodata,"a",@progbits
	.p2align	6, 0x0
	.amdhsa_kernel _ZN9rocsparseL21csrmvn_general_kernelILj256ELj64Ell21rocsparse_complex_numIfES2_S2_S2_EEvbT2_NS_24const_host_device_scalarIT6_EEPKT1_S9_PKS3_PKT3_PKT4_S6_PT5_21rocsparse_index_base_b
		.amdhsa_group_segment_fixed_size 0
		.amdhsa_private_segment_fixed_size 0
		.amdhsa_kernarg_size 344
		.amdhsa_user_sgpr_count 6
		.amdhsa_user_sgpr_private_segment_buffer 1
		.amdhsa_user_sgpr_dispatch_ptr 0
		.amdhsa_user_sgpr_queue_ptr 0
		.amdhsa_user_sgpr_kernarg_segment_ptr 1
		.amdhsa_user_sgpr_dispatch_id 0
		.amdhsa_user_sgpr_flat_scratch_init 0
		.amdhsa_user_sgpr_kernarg_preload_length 0
		.amdhsa_user_sgpr_kernarg_preload_offset 0
		.amdhsa_user_sgpr_private_segment_size 0
		.amdhsa_uses_dynamic_stack 0
		.amdhsa_system_sgpr_private_segment_wavefront_offset 0
		.amdhsa_system_sgpr_workgroup_id_x 1
		.amdhsa_system_sgpr_workgroup_id_y 0
		.amdhsa_system_sgpr_workgroup_id_z 0
		.amdhsa_system_sgpr_workgroup_info 0
		.amdhsa_system_vgpr_workitem_id 0
		.amdhsa_next_free_vgpr 34
		.amdhsa_next_free_sgpr 30
		.amdhsa_accum_offset 36
		.amdhsa_reserve_vcc 1
		.amdhsa_reserve_flat_scratch 0
		.amdhsa_float_round_mode_32 0
		.amdhsa_float_round_mode_16_64 0
		.amdhsa_float_denorm_mode_32 3
		.amdhsa_float_denorm_mode_16_64 3
		.amdhsa_dx10_clamp 1
		.amdhsa_ieee_mode 1
		.amdhsa_fp16_overflow 0
		.amdhsa_tg_split 0
		.amdhsa_exception_fp_ieee_invalid_op 0
		.amdhsa_exception_fp_denorm_src 0
		.amdhsa_exception_fp_ieee_div_zero 0
		.amdhsa_exception_fp_ieee_overflow 0
		.amdhsa_exception_fp_ieee_underflow 0
		.amdhsa_exception_fp_ieee_inexact 0
		.amdhsa_exception_int_div_zero 0
	.end_amdhsa_kernel
	.section	.text._ZN9rocsparseL21csrmvn_general_kernelILj256ELj64Ell21rocsparse_complex_numIfES2_S2_S2_EEvbT2_NS_24const_host_device_scalarIT6_EEPKT1_S9_PKS3_PKT3_PKT4_S6_PT5_21rocsparse_index_base_b,"axG",@progbits,_ZN9rocsparseL21csrmvn_general_kernelILj256ELj64Ell21rocsparse_complex_numIfES2_S2_S2_EEvbT2_NS_24const_host_device_scalarIT6_EEPKT1_S9_PKS3_PKT3_PKT4_S6_PT5_21rocsparse_index_base_b,comdat
.Lfunc_end93:
	.size	_ZN9rocsparseL21csrmvn_general_kernelILj256ELj64Ell21rocsparse_complex_numIfES2_S2_S2_EEvbT2_NS_24const_host_device_scalarIT6_EEPKT1_S9_PKS3_PKT3_PKT4_S6_PT5_21rocsparse_index_base_b, .Lfunc_end93-_ZN9rocsparseL21csrmvn_general_kernelILj256ELj64Ell21rocsparse_complex_numIfES2_S2_S2_EEvbT2_NS_24const_host_device_scalarIT6_EEPKT1_S9_PKS3_PKT3_PKT4_S6_PT5_21rocsparse_index_base_b
                                        ; -- End function
	.section	.AMDGPU.csdata,"",@progbits
; Kernel info:
; codeLenInByte = 1036
; NumSgprs: 34
; NumVgprs: 34
; NumAgprs: 0
; TotalNumVgprs: 34
; ScratchSize: 0
; MemoryBound: 0
; FloatMode: 240
; IeeeMode: 1
; LDSByteSize: 0 bytes/workgroup (compile time only)
; SGPRBlocks: 4
; VGPRBlocks: 4
; NumSGPRsForWavesPerEU: 34
; NumVGPRsForWavesPerEU: 34
; AccumOffset: 36
; Occupancy: 8
; WaveLimiterHint : 1
; COMPUTE_PGM_RSRC2:SCRATCH_EN: 0
; COMPUTE_PGM_RSRC2:USER_SGPR: 6
; COMPUTE_PGM_RSRC2:TRAP_HANDLER: 0
; COMPUTE_PGM_RSRC2:TGID_X_EN: 1
; COMPUTE_PGM_RSRC2:TGID_Y_EN: 0
; COMPUTE_PGM_RSRC2:TGID_Z_EN: 0
; COMPUTE_PGM_RSRC2:TIDIG_COMP_CNT: 0
; COMPUTE_PGM_RSRC3_GFX90A:ACCUM_OFFSET: 8
; COMPUTE_PGM_RSRC3_GFX90A:TG_SPLIT: 0
	.section	.text._ZN9rocsparseL21csrmvt_general_kernelILj256ELj4Ell21rocsparse_complex_numIfES2_S2_S2_EEvbbT2_NS_24const_host_device_scalarIT6_EEPKT1_S9_PKS3_PKT3_PKT4_PT5_21rocsparse_index_base_b,"axG",@progbits,_ZN9rocsparseL21csrmvt_general_kernelILj256ELj4Ell21rocsparse_complex_numIfES2_S2_S2_EEvbbT2_NS_24const_host_device_scalarIT6_EEPKT1_S9_PKS3_PKT3_PKT4_PT5_21rocsparse_index_base_b,comdat
	.globl	_ZN9rocsparseL21csrmvt_general_kernelILj256ELj4Ell21rocsparse_complex_numIfES2_S2_S2_EEvbbT2_NS_24const_host_device_scalarIT6_EEPKT1_S9_PKS3_PKT3_PKT4_PT5_21rocsparse_index_base_b ; -- Begin function _ZN9rocsparseL21csrmvt_general_kernelILj256ELj4Ell21rocsparse_complex_numIfES2_S2_S2_EEvbbT2_NS_24const_host_device_scalarIT6_EEPKT1_S9_PKS3_PKT3_PKT4_PT5_21rocsparse_index_base_b
	.p2align	8
	.type	_ZN9rocsparseL21csrmvt_general_kernelILj256ELj4Ell21rocsparse_complex_numIfES2_S2_S2_EEvbbT2_NS_24const_host_device_scalarIT6_EEPKT1_S9_PKS3_PKT3_PKT4_PT5_21rocsparse_index_base_b,@function
_ZN9rocsparseL21csrmvt_general_kernelILj256ELj4Ell21rocsparse_complex_numIfES2_S2_S2_EEvbbT2_NS_24const_host_device_scalarIT6_EEPKT1_S9_PKS3_PKT3_PKT4_PT5_21rocsparse_index_base_b: ; @_ZN9rocsparseL21csrmvt_general_kernelILj256ELj4Ell21rocsparse_complex_numIfES2_S2_S2_EEvbbT2_NS_24const_host_device_scalarIT6_EEPKT1_S9_PKS3_PKT3_PKT4_PT5_21rocsparse_index_base_b
; %bb.0:
	s_load_dwordx2 s[2:3], s[4:5], 0x48
	s_load_dwordx2 s[0:1], s[4:5], 0x10
	s_load_dwordx8 s[8:15], s[4:5], 0x8
	s_waitcnt lgkmcnt(0)
	s_bitcmp1_b32 s3, 0
	s_cselect_b64 s[18:19], -1, 0
	s_xor_b64 s[16:17], s[18:19], -1
	s_and_b64 vcc, exec, s[18:19]
	v_mov_b32_e32 v14, s0
	s_cbranch_vccnz .LBB94_2
; %bb.1:
	v_pk_mov_b32 v[2:3], s[10:11], s[10:11] op_sel:[0,1]
	flat_load_dword v14, v[2:3]
.LBB94_2:
	s_andn2_b64 vcc, exec, s[16:17]
	v_mov_b32_e32 v15, s1
	s_cbranch_vccnz .LBB94_4
; %bb.3:
	v_pk_mov_b32 v[2:3], s[10:11], s[10:11] op_sel:[0,1]
	flat_load_dword v15, v[2:3] offset:4
.LBB94_4:
	s_waitcnt vmcnt(0) lgkmcnt(0)
	v_cmp_neq_f32_e32 vcc, 0, v14
	v_cmp_neq_f32_e64 s[0:1], 0, v15
	s_or_b64 s[0:1], vcc, s[0:1]
	s_and_saveexec_b64 s[10:11], s[0:1]
	s_cbranch_execz .LBB94_29
; %bb.5:
	s_load_dword s0, s[4:5], 0x0
	s_load_dwordx8 s[16:23], s[4:5], 0x28
	s_load_dword s1, s[4:5], 0x50
	v_and_b32_e32 v16, 3, v0
	v_lshl_or_b32 v0, s6, 8, v0
	s_waitcnt lgkmcnt(0)
	s_and_b32 s7, s0, 1
	s_bitcmp1_b32 s0, 8
	s_cselect_b64 s[4:5], -1, 0
	s_lshl_b32 s3, s1, 6
	v_lshrrev_b32_e32 v0, 2, v0
	v_mov_b32_e32 v1, 0
	s_cmp_eq_u32 s7, 0
	v_cmp_gt_i64_e64 s[0:1], s[8:9], v[0:1]
	s_mov_b64 s[6:7], -1
	s_cbranch_scc0 .LBB94_17
; %bb.6:
	s_and_saveexec_b64 s[6:7], s[0:1]
	s_cbranch_execz .LBB94_16
; %bb.7:
	v_subrev_co_u32_e32 v17, vcc, s2, v16
	s_mov_b32 s24, 0
	v_subb_co_u32_e64 v18, s[10:11], 0, 0, vcc
	s_mov_b64 s[10:11], 0
	v_mov_b32_e32 v19, s13
	v_mov_b32_e32 v20, s15
	;; [unrolled: 1-line block ×3, first 2 shown]
	v_pk_mov_b32 v[2:3], v[0:1], v[0:1] op_sel:[0,1]
	s_branch .LBB94_9
.LBB94_8:                               ;   in Loop: Header=BB94_9 Depth=1
	s_or_b64 exec, exec, s[24:25]
	v_add_co_u32_e32 v2, vcc, s3, v2
	v_addc_co_u32_e32 v3, vcc, 0, v3, vcc
	v_cmp_le_i64_e32 vcc, s[8:9], v[2:3]
	s_or_b64 s[10:11], vcc, s[10:11]
	s_andn2_b64 exec, exec, s[10:11]
	s_cbranch_execz .LBB94_16
.LBB94_9:                               ; =>This Loop Header: Depth=1
                                        ;     Child Loop BB94_11 Depth 2
                                        ;       Child Loop BB94_12 Depth 3
                                        ;       Child Loop BB94_14 Depth 3
	v_lshlrev_b64 v[8:9], 3, v[2:3]
	v_add_co_u32_e32 v4, vcc, s14, v8
	v_addc_co_u32_e32 v5, vcc, v20, v9, vcc
	global_load_dwordx2 v[4:5], v[4:5], off
	v_add_co_u32_e32 v6, vcc, s12, v8
	v_addc_co_u32_e32 v7, vcc, v19, v9, vcc
	global_load_dwordx2 v[6:7], v[6:7], off
	s_waitcnt vmcnt(1)
	v_subrev_co_u32_e32 v4, vcc, s2, v4
	v_subb_co_u32_e32 v5, vcc, v5, v21, vcc
	s_waitcnt vmcnt(0)
	v_add_co_u32_e32 v6, vcc, v6, v17
	v_addc_co_u32_e32 v7, vcc, v7, v18, vcc
	v_cmp_lt_i64_e32 vcc, v[6:7], v[4:5]
	s_and_saveexec_b64 s[24:25], vcc
	s_cbranch_execz .LBB94_8
; %bb.10:                               ;   in Loop: Header=BB94_9 Depth=1
	v_mov_b32_e32 v10, s21
	v_add_co_u32_e32 v8, vcc, s20, v8
	v_addc_co_u32_e32 v9, vcc, v10, v9, vcc
	global_load_dwordx2 v[8:9], v[8:9], off
	s_mov_b64 s[26:27], 0
	s_waitcnt vmcnt(0)
	v_mul_f32_e64 v22, v9, -v15
	v_mul_f32_e32 v23, v14, v9
	v_fmac_f32_e32 v22, v14, v8
	v_fmac_f32_e32 v23, v15, v8
.LBB94_11:                              ;   Parent Loop BB94_9 Depth=1
                                        ; =>  This Loop Header: Depth=2
                                        ;       Child Loop BB94_12 Depth 3
                                        ;       Child Loop BB94_14 Depth 3
	v_lshlrev_b64 v[8:9], 3, v[6:7]
	v_mov_b32_e32 v11, s17
	v_add_co_u32_e32 v10, vcc, s16, v8
	v_addc_co_u32_e32 v11, vcc, v11, v9, vcc
	global_load_dwordx2 v[12:13], v[10:11], off
	v_mov_b32_e32 v10, s19
	v_add_co_u32_e32 v8, vcc, s18, v8
	v_addc_co_u32_e32 v9, vcc, v10, v9, vcc
	global_load_dwordx2 v[10:11], v[8:9], off
	v_mov_b32_e32 v24, s23
	s_mov_b64 s[28:29], 0
	s_waitcnt vmcnt(1)
	v_subrev_co_u32_e32 v8, vcc, s2, v12
	v_subb_co_u32_e32 v9, vcc, v13, v21, vcc
	v_lshlrev_b64 v[8:9], 3, v[8:9]
	v_add_co_u32_e32 v8, vcc, s22, v8
	v_addc_co_u32_e32 v9, vcc, v24, v9, vcc
	global_load_dword v13, v[8:9], off
	s_waitcnt vmcnt(1)
	v_cndmask_b32_e64 v24, v11, -v11, s[4:5]
	v_mul_f32_e64 v11, v24, -v23
	v_fmac_f32_e32 v11, v22, v10
.LBB94_12:                              ;   Parent Loop BB94_9 Depth=1
                                        ;     Parent Loop BB94_11 Depth=2
                                        ; =>    This Inner Loop Header: Depth=3
	s_waitcnt vmcnt(0)
	v_add_f32_e32 v12, v13, v11
	global_atomic_cmpswap v12, v[8:9], v[12:13], off glc
	s_waitcnt vmcnt(0)
	v_cmp_eq_u32_e32 vcc, v12, v13
	s_or_b64 s[28:29], vcc, s[28:29]
	v_mov_b32_e32 v13, v12
	s_andn2_b64 exec, exec, s[28:29]
	s_cbranch_execnz .LBB94_12
; %bb.13:                               ;   in Loop: Header=BB94_11 Depth=2
	s_or_b64 exec, exec, s[28:29]
	global_load_dword v11, v[8:9], off offset:4
	v_mul_f32_e32 v12, v22, v24
	v_fmac_f32_e32 v12, v23, v10
	s_mov_b64 s[28:29], 0
.LBB94_14:                              ;   Parent Loop BB94_9 Depth=1
                                        ;     Parent Loop BB94_11 Depth=2
                                        ; =>    This Inner Loop Header: Depth=3
	s_waitcnt vmcnt(0)
	v_add_f32_e32 v10, v11, v12
	global_atomic_cmpswap v10, v[8:9], v[10:11], off offset:4 glc
	s_waitcnt vmcnt(0)
	v_cmp_eq_u32_e32 vcc, v10, v11
	s_or_b64 s[28:29], vcc, s[28:29]
	v_mov_b32_e32 v11, v10
	s_andn2_b64 exec, exec, s[28:29]
	s_cbranch_execnz .LBB94_14
; %bb.15:                               ;   in Loop: Header=BB94_11 Depth=2
	s_or_b64 exec, exec, s[28:29]
	v_add_co_u32_e32 v6, vcc, 4, v6
	v_addc_co_u32_e32 v7, vcc, 0, v7, vcc
	v_cmp_ge_i64_e32 vcc, v[6:7], v[4:5]
	s_or_b64 s[26:27], vcc, s[26:27]
	s_andn2_b64 exec, exec, s[26:27]
	s_cbranch_execnz .LBB94_11
	s_branch .LBB94_8
.LBB94_16:
	s_or_b64 exec, exec, s[6:7]
	s_mov_b64 s[6:7], 0
.LBB94_17:
	s_andn2_b64 vcc, exec, s[6:7]
	s_cbranch_vccnz .LBB94_29
; %bb.18:
	s_and_b64 exec, exec, s[0:1]
	s_cbranch_execz .LBB94_29
; %bb.19:
	v_subrev_co_u32_e32 v12, vcc, s2, v16
	s_mov_b32 s6, 0
	v_subb_co_u32_e64 v13, s[0:1], 0, 0, vcc
	s_mov_b64 s[0:1], 0
	v_mov_b32_e32 v16, s13
	v_mov_b32_e32 v17, s15
	;; [unrolled: 1-line block ×3, first 2 shown]
	s_branch .LBB94_21
.LBB94_20:                              ;   in Loop: Header=BB94_21 Depth=1
	s_or_b64 exec, exec, s[6:7]
	v_add_co_u32_e32 v0, vcc, s3, v0
	v_addc_co_u32_e32 v1, vcc, 0, v1, vcc
	v_cmp_le_i64_e32 vcc, s[8:9], v[0:1]
	s_or_b64 s[0:1], vcc, s[0:1]
	s_andn2_b64 exec, exec, s[0:1]
	s_cbranch_execz .LBB94_29
.LBB94_21:                              ; =>This Loop Header: Depth=1
                                        ;     Child Loop BB94_24 Depth 2
                                        ;       Child Loop BB94_26 Depth 3
                                        ;       Child Loop BB94_28 Depth 3
	v_lshlrev_b64 v[6:7], 3, v[0:1]
	v_add_co_u32_e32 v2, vcc, s14, v6
	v_addc_co_u32_e32 v3, vcc, v17, v7, vcc
	global_load_dwordx2 v[2:3], v[2:3], off
	v_add_co_u32_e32 v4, vcc, s12, v6
	v_addc_co_u32_e32 v5, vcc, v16, v7, vcc
	global_load_dwordx2 v[4:5], v[4:5], off
	s_waitcnt vmcnt(1)
	v_subrev_co_u32_e32 v2, vcc, s2, v2
	v_subb_co_u32_e32 v3, vcc, v3, v18, vcc
	s_waitcnt vmcnt(0)
	v_add_co_u32_e32 v4, vcc, v4, v12
	v_addc_co_u32_e32 v5, vcc, v5, v13, vcc
	v_cmp_lt_i64_e32 vcc, v[4:5], v[2:3]
	s_and_saveexec_b64 s[6:7], vcc
	s_cbranch_execz .LBB94_20
; %bb.22:                               ;   in Loop: Header=BB94_21 Depth=1
	v_mov_b32_e32 v8, s21
	v_add_co_u32_e32 v6, vcc, s20, v6
	v_addc_co_u32_e32 v7, vcc, v8, v7, vcc
	global_load_dwordx2 v[6:7], v[6:7], off
	s_mov_b64 s[10:11], 0
	s_waitcnt vmcnt(0)
	v_mul_f32_e64 v19, v7, -v15
	v_mul_f32_e32 v20, v14, v7
	v_fmac_f32_e32 v19, v14, v6
	v_fmac_f32_e32 v20, v15, v6
	s_branch .LBB94_24
.LBB94_23:                              ;   in Loop: Header=BB94_24 Depth=2
	s_or_b64 exec, exec, s[24:25]
	v_add_co_u32_e32 v4, vcc, 4, v4
	v_addc_co_u32_e32 v5, vcc, 0, v5, vcc
	v_cmp_ge_i64_e32 vcc, v[4:5], v[2:3]
	s_or_b64 s[10:11], vcc, s[10:11]
	s_andn2_b64 exec, exec, s[10:11]
	s_cbranch_execz .LBB94_20
.LBB94_24:                              ;   Parent Loop BB94_21 Depth=1
                                        ; =>  This Loop Header: Depth=2
                                        ;       Child Loop BB94_26 Depth 3
                                        ;       Child Loop BB94_28 Depth 3
	v_lshlrev_b64 v[6:7], 3, v[4:5]
	v_mov_b32_e32 v9, s17
	v_add_co_u32_e32 v8, vcc, s16, v6
	v_addc_co_u32_e32 v9, vcc, v9, v7, vcc
	global_load_dwordx2 v[8:9], v[8:9], off
	s_waitcnt vmcnt(0)
	v_subrev_co_u32_e32 v10, vcc, s2, v8
	v_subb_co_u32_e32 v11, vcc, v9, v18, vcc
	v_cmp_ne_u64_e32 vcc, v[10:11], v[0:1]
	s_and_saveexec_b64 s[24:25], vcc
	s_cbranch_execz .LBB94_23
; %bb.25:                               ;   in Loop: Header=BB94_24 Depth=2
	v_mov_b32_e32 v8, s19
	v_add_co_u32_e32 v6, vcc, s18, v6
	v_addc_co_u32_e32 v7, vcc, v8, v7, vcc
	global_load_dwordx2 v[8:9], v[6:7], off
	v_lshlrev_b64 v[6:7], 3, v[10:11]
	v_mov_b32_e32 v10, s23
	v_add_co_u32_e32 v6, vcc, s22, v6
	v_addc_co_u32_e32 v7, vcc, v10, v7, vcc
	global_load_dword v11, v[6:7], off
	s_mov_b64 s[26:27], 0
	s_waitcnt vmcnt(1)
	v_cndmask_b32_e64 v21, v9, -v9, s[4:5]
	v_mul_f32_e64 v9, v21, -v20
	v_fmac_f32_e32 v9, v19, v8
.LBB94_26:                              ;   Parent Loop BB94_21 Depth=1
                                        ;     Parent Loop BB94_24 Depth=2
                                        ; =>    This Inner Loop Header: Depth=3
	s_waitcnt vmcnt(0)
	v_add_f32_e32 v10, v11, v9
	global_atomic_cmpswap v10, v[6:7], v[10:11], off glc
	s_waitcnt vmcnt(0)
	v_cmp_eq_u32_e32 vcc, v10, v11
	s_or_b64 s[26:27], vcc, s[26:27]
	v_mov_b32_e32 v11, v10
	s_andn2_b64 exec, exec, s[26:27]
	s_cbranch_execnz .LBB94_26
; %bb.27:                               ;   in Loop: Header=BB94_24 Depth=2
	s_or_b64 exec, exec, s[26:27]
	global_load_dword v9, v[6:7], off offset:4
	v_mul_f32_e32 v10, v19, v21
	v_fmac_f32_e32 v10, v20, v8
	s_mov_b64 s[26:27], 0
.LBB94_28:                              ;   Parent Loop BB94_21 Depth=1
                                        ;     Parent Loop BB94_24 Depth=2
                                        ; =>    This Inner Loop Header: Depth=3
	s_waitcnt vmcnt(0)
	v_add_f32_e32 v8, v9, v10
	global_atomic_cmpswap v8, v[6:7], v[8:9], off offset:4 glc
	s_waitcnt vmcnt(0)
	v_cmp_eq_u32_e32 vcc, v8, v9
	s_or_b64 s[26:27], vcc, s[26:27]
	v_mov_b32_e32 v9, v8
	s_andn2_b64 exec, exec, s[26:27]
	s_cbranch_execnz .LBB94_28
	s_branch .LBB94_23
.LBB94_29:
	s_endpgm
	.section	.rodata,"a",@progbits
	.p2align	6, 0x0
	.amdhsa_kernel _ZN9rocsparseL21csrmvt_general_kernelILj256ELj4Ell21rocsparse_complex_numIfES2_S2_S2_EEvbbT2_NS_24const_host_device_scalarIT6_EEPKT1_S9_PKS3_PKT3_PKT4_PT5_21rocsparse_index_base_b
		.amdhsa_group_segment_fixed_size 0
		.amdhsa_private_segment_fixed_size 0
		.amdhsa_kernarg_size 336
		.amdhsa_user_sgpr_count 6
		.amdhsa_user_sgpr_private_segment_buffer 1
		.amdhsa_user_sgpr_dispatch_ptr 0
		.amdhsa_user_sgpr_queue_ptr 0
		.amdhsa_user_sgpr_kernarg_segment_ptr 1
		.amdhsa_user_sgpr_dispatch_id 0
		.amdhsa_user_sgpr_flat_scratch_init 0
		.amdhsa_user_sgpr_kernarg_preload_length 0
		.amdhsa_user_sgpr_kernarg_preload_offset 0
		.amdhsa_user_sgpr_private_segment_size 0
		.amdhsa_uses_dynamic_stack 0
		.amdhsa_system_sgpr_private_segment_wavefront_offset 0
		.amdhsa_system_sgpr_workgroup_id_x 1
		.amdhsa_system_sgpr_workgroup_id_y 0
		.amdhsa_system_sgpr_workgroup_id_z 0
		.amdhsa_system_sgpr_workgroup_info 0
		.amdhsa_system_vgpr_workitem_id 0
		.amdhsa_next_free_vgpr 25
		.amdhsa_next_free_sgpr 30
		.amdhsa_accum_offset 28
		.amdhsa_reserve_vcc 1
		.amdhsa_reserve_flat_scratch 0
		.amdhsa_float_round_mode_32 0
		.amdhsa_float_round_mode_16_64 0
		.amdhsa_float_denorm_mode_32 3
		.amdhsa_float_denorm_mode_16_64 3
		.amdhsa_dx10_clamp 1
		.amdhsa_ieee_mode 1
		.amdhsa_fp16_overflow 0
		.amdhsa_tg_split 0
		.amdhsa_exception_fp_ieee_invalid_op 0
		.amdhsa_exception_fp_denorm_src 0
		.amdhsa_exception_fp_ieee_div_zero 0
		.amdhsa_exception_fp_ieee_overflow 0
		.amdhsa_exception_fp_ieee_underflow 0
		.amdhsa_exception_fp_ieee_inexact 0
		.amdhsa_exception_int_div_zero 0
	.end_amdhsa_kernel
	.section	.text._ZN9rocsparseL21csrmvt_general_kernelILj256ELj4Ell21rocsparse_complex_numIfES2_S2_S2_EEvbbT2_NS_24const_host_device_scalarIT6_EEPKT1_S9_PKS3_PKT3_PKT4_PT5_21rocsparse_index_base_b,"axG",@progbits,_ZN9rocsparseL21csrmvt_general_kernelILj256ELj4Ell21rocsparse_complex_numIfES2_S2_S2_EEvbbT2_NS_24const_host_device_scalarIT6_EEPKT1_S9_PKS3_PKT3_PKT4_PT5_21rocsparse_index_base_b,comdat
.Lfunc_end94:
	.size	_ZN9rocsparseL21csrmvt_general_kernelILj256ELj4Ell21rocsparse_complex_numIfES2_S2_S2_EEvbbT2_NS_24const_host_device_scalarIT6_EEPKT1_S9_PKS3_PKT3_PKT4_PT5_21rocsparse_index_base_b, .Lfunc_end94-_ZN9rocsparseL21csrmvt_general_kernelILj256ELj4Ell21rocsparse_complex_numIfES2_S2_S2_EEvbbT2_NS_24const_host_device_scalarIT6_EEPKT1_S9_PKS3_PKT3_PKT4_PT5_21rocsparse_index_base_b
                                        ; -- End function
	.section	.AMDGPU.csdata,"",@progbits
; Kernel info:
; codeLenInByte = 1148
; NumSgprs: 34
; NumVgprs: 25
; NumAgprs: 0
; TotalNumVgprs: 25
; ScratchSize: 0
; MemoryBound: 0
; FloatMode: 240
; IeeeMode: 1
; LDSByteSize: 0 bytes/workgroup (compile time only)
; SGPRBlocks: 4
; VGPRBlocks: 3
; NumSGPRsForWavesPerEU: 34
; NumVGPRsForWavesPerEU: 25
; AccumOffset: 28
; Occupancy: 8
; WaveLimiterHint : 1
; COMPUTE_PGM_RSRC2:SCRATCH_EN: 0
; COMPUTE_PGM_RSRC2:USER_SGPR: 6
; COMPUTE_PGM_RSRC2:TRAP_HANDLER: 0
; COMPUTE_PGM_RSRC2:TGID_X_EN: 1
; COMPUTE_PGM_RSRC2:TGID_Y_EN: 0
; COMPUTE_PGM_RSRC2:TGID_Z_EN: 0
; COMPUTE_PGM_RSRC2:TIDIG_COMP_CNT: 0
; COMPUTE_PGM_RSRC3_GFX90A:ACCUM_OFFSET: 6
; COMPUTE_PGM_RSRC3_GFX90A:TG_SPLIT: 0
	.section	.text._ZN9rocsparseL21csrmvt_general_kernelILj256ELj8Ell21rocsparse_complex_numIfES2_S2_S2_EEvbbT2_NS_24const_host_device_scalarIT6_EEPKT1_S9_PKS3_PKT3_PKT4_PT5_21rocsparse_index_base_b,"axG",@progbits,_ZN9rocsparseL21csrmvt_general_kernelILj256ELj8Ell21rocsparse_complex_numIfES2_S2_S2_EEvbbT2_NS_24const_host_device_scalarIT6_EEPKT1_S9_PKS3_PKT3_PKT4_PT5_21rocsparse_index_base_b,comdat
	.globl	_ZN9rocsparseL21csrmvt_general_kernelILj256ELj8Ell21rocsparse_complex_numIfES2_S2_S2_EEvbbT2_NS_24const_host_device_scalarIT6_EEPKT1_S9_PKS3_PKT3_PKT4_PT5_21rocsparse_index_base_b ; -- Begin function _ZN9rocsparseL21csrmvt_general_kernelILj256ELj8Ell21rocsparse_complex_numIfES2_S2_S2_EEvbbT2_NS_24const_host_device_scalarIT6_EEPKT1_S9_PKS3_PKT3_PKT4_PT5_21rocsparse_index_base_b
	.p2align	8
	.type	_ZN9rocsparseL21csrmvt_general_kernelILj256ELj8Ell21rocsparse_complex_numIfES2_S2_S2_EEvbbT2_NS_24const_host_device_scalarIT6_EEPKT1_S9_PKS3_PKT3_PKT4_PT5_21rocsparse_index_base_b,@function
_ZN9rocsparseL21csrmvt_general_kernelILj256ELj8Ell21rocsparse_complex_numIfES2_S2_S2_EEvbbT2_NS_24const_host_device_scalarIT6_EEPKT1_S9_PKS3_PKT3_PKT4_PT5_21rocsparse_index_base_b: ; @_ZN9rocsparseL21csrmvt_general_kernelILj256ELj8Ell21rocsparse_complex_numIfES2_S2_S2_EEvbbT2_NS_24const_host_device_scalarIT6_EEPKT1_S9_PKS3_PKT3_PKT4_PT5_21rocsparse_index_base_b
; %bb.0:
	s_load_dwordx2 s[2:3], s[4:5], 0x48
	s_load_dwordx2 s[0:1], s[4:5], 0x10
	s_load_dwordx8 s[8:15], s[4:5], 0x8
	s_waitcnt lgkmcnt(0)
	s_bitcmp1_b32 s3, 0
	s_cselect_b64 s[18:19], -1, 0
	s_xor_b64 s[16:17], s[18:19], -1
	s_and_b64 vcc, exec, s[18:19]
	v_mov_b32_e32 v14, s0
	s_cbranch_vccnz .LBB95_2
; %bb.1:
	v_pk_mov_b32 v[2:3], s[10:11], s[10:11] op_sel:[0,1]
	flat_load_dword v14, v[2:3]
.LBB95_2:
	s_andn2_b64 vcc, exec, s[16:17]
	v_mov_b32_e32 v15, s1
	s_cbranch_vccnz .LBB95_4
; %bb.3:
	v_pk_mov_b32 v[2:3], s[10:11], s[10:11] op_sel:[0,1]
	flat_load_dword v15, v[2:3] offset:4
.LBB95_4:
	s_waitcnt vmcnt(0) lgkmcnt(0)
	v_cmp_neq_f32_e32 vcc, 0, v14
	v_cmp_neq_f32_e64 s[0:1], 0, v15
	s_or_b64 s[0:1], vcc, s[0:1]
	s_and_saveexec_b64 s[10:11], s[0:1]
	s_cbranch_execz .LBB95_29
; %bb.5:
	s_load_dword s0, s[4:5], 0x0
	s_load_dwordx8 s[16:23], s[4:5], 0x28
	s_load_dword s1, s[4:5], 0x50
	v_and_b32_e32 v16, 7, v0
	v_lshl_or_b32 v0, s6, 8, v0
	s_waitcnt lgkmcnt(0)
	s_and_b32 s7, s0, 1
	s_bitcmp1_b32 s0, 8
	s_cselect_b64 s[4:5], -1, 0
	s_lshl_b32 s3, s1, 5
	v_lshrrev_b32_e32 v0, 3, v0
	v_mov_b32_e32 v1, 0
	s_cmp_eq_u32 s7, 0
	v_cmp_gt_i64_e64 s[0:1], s[8:9], v[0:1]
	s_mov_b64 s[6:7], -1
	s_cbranch_scc0 .LBB95_17
; %bb.6:
	s_and_saveexec_b64 s[6:7], s[0:1]
	s_cbranch_execz .LBB95_16
; %bb.7:
	v_subrev_co_u32_e32 v17, vcc, s2, v16
	s_mov_b32 s24, 0
	v_subb_co_u32_e64 v18, s[10:11], 0, 0, vcc
	s_mov_b64 s[10:11], 0
	v_mov_b32_e32 v19, s13
	v_mov_b32_e32 v20, s15
	;; [unrolled: 1-line block ×3, first 2 shown]
	v_pk_mov_b32 v[2:3], v[0:1], v[0:1] op_sel:[0,1]
	s_branch .LBB95_9
.LBB95_8:                               ;   in Loop: Header=BB95_9 Depth=1
	s_or_b64 exec, exec, s[24:25]
	v_add_co_u32_e32 v2, vcc, s3, v2
	v_addc_co_u32_e32 v3, vcc, 0, v3, vcc
	v_cmp_le_i64_e32 vcc, s[8:9], v[2:3]
	s_or_b64 s[10:11], vcc, s[10:11]
	s_andn2_b64 exec, exec, s[10:11]
	s_cbranch_execz .LBB95_16
.LBB95_9:                               ; =>This Loop Header: Depth=1
                                        ;     Child Loop BB95_11 Depth 2
                                        ;       Child Loop BB95_12 Depth 3
                                        ;       Child Loop BB95_14 Depth 3
	v_lshlrev_b64 v[8:9], 3, v[2:3]
	v_add_co_u32_e32 v4, vcc, s14, v8
	v_addc_co_u32_e32 v5, vcc, v20, v9, vcc
	global_load_dwordx2 v[4:5], v[4:5], off
	v_add_co_u32_e32 v6, vcc, s12, v8
	v_addc_co_u32_e32 v7, vcc, v19, v9, vcc
	global_load_dwordx2 v[6:7], v[6:7], off
	s_waitcnt vmcnt(1)
	v_subrev_co_u32_e32 v4, vcc, s2, v4
	v_subb_co_u32_e32 v5, vcc, v5, v21, vcc
	s_waitcnt vmcnt(0)
	v_add_co_u32_e32 v6, vcc, v6, v17
	v_addc_co_u32_e32 v7, vcc, v7, v18, vcc
	v_cmp_lt_i64_e32 vcc, v[6:7], v[4:5]
	s_and_saveexec_b64 s[24:25], vcc
	s_cbranch_execz .LBB95_8
; %bb.10:                               ;   in Loop: Header=BB95_9 Depth=1
	v_mov_b32_e32 v10, s21
	v_add_co_u32_e32 v8, vcc, s20, v8
	v_addc_co_u32_e32 v9, vcc, v10, v9, vcc
	global_load_dwordx2 v[8:9], v[8:9], off
	s_mov_b64 s[26:27], 0
	s_waitcnt vmcnt(0)
	v_mul_f32_e64 v22, v9, -v15
	v_mul_f32_e32 v23, v14, v9
	v_fmac_f32_e32 v22, v14, v8
	v_fmac_f32_e32 v23, v15, v8
.LBB95_11:                              ;   Parent Loop BB95_9 Depth=1
                                        ; =>  This Loop Header: Depth=2
                                        ;       Child Loop BB95_12 Depth 3
                                        ;       Child Loop BB95_14 Depth 3
	v_lshlrev_b64 v[8:9], 3, v[6:7]
	v_mov_b32_e32 v11, s17
	v_add_co_u32_e32 v10, vcc, s16, v8
	v_addc_co_u32_e32 v11, vcc, v11, v9, vcc
	global_load_dwordx2 v[12:13], v[10:11], off
	v_mov_b32_e32 v10, s19
	v_add_co_u32_e32 v8, vcc, s18, v8
	v_addc_co_u32_e32 v9, vcc, v10, v9, vcc
	global_load_dwordx2 v[10:11], v[8:9], off
	v_mov_b32_e32 v24, s23
	s_mov_b64 s[28:29], 0
	s_waitcnt vmcnt(1)
	v_subrev_co_u32_e32 v8, vcc, s2, v12
	v_subb_co_u32_e32 v9, vcc, v13, v21, vcc
	v_lshlrev_b64 v[8:9], 3, v[8:9]
	v_add_co_u32_e32 v8, vcc, s22, v8
	v_addc_co_u32_e32 v9, vcc, v24, v9, vcc
	global_load_dword v13, v[8:9], off
	s_waitcnt vmcnt(1)
	v_cndmask_b32_e64 v24, v11, -v11, s[4:5]
	v_mul_f32_e64 v11, v24, -v23
	v_fmac_f32_e32 v11, v22, v10
.LBB95_12:                              ;   Parent Loop BB95_9 Depth=1
                                        ;     Parent Loop BB95_11 Depth=2
                                        ; =>    This Inner Loop Header: Depth=3
	s_waitcnt vmcnt(0)
	v_add_f32_e32 v12, v13, v11
	global_atomic_cmpswap v12, v[8:9], v[12:13], off glc
	s_waitcnt vmcnt(0)
	v_cmp_eq_u32_e32 vcc, v12, v13
	s_or_b64 s[28:29], vcc, s[28:29]
	v_mov_b32_e32 v13, v12
	s_andn2_b64 exec, exec, s[28:29]
	s_cbranch_execnz .LBB95_12
; %bb.13:                               ;   in Loop: Header=BB95_11 Depth=2
	s_or_b64 exec, exec, s[28:29]
	global_load_dword v11, v[8:9], off offset:4
	v_mul_f32_e32 v12, v22, v24
	v_fmac_f32_e32 v12, v23, v10
	s_mov_b64 s[28:29], 0
.LBB95_14:                              ;   Parent Loop BB95_9 Depth=1
                                        ;     Parent Loop BB95_11 Depth=2
                                        ; =>    This Inner Loop Header: Depth=3
	s_waitcnt vmcnt(0)
	v_add_f32_e32 v10, v11, v12
	global_atomic_cmpswap v10, v[8:9], v[10:11], off offset:4 glc
	s_waitcnt vmcnt(0)
	v_cmp_eq_u32_e32 vcc, v10, v11
	s_or_b64 s[28:29], vcc, s[28:29]
	v_mov_b32_e32 v11, v10
	s_andn2_b64 exec, exec, s[28:29]
	s_cbranch_execnz .LBB95_14
; %bb.15:                               ;   in Loop: Header=BB95_11 Depth=2
	s_or_b64 exec, exec, s[28:29]
	v_add_co_u32_e32 v6, vcc, 8, v6
	v_addc_co_u32_e32 v7, vcc, 0, v7, vcc
	v_cmp_ge_i64_e32 vcc, v[6:7], v[4:5]
	s_or_b64 s[26:27], vcc, s[26:27]
	s_andn2_b64 exec, exec, s[26:27]
	s_cbranch_execnz .LBB95_11
	s_branch .LBB95_8
.LBB95_16:
	s_or_b64 exec, exec, s[6:7]
	s_mov_b64 s[6:7], 0
.LBB95_17:
	s_andn2_b64 vcc, exec, s[6:7]
	s_cbranch_vccnz .LBB95_29
; %bb.18:
	s_and_b64 exec, exec, s[0:1]
	s_cbranch_execz .LBB95_29
; %bb.19:
	v_subrev_co_u32_e32 v12, vcc, s2, v16
	s_mov_b32 s6, 0
	v_subb_co_u32_e64 v13, s[0:1], 0, 0, vcc
	s_mov_b64 s[0:1], 0
	v_mov_b32_e32 v16, s13
	v_mov_b32_e32 v17, s15
	;; [unrolled: 1-line block ×3, first 2 shown]
	s_branch .LBB95_21
.LBB95_20:                              ;   in Loop: Header=BB95_21 Depth=1
	s_or_b64 exec, exec, s[6:7]
	v_add_co_u32_e32 v0, vcc, s3, v0
	v_addc_co_u32_e32 v1, vcc, 0, v1, vcc
	v_cmp_le_i64_e32 vcc, s[8:9], v[0:1]
	s_or_b64 s[0:1], vcc, s[0:1]
	s_andn2_b64 exec, exec, s[0:1]
	s_cbranch_execz .LBB95_29
.LBB95_21:                              ; =>This Loop Header: Depth=1
                                        ;     Child Loop BB95_24 Depth 2
                                        ;       Child Loop BB95_26 Depth 3
                                        ;       Child Loop BB95_28 Depth 3
	v_lshlrev_b64 v[6:7], 3, v[0:1]
	v_add_co_u32_e32 v2, vcc, s14, v6
	v_addc_co_u32_e32 v3, vcc, v17, v7, vcc
	global_load_dwordx2 v[2:3], v[2:3], off
	v_add_co_u32_e32 v4, vcc, s12, v6
	v_addc_co_u32_e32 v5, vcc, v16, v7, vcc
	global_load_dwordx2 v[4:5], v[4:5], off
	s_waitcnt vmcnt(1)
	v_subrev_co_u32_e32 v2, vcc, s2, v2
	v_subb_co_u32_e32 v3, vcc, v3, v18, vcc
	s_waitcnt vmcnt(0)
	v_add_co_u32_e32 v4, vcc, v4, v12
	v_addc_co_u32_e32 v5, vcc, v5, v13, vcc
	v_cmp_lt_i64_e32 vcc, v[4:5], v[2:3]
	s_and_saveexec_b64 s[6:7], vcc
	s_cbranch_execz .LBB95_20
; %bb.22:                               ;   in Loop: Header=BB95_21 Depth=1
	v_mov_b32_e32 v8, s21
	v_add_co_u32_e32 v6, vcc, s20, v6
	v_addc_co_u32_e32 v7, vcc, v8, v7, vcc
	global_load_dwordx2 v[6:7], v[6:7], off
	s_mov_b64 s[10:11], 0
	s_waitcnt vmcnt(0)
	v_mul_f32_e64 v19, v7, -v15
	v_mul_f32_e32 v20, v14, v7
	v_fmac_f32_e32 v19, v14, v6
	v_fmac_f32_e32 v20, v15, v6
	s_branch .LBB95_24
.LBB95_23:                              ;   in Loop: Header=BB95_24 Depth=2
	s_or_b64 exec, exec, s[24:25]
	v_add_co_u32_e32 v4, vcc, 8, v4
	v_addc_co_u32_e32 v5, vcc, 0, v5, vcc
	v_cmp_ge_i64_e32 vcc, v[4:5], v[2:3]
	s_or_b64 s[10:11], vcc, s[10:11]
	s_andn2_b64 exec, exec, s[10:11]
	s_cbranch_execz .LBB95_20
.LBB95_24:                              ;   Parent Loop BB95_21 Depth=1
                                        ; =>  This Loop Header: Depth=2
                                        ;       Child Loop BB95_26 Depth 3
                                        ;       Child Loop BB95_28 Depth 3
	v_lshlrev_b64 v[6:7], 3, v[4:5]
	v_mov_b32_e32 v9, s17
	v_add_co_u32_e32 v8, vcc, s16, v6
	v_addc_co_u32_e32 v9, vcc, v9, v7, vcc
	global_load_dwordx2 v[8:9], v[8:9], off
	s_waitcnt vmcnt(0)
	v_subrev_co_u32_e32 v10, vcc, s2, v8
	v_subb_co_u32_e32 v11, vcc, v9, v18, vcc
	v_cmp_ne_u64_e32 vcc, v[10:11], v[0:1]
	s_and_saveexec_b64 s[24:25], vcc
	s_cbranch_execz .LBB95_23
; %bb.25:                               ;   in Loop: Header=BB95_24 Depth=2
	v_mov_b32_e32 v8, s19
	v_add_co_u32_e32 v6, vcc, s18, v6
	v_addc_co_u32_e32 v7, vcc, v8, v7, vcc
	global_load_dwordx2 v[8:9], v[6:7], off
	v_lshlrev_b64 v[6:7], 3, v[10:11]
	v_mov_b32_e32 v10, s23
	v_add_co_u32_e32 v6, vcc, s22, v6
	v_addc_co_u32_e32 v7, vcc, v10, v7, vcc
	global_load_dword v11, v[6:7], off
	s_mov_b64 s[26:27], 0
	s_waitcnt vmcnt(1)
	v_cndmask_b32_e64 v21, v9, -v9, s[4:5]
	v_mul_f32_e64 v9, v21, -v20
	v_fmac_f32_e32 v9, v19, v8
.LBB95_26:                              ;   Parent Loop BB95_21 Depth=1
                                        ;     Parent Loop BB95_24 Depth=2
                                        ; =>    This Inner Loop Header: Depth=3
	s_waitcnt vmcnt(0)
	v_add_f32_e32 v10, v11, v9
	global_atomic_cmpswap v10, v[6:7], v[10:11], off glc
	s_waitcnt vmcnt(0)
	v_cmp_eq_u32_e32 vcc, v10, v11
	s_or_b64 s[26:27], vcc, s[26:27]
	v_mov_b32_e32 v11, v10
	s_andn2_b64 exec, exec, s[26:27]
	s_cbranch_execnz .LBB95_26
; %bb.27:                               ;   in Loop: Header=BB95_24 Depth=2
	s_or_b64 exec, exec, s[26:27]
	global_load_dword v9, v[6:7], off offset:4
	v_mul_f32_e32 v10, v19, v21
	v_fmac_f32_e32 v10, v20, v8
	s_mov_b64 s[26:27], 0
.LBB95_28:                              ;   Parent Loop BB95_21 Depth=1
                                        ;     Parent Loop BB95_24 Depth=2
                                        ; =>    This Inner Loop Header: Depth=3
	s_waitcnt vmcnt(0)
	v_add_f32_e32 v8, v9, v10
	global_atomic_cmpswap v8, v[6:7], v[8:9], off offset:4 glc
	s_waitcnt vmcnt(0)
	v_cmp_eq_u32_e32 vcc, v8, v9
	s_or_b64 s[26:27], vcc, s[26:27]
	v_mov_b32_e32 v9, v8
	s_andn2_b64 exec, exec, s[26:27]
	s_cbranch_execnz .LBB95_28
	s_branch .LBB95_23
.LBB95_29:
	s_endpgm
	.section	.rodata,"a",@progbits
	.p2align	6, 0x0
	.amdhsa_kernel _ZN9rocsparseL21csrmvt_general_kernelILj256ELj8Ell21rocsparse_complex_numIfES2_S2_S2_EEvbbT2_NS_24const_host_device_scalarIT6_EEPKT1_S9_PKS3_PKT3_PKT4_PT5_21rocsparse_index_base_b
		.amdhsa_group_segment_fixed_size 0
		.amdhsa_private_segment_fixed_size 0
		.amdhsa_kernarg_size 336
		.amdhsa_user_sgpr_count 6
		.amdhsa_user_sgpr_private_segment_buffer 1
		.amdhsa_user_sgpr_dispatch_ptr 0
		.amdhsa_user_sgpr_queue_ptr 0
		.amdhsa_user_sgpr_kernarg_segment_ptr 1
		.amdhsa_user_sgpr_dispatch_id 0
		.amdhsa_user_sgpr_flat_scratch_init 0
		.amdhsa_user_sgpr_kernarg_preload_length 0
		.amdhsa_user_sgpr_kernarg_preload_offset 0
		.amdhsa_user_sgpr_private_segment_size 0
		.amdhsa_uses_dynamic_stack 0
		.amdhsa_system_sgpr_private_segment_wavefront_offset 0
		.amdhsa_system_sgpr_workgroup_id_x 1
		.amdhsa_system_sgpr_workgroup_id_y 0
		.amdhsa_system_sgpr_workgroup_id_z 0
		.amdhsa_system_sgpr_workgroup_info 0
		.amdhsa_system_vgpr_workitem_id 0
		.amdhsa_next_free_vgpr 25
		.amdhsa_next_free_sgpr 30
		.amdhsa_accum_offset 28
		.amdhsa_reserve_vcc 1
		.amdhsa_reserve_flat_scratch 0
		.amdhsa_float_round_mode_32 0
		.amdhsa_float_round_mode_16_64 0
		.amdhsa_float_denorm_mode_32 3
		.amdhsa_float_denorm_mode_16_64 3
		.amdhsa_dx10_clamp 1
		.amdhsa_ieee_mode 1
		.amdhsa_fp16_overflow 0
		.amdhsa_tg_split 0
		.amdhsa_exception_fp_ieee_invalid_op 0
		.amdhsa_exception_fp_denorm_src 0
		.amdhsa_exception_fp_ieee_div_zero 0
		.amdhsa_exception_fp_ieee_overflow 0
		.amdhsa_exception_fp_ieee_underflow 0
		.amdhsa_exception_fp_ieee_inexact 0
		.amdhsa_exception_int_div_zero 0
	.end_amdhsa_kernel
	.section	.text._ZN9rocsparseL21csrmvt_general_kernelILj256ELj8Ell21rocsparse_complex_numIfES2_S2_S2_EEvbbT2_NS_24const_host_device_scalarIT6_EEPKT1_S9_PKS3_PKT3_PKT4_PT5_21rocsparse_index_base_b,"axG",@progbits,_ZN9rocsparseL21csrmvt_general_kernelILj256ELj8Ell21rocsparse_complex_numIfES2_S2_S2_EEvbbT2_NS_24const_host_device_scalarIT6_EEPKT1_S9_PKS3_PKT3_PKT4_PT5_21rocsparse_index_base_b,comdat
.Lfunc_end95:
	.size	_ZN9rocsparseL21csrmvt_general_kernelILj256ELj8Ell21rocsparse_complex_numIfES2_S2_S2_EEvbbT2_NS_24const_host_device_scalarIT6_EEPKT1_S9_PKS3_PKT3_PKT4_PT5_21rocsparse_index_base_b, .Lfunc_end95-_ZN9rocsparseL21csrmvt_general_kernelILj256ELj8Ell21rocsparse_complex_numIfES2_S2_S2_EEvbbT2_NS_24const_host_device_scalarIT6_EEPKT1_S9_PKS3_PKT3_PKT4_PT5_21rocsparse_index_base_b
                                        ; -- End function
	.section	.AMDGPU.csdata,"",@progbits
; Kernel info:
; codeLenInByte = 1148
; NumSgprs: 34
; NumVgprs: 25
; NumAgprs: 0
; TotalNumVgprs: 25
; ScratchSize: 0
; MemoryBound: 0
; FloatMode: 240
; IeeeMode: 1
; LDSByteSize: 0 bytes/workgroup (compile time only)
; SGPRBlocks: 4
; VGPRBlocks: 3
; NumSGPRsForWavesPerEU: 34
; NumVGPRsForWavesPerEU: 25
; AccumOffset: 28
; Occupancy: 8
; WaveLimiterHint : 1
; COMPUTE_PGM_RSRC2:SCRATCH_EN: 0
; COMPUTE_PGM_RSRC2:USER_SGPR: 6
; COMPUTE_PGM_RSRC2:TRAP_HANDLER: 0
; COMPUTE_PGM_RSRC2:TGID_X_EN: 1
; COMPUTE_PGM_RSRC2:TGID_Y_EN: 0
; COMPUTE_PGM_RSRC2:TGID_Z_EN: 0
; COMPUTE_PGM_RSRC2:TIDIG_COMP_CNT: 0
; COMPUTE_PGM_RSRC3_GFX90A:ACCUM_OFFSET: 6
; COMPUTE_PGM_RSRC3_GFX90A:TG_SPLIT: 0
	.section	.text._ZN9rocsparseL21csrmvt_general_kernelILj256ELj16Ell21rocsparse_complex_numIfES2_S2_S2_EEvbbT2_NS_24const_host_device_scalarIT6_EEPKT1_S9_PKS3_PKT3_PKT4_PT5_21rocsparse_index_base_b,"axG",@progbits,_ZN9rocsparseL21csrmvt_general_kernelILj256ELj16Ell21rocsparse_complex_numIfES2_S2_S2_EEvbbT2_NS_24const_host_device_scalarIT6_EEPKT1_S9_PKS3_PKT3_PKT4_PT5_21rocsparse_index_base_b,comdat
	.globl	_ZN9rocsparseL21csrmvt_general_kernelILj256ELj16Ell21rocsparse_complex_numIfES2_S2_S2_EEvbbT2_NS_24const_host_device_scalarIT6_EEPKT1_S9_PKS3_PKT3_PKT4_PT5_21rocsparse_index_base_b ; -- Begin function _ZN9rocsparseL21csrmvt_general_kernelILj256ELj16Ell21rocsparse_complex_numIfES2_S2_S2_EEvbbT2_NS_24const_host_device_scalarIT6_EEPKT1_S9_PKS3_PKT3_PKT4_PT5_21rocsparse_index_base_b
	.p2align	8
	.type	_ZN9rocsparseL21csrmvt_general_kernelILj256ELj16Ell21rocsparse_complex_numIfES2_S2_S2_EEvbbT2_NS_24const_host_device_scalarIT6_EEPKT1_S9_PKS3_PKT3_PKT4_PT5_21rocsparse_index_base_b,@function
_ZN9rocsparseL21csrmvt_general_kernelILj256ELj16Ell21rocsparse_complex_numIfES2_S2_S2_EEvbbT2_NS_24const_host_device_scalarIT6_EEPKT1_S9_PKS3_PKT3_PKT4_PT5_21rocsparse_index_base_b: ; @_ZN9rocsparseL21csrmvt_general_kernelILj256ELj16Ell21rocsparse_complex_numIfES2_S2_S2_EEvbbT2_NS_24const_host_device_scalarIT6_EEPKT1_S9_PKS3_PKT3_PKT4_PT5_21rocsparse_index_base_b
; %bb.0:
	s_load_dwordx2 s[2:3], s[4:5], 0x48
	s_load_dwordx2 s[0:1], s[4:5], 0x10
	s_load_dwordx8 s[8:15], s[4:5], 0x8
	s_waitcnt lgkmcnt(0)
	s_bitcmp1_b32 s3, 0
	s_cselect_b64 s[18:19], -1, 0
	s_xor_b64 s[16:17], s[18:19], -1
	s_and_b64 vcc, exec, s[18:19]
	v_mov_b32_e32 v14, s0
	s_cbranch_vccnz .LBB96_2
; %bb.1:
	v_pk_mov_b32 v[2:3], s[10:11], s[10:11] op_sel:[0,1]
	flat_load_dword v14, v[2:3]
.LBB96_2:
	s_andn2_b64 vcc, exec, s[16:17]
	v_mov_b32_e32 v15, s1
	s_cbranch_vccnz .LBB96_4
; %bb.3:
	v_pk_mov_b32 v[2:3], s[10:11], s[10:11] op_sel:[0,1]
	flat_load_dword v15, v[2:3] offset:4
.LBB96_4:
	s_waitcnt vmcnt(0) lgkmcnt(0)
	v_cmp_neq_f32_e32 vcc, 0, v14
	v_cmp_neq_f32_e64 s[0:1], 0, v15
	s_or_b64 s[0:1], vcc, s[0:1]
	s_and_saveexec_b64 s[10:11], s[0:1]
	s_cbranch_execz .LBB96_29
; %bb.5:
	s_load_dword s0, s[4:5], 0x0
	s_load_dwordx8 s[16:23], s[4:5], 0x28
	s_load_dword s1, s[4:5], 0x50
	v_and_b32_e32 v16, 15, v0
	v_lshl_or_b32 v0, s6, 8, v0
	s_waitcnt lgkmcnt(0)
	s_and_b32 s7, s0, 1
	s_bitcmp1_b32 s0, 8
	s_cselect_b64 s[4:5], -1, 0
	s_lshl_b32 s3, s1, 4
	v_lshrrev_b32_e32 v0, 4, v0
	v_mov_b32_e32 v1, 0
	s_cmp_eq_u32 s7, 0
	v_cmp_gt_i64_e64 s[0:1], s[8:9], v[0:1]
	s_mov_b64 s[6:7], -1
	s_cbranch_scc0 .LBB96_17
; %bb.6:
	s_and_saveexec_b64 s[6:7], s[0:1]
	s_cbranch_execz .LBB96_16
; %bb.7:
	v_subrev_co_u32_e32 v17, vcc, s2, v16
	s_mov_b32 s24, 0
	v_subb_co_u32_e64 v18, s[10:11], 0, 0, vcc
	s_mov_b64 s[10:11], 0
	v_mov_b32_e32 v19, s13
	v_mov_b32_e32 v20, s15
	;; [unrolled: 1-line block ×3, first 2 shown]
	v_pk_mov_b32 v[2:3], v[0:1], v[0:1] op_sel:[0,1]
	s_branch .LBB96_9
.LBB96_8:                               ;   in Loop: Header=BB96_9 Depth=1
	s_or_b64 exec, exec, s[24:25]
	v_add_co_u32_e32 v2, vcc, s3, v2
	v_addc_co_u32_e32 v3, vcc, 0, v3, vcc
	v_cmp_le_i64_e32 vcc, s[8:9], v[2:3]
	s_or_b64 s[10:11], vcc, s[10:11]
	s_andn2_b64 exec, exec, s[10:11]
	s_cbranch_execz .LBB96_16
.LBB96_9:                               ; =>This Loop Header: Depth=1
                                        ;     Child Loop BB96_11 Depth 2
                                        ;       Child Loop BB96_12 Depth 3
                                        ;       Child Loop BB96_14 Depth 3
	v_lshlrev_b64 v[8:9], 3, v[2:3]
	v_add_co_u32_e32 v4, vcc, s14, v8
	v_addc_co_u32_e32 v5, vcc, v20, v9, vcc
	global_load_dwordx2 v[4:5], v[4:5], off
	v_add_co_u32_e32 v6, vcc, s12, v8
	v_addc_co_u32_e32 v7, vcc, v19, v9, vcc
	global_load_dwordx2 v[6:7], v[6:7], off
	s_waitcnt vmcnt(1)
	v_subrev_co_u32_e32 v4, vcc, s2, v4
	v_subb_co_u32_e32 v5, vcc, v5, v21, vcc
	s_waitcnt vmcnt(0)
	v_add_co_u32_e32 v6, vcc, v6, v17
	v_addc_co_u32_e32 v7, vcc, v7, v18, vcc
	v_cmp_lt_i64_e32 vcc, v[6:7], v[4:5]
	s_and_saveexec_b64 s[24:25], vcc
	s_cbranch_execz .LBB96_8
; %bb.10:                               ;   in Loop: Header=BB96_9 Depth=1
	v_mov_b32_e32 v10, s21
	v_add_co_u32_e32 v8, vcc, s20, v8
	v_addc_co_u32_e32 v9, vcc, v10, v9, vcc
	global_load_dwordx2 v[8:9], v[8:9], off
	s_mov_b64 s[26:27], 0
	s_waitcnt vmcnt(0)
	v_mul_f32_e64 v22, v9, -v15
	v_mul_f32_e32 v23, v14, v9
	v_fmac_f32_e32 v22, v14, v8
	v_fmac_f32_e32 v23, v15, v8
.LBB96_11:                              ;   Parent Loop BB96_9 Depth=1
                                        ; =>  This Loop Header: Depth=2
                                        ;       Child Loop BB96_12 Depth 3
                                        ;       Child Loop BB96_14 Depth 3
	v_lshlrev_b64 v[8:9], 3, v[6:7]
	v_mov_b32_e32 v11, s17
	v_add_co_u32_e32 v10, vcc, s16, v8
	v_addc_co_u32_e32 v11, vcc, v11, v9, vcc
	global_load_dwordx2 v[12:13], v[10:11], off
	v_mov_b32_e32 v10, s19
	v_add_co_u32_e32 v8, vcc, s18, v8
	v_addc_co_u32_e32 v9, vcc, v10, v9, vcc
	global_load_dwordx2 v[10:11], v[8:9], off
	v_mov_b32_e32 v24, s23
	s_mov_b64 s[28:29], 0
	s_waitcnt vmcnt(1)
	v_subrev_co_u32_e32 v8, vcc, s2, v12
	v_subb_co_u32_e32 v9, vcc, v13, v21, vcc
	v_lshlrev_b64 v[8:9], 3, v[8:9]
	v_add_co_u32_e32 v8, vcc, s22, v8
	v_addc_co_u32_e32 v9, vcc, v24, v9, vcc
	global_load_dword v13, v[8:9], off
	s_waitcnt vmcnt(1)
	v_cndmask_b32_e64 v24, v11, -v11, s[4:5]
	v_mul_f32_e64 v11, v24, -v23
	v_fmac_f32_e32 v11, v22, v10
.LBB96_12:                              ;   Parent Loop BB96_9 Depth=1
                                        ;     Parent Loop BB96_11 Depth=2
                                        ; =>    This Inner Loop Header: Depth=3
	s_waitcnt vmcnt(0)
	v_add_f32_e32 v12, v13, v11
	global_atomic_cmpswap v12, v[8:9], v[12:13], off glc
	s_waitcnt vmcnt(0)
	v_cmp_eq_u32_e32 vcc, v12, v13
	s_or_b64 s[28:29], vcc, s[28:29]
	v_mov_b32_e32 v13, v12
	s_andn2_b64 exec, exec, s[28:29]
	s_cbranch_execnz .LBB96_12
; %bb.13:                               ;   in Loop: Header=BB96_11 Depth=2
	s_or_b64 exec, exec, s[28:29]
	global_load_dword v11, v[8:9], off offset:4
	v_mul_f32_e32 v12, v22, v24
	v_fmac_f32_e32 v12, v23, v10
	s_mov_b64 s[28:29], 0
.LBB96_14:                              ;   Parent Loop BB96_9 Depth=1
                                        ;     Parent Loop BB96_11 Depth=2
                                        ; =>    This Inner Loop Header: Depth=3
	s_waitcnt vmcnt(0)
	v_add_f32_e32 v10, v11, v12
	global_atomic_cmpswap v10, v[8:9], v[10:11], off offset:4 glc
	s_waitcnt vmcnt(0)
	v_cmp_eq_u32_e32 vcc, v10, v11
	s_or_b64 s[28:29], vcc, s[28:29]
	v_mov_b32_e32 v11, v10
	s_andn2_b64 exec, exec, s[28:29]
	s_cbranch_execnz .LBB96_14
; %bb.15:                               ;   in Loop: Header=BB96_11 Depth=2
	s_or_b64 exec, exec, s[28:29]
	v_add_co_u32_e32 v6, vcc, 16, v6
	v_addc_co_u32_e32 v7, vcc, 0, v7, vcc
	v_cmp_ge_i64_e32 vcc, v[6:7], v[4:5]
	s_or_b64 s[26:27], vcc, s[26:27]
	s_andn2_b64 exec, exec, s[26:27]
	s_cbranch_execnz .LBB96_11
	s_branch .LBB96_8
.LBB96_16:
	s_or_b64 exec, exec, s[6:7]
	s_mov_b64 s[6:7], 0
.LBB96_17:
	s_andn2_b64 vcc, exec, s[6:7]
	s_cbranch_vccnz .LBB96_29
; %bb.18:
	s_and_b64 exec, exec, s[0:1]
	s_cbranch_execz .LBB96_29
; %bb.19:
	v_subrev_co_u32_e32 v12, vcc, s2, v16
	s_mov_b32 s6, 0
	v_subb_co_u32_e64 v13, s[0:1], 0, 0, vcc
	s_mov_b64 s[0:1], 0
	v_mov_b32_e32 v16, s13
	v_mov_b32_e32 v17, s15
	;; [unrolled: 1-line block ×3, first 2 shown]
	s_branch .LBB96_21
.LBB96_20:                              ;   in Loop: Header=BB96_21 Depth=1
	s_or_b64 exec, exec, s[6:7]
	v_add_co_u32_e32 v0, vcc, s3, v0
	v_addc_co_u32_e32 v1, vcc, 0, v1, vcc
	v_cmp_le_i64_e32 vcc, s[8:9], v[0:1]
	s_or_b64 s[0:1], vcc, s[0:1]
	s_andn2_b64 exec, exec, s[0:1]
	s_cbranch_execz .LBB96_29
.LBB96_21:                              ; =>This Loop Header: Depth=1
                                        ;     Child Loop BB96_24 Depth 2
                                        ;       Child Loop BB96_26 Depth 3
                                        ;       Child Loop BB96_28 Depth 3
	v_lshlrev_b64 v[6:7], 3, v[0:1]
	v_add_co_u32_e32 v2, vcc, s14, v6
	v_addc_co_u32_e32 v3, vcc, v17, v7, vcc
	global_load_dwordx2 v[2:3], v[2:3], off
	v_add_co_u32_e32 v4, vcc, s12, v6
	v_addc_co_u32_e32 v5, vcc, v16, v7, vcc
	global_load_dwordx2 v[4:5], v[4:5], off
	s_waitcnt vmcnt(1)
	v_subrev_co_u32_e32 v2, vcc, s2, v2
	v_subb_co_u32_e32 v3, vcc, v3, v18, vcc
	s_waitcnt vmcnt(0)
	v_add_co_u32_e32 v4, vcc, v4, v12
	v_addc_co_u32_e32 v5, vcc, v5, v13, vcc
	v_cmp_lt_i64_e32 vcc, v[4:5], v[2:3]
	s_and_saveexec_b64 s[6:7], vcc
	s_cbranch_execz .LBB96_20
; %bb.22:                               ;   in Loop: Header=BB96_21 Depth=1
	v_mov_b32_e32 v8, s21
	v_add_co_u32_e32 v6, vcc, s20, v6
	v_addc_co_u32_e32 v7, vcc, v8, v7, vcc
	global_load_dwordx2 v[6:7], v[6:7], off
	s_mov_b64 s[10:11], 0
	s_waitcnt vmcnt(0)
	v_mul_f32_e64 v19, v7, -v15
	v_mul_f32_e32 v20, v14, v7
	v_fmac_f32_e32 v19, v14, v6
	v_fmac_f32_e32 v20, v15, v6
	s_branch .LBB96_24
.LBB96_23:                              ;   in Loop: Header=BB96_24 Depth=2
	s_or_b64 exec, exec, s[24:25]
	v_add_co_u32_e32 v4, vcc, 16, v4
	v_addc_co_u32_e32 v5, vcc, 0, v5, vcc
	v_cmp_ge_i64_e32 vcc, v[4:5], v[2:3]
	s_or_b64 s[10:11], vcc, s[10:11]
	s_andn2_b64 exec, exec, s[10:11]
	s_cbranch_execz .LBB96_20
.LBB96_24:                              ;   Parent Loop BB96_21 Depth=1
                                        ; =>  This Loop Header: Depth=2
                                        ;       Child Loop BB96_26 Depth 3
                                        ;       Child Loop BB96_28 Depth 3
	v_lshlrev_b64 v[6:7], 3, v[4:5]
	v_mov_b32_e32 v9, s17
	v_add_co_u32_e32 v8, vcc, s16, v6
	v_addc_co_u32_e32 v9, vcc, v9, v7, vcc
	global_load_dwordx2 v[8:9], v[8:9], off
	s_waitcnt vmcnt(0)
	v_subrev_co_u32_e32 v10, vcc, s2, v8
	v_subb_co_u32_e32 v11, vcc, v9, v18, vcc
	v_cmp_ne_u64_e32 vcc, v[10:11], v[0:1]
	s_and_saveexec_b64 s[24:25], vcc
	s_cbranch_execz .LBB96_23
; %bb.25:                               ;   in Loop: Header=BB96_24 Depth=2
	v_mov_b32_e32 v8, s19
	v_add_co_u32_e32 v6, vcc, s18, v6
	v_addc_co_u32_e32 v7, vcc, v8, v7, vcc
	global_load_dwordx2 v[8:9], v[6:7], off
	v_lshlrev_b64 v[6:7], 3, v[10:11]
	v_mov_b32_e32 v10, s23
	v_add_co_u32_e32 v6, vcc, s22, v6
	v_addc_co_u32_e32 v7, vcc, v10, v7, vcc
	global_load_dword v11, v[6:7], off
	s_mov_b64 s[26:27], 0
	s_waitcnt vmcnt(1)
	v_cndmask_b32_e64 v21, v9, -v9, s[4:5]
	v_mul_f32_e64 v9, v21, -v20
	v_fmac_f32_e32 v9, v19, v8
.LBB96_26:                              ;   Parent Loop BB96_21 Depth=1
                                        ;     Parent Loop BB96_24 Depth=2
                                        ; =>    This Inner Loop Header: Depth=3
	s_waitcnt vmcnt(0)
	v_add_f32_e32 v10, v11, v9
	global_atomic_cmpswap v10, v[6:7], v[10:11], off glc
	s_waitcnt vmcnt(0)
	v_cmp_eq_u32_e32 vcc, v10, v11
	s_or_b64 s[26:27], vcc, s[26:27]
	v_mov_b32_e32 v11, v10
	s_andn2_b64 exec, exec, s[26:27]
	s_cbranch_execnz .LBB96_26
; %bb.27:                               ;   in Loop: Header=BB96_24 Depth=2
	s_or_b64 exec, exec, s[26:27]
	global_load_dword v9, v[6:7], off offset:4
	v_mul_f32_e32 v10, v19, v21
	v_fmac_f32_e32 v10, v20, v8
	s_mov_b64 s[26:27], 0
.LBB96_28:                              ;   Parent Loop BB96_21 Depth=1
                                        ;     Parent Loop BB96_24 Depth=2
                                        ; =>    This Inner Loop Header: Depth=3
	s_waitcnt vmcnt(0)
	v_add_f32_e32 v8, v9, v10
	global_atomic_cmpswap v8, v[6:7], v[8:9], off offset:4 glc
	s_waitcnt vmcnt(0)
	v_cmp_eq_u32_e32 vcc, v8, v9
	s_or_b64 s[26:27], vcc, s[26:27]
	v_mov_b32_e32 v9, v8
	s_andn2_b64 exec, exec, s[26:27]
	s_cbranch_execnz .LBB96_28
	s_branch .LBB96_23
.LBB96_29:
	s_endpgm
	.section	.rodata,"a",@progbits
	.p2align	6, 0x0
	.amdhsa_kernel _ZN9rocsparseL21csrmvt_general_kernelILj256ELj16Ell21rocsparse_complex_numIfES2_S2_S2_EEvbbT2_NS_24const_host_device_scalarIT6_EEPKT1_S9_PKS3_PKT3_PKT4_PT5_21rocsparse_index_base_b
		.amdhsa_group_segment_fixed_size 0
		.amdhsa_private_segment_fixed_size 0
		.amdhsa_kernarg_size 336
		.amdhsa_user_sgpr_count 6
		.amdhsa_user_sgpr_private_segment_buffer 1
		.amdhsa_user_sgpr_dispatch_ptr 0
		.amdhsa_user_sgpr_queue_ptr 0
		.amdhsa_user_sgpr_kernarg_segment_ptr 1
		.amdhsa_user_sgpr_dispatch_id 0
		.amdhsa_user_sgpr_flat_scratch_init 0
		.amdhsa_user_sgpr_kernarg_preload_length 0
		.amdhsa_user_sgpr_kernarg_preload_offset 0
		.amdhsa_user_sgpr_private_segment_size 0
		.amdhsa_uses_dynamic_stack 0
		.amdhsa_system_sgpr_private_segment_wavefront_offset 0
		.amdhsa_system_sgpr_workgroup_id_x 1
		.amdhsa_system_sgpr_workgroup_id_y 0
		.amdhsa_system_sgpr_workgroup_id_z 0
		.amdhsa_system_sgpr_workgroup_info 0
		.amdhsa_system_vgpr_workitem_id 0
		.amdhsa_next_free_vgpr 25
		.amdhsa_next_free_sgpr 30
		.amdhsa_accum_offset 28
		.amdhsa_reserve_vcc 1
		.amdhsa_reserve_flat_scratch 0
		.amdhsa_float_round_mode_32 0
		.amdhsa_float_round_mode_16_64 0
		.amdhsa_float_denorm_mode_32 3
		.amdhsa_float_denorm_mode_16_64 3
		.amdhsa_dx10_clamp 1
		.amdhsa_ieee_mode 1
		.amdhsa_fp16_overflow 0
		.amdhsa_tg_split 0
		.amdhsa_exception_fp_ieee_invalid_op 0
		.amdhsa_exception_fp_denorm_src 0
		.amdhsa_exception_fp_ieee_div_zero 0
		.amdhsa_exception_fp_ieee_overflow 0
		.amdhsa_exception_fp_ieee_underflow 0
		.amdhsa_exception_fp_ieee_inexact 0
		.amdhsa_exception_int_div_zero 0
	.end_amdhsa_kernel
	.section	.text._ZN9rocsparseL21csrmvt_general_kernelILj256ELj16Ell21rocsparse_complex_numIfES2_S2_S2_EEvbbT2_NS_24const_host_device_scalarIT6_EEPKT1_S9_PKS3_PKT3_PKT4_PT5_21rocsparse_index_base_b,"axG",@progbits,_ZN9rocsparseL21csrmvt_general_kernelILj256ELj16Ell21rocsparse_complex_numIfES2_S2_S2_EEvbbT2_NS_24const_host_device_scalarIT6_EEPKT1_S9_PKS3_PKT3_PKT4_PT5_21rocsparse_index_base_b,comdat
.Lfunc_end96:
	.size	_ZN9rocsparseL21csrmvt_general_kernelILj256ELj16Ell21rocsparse_complex_numIfES2_S2_S2_EEvbbT2_NS_24const_host_device_scalarIT6_EEPKT1_S9_PKS3_PKT3_PKT4_PT5_21rocsparse_index_base_b, .Lfunc_end96-_ZN9rocsparseL21csrmvt_general_kernelILj256ELj16Ell21rocsparse_complex_numIfES2_S2_S2_EEvbbT2_NS_24const_host_device_scalarIT6_EEPKT1_S9_PKS3_PKT3_PKT4_PT5_21rocsparse_index_base_b
                                        ; -- End function
	.section	.AMDGPU.csdata,"",@progbits
; Kernel info:
; codeLenInByte = 1148
; NumSgprs: 34
; NumVgprs: 25
; NumAgprs: 0
; TotalNumVgprs: 25
; ScratchSize: 0
; MemoryBound: 0
; FloatMode: 240
; IeeeMode: 1
; LDSByteSize: 0 bytes/workgroup (compile time only)
; SGPRBlocks: 4
; VGPRBlocks: 3
; NumSGPRsForWavesPerEU: 34
; NumVGPRsForWavesPerEU: 25
; AccumOffset: 28
; Occupancy: 8
; WaveLimiterHint : 1
; COMPUTE_PGM_RSRC2:SCRATCH_EN: 0
; COMPUTE_PGM_RSRC2:USER_SGPR: 6
; COMPUTE_PGM_RSRC2:TRAP_HANDLER: 0
; COMPUTE_PGM_RSRC2:TGID_X_EN: 1
; COMPUTE_PGM_RSRC2:TGID_Y_EN: 0
; COMPUTE_PGM_RSRC2:TGID_Z_EN: 0
; COMPUTE_PGM_RSRC2:TIDIG_COMP_CNT: 0
; COMPUTE_PGM_RSRC3_GFX90A:ACCUM_OFFSET: 6
; COMPUTE_PGM_RSRC3_GFX90A:TG_SPLIT: 0
	.section	.text._ZN9rocsparseL21csrmvt_general_kernelILj256ELj32Ell21rocsparse_complex_numIfES2_S2_S2_EEvbbT2_NS_24const_host_device_scalarIT6_EEPKT1_S9_PKS3_PKT3_PKT4_PT5_21rocsparse_index_base_b,"axG",@progbits,_ZN9rocsparseL21csrmvt_general_kernelILj256ELj32Ell21rocsparse_complex_numIfES2_S2_S2_EEvbbT2_NS_24const_host_device_scalarIT6_EEPKT1_S9_PKS3_PKT3_PKT4_PT5_21rocsparse_index_base_b,comdat
	.globl	_ZN9rocsparseL21csrmvt_general_kernelILj256ELj32Ell21rocsparse_complex_numIfES2_S2_S2_EEvbbT2_NS_24const_host_device_scalarIT6_EEPKT1_S9_PKS3_PKT3_PKT4_PT5_21rocsparse_index_base_b ; -- Begin function _ZN9rocsparseL21csrmvt_general_kernelILj256ELj32Ell21rocsparse_complex_numIfES2_S2_S2_EEvbbT2_NS_24const_host_device_scalarIT6_EEPKT1_S9_PKS3_PKT3_PKT4_PT5_21rocsparse_index_base_b
	.p2align	8
	.type	_ZN9rocsparseL21csrmvt_general_kernelILj256ELj32Ell21rocsparse_complex_numIfES2_S2_S2_EEvbbT2_NS_24const_host_device_scalarIT6_EEPKT1_S9_PKS3_PKT3_PKT4_PT5_21rocsparse_index_base_b,@function
_ZN9rocsparseL21csrmvt_general_kernelILj256ELj32Ell21rocsparse_complex_numIfES2_S2_S2_EEvbbT2_NS_24const_host_device_scalarIT6_EEPKT1_S9_PKS3_PKT3_PKT4_PT5_21rocsparse_index_base_b: ; @_ZN9rocsparseL21csrmvt_general_kernelILj256ELj32Ell21rocsparse_complex_numIfES2_S2_S2_EEvbbT2_NS_24const_host_device_scalarIT6_EEPKT1_S9_PKS3_PKT3_PKT4_PT5_21rocsparse_index_base_b
; %bb.0:
	s_load_dwordx2 s[2:3], s[4:5], 0x48
	s_load_dwordx2 s[0:1], s[4:5], 0x10
	s_load_dwordx8 s[8:15], s[4:5], 0x8
	s_waitcnt lgkmcnt(0)
	s_bitcmp1_b32 s3, 0
	s_cselect_b64 s[18:19], -1, 0
	s_xor_b64 s[16:17], s[18:19], -1
	s_and_b64 vcc, exec, s[18:19]
	v_mov_b32_e32 v14, s0
	s_cbranch_vccnz .LBB97_2
; %bb.1:
	v_pk_mov_b32 v[2:3], s[10:11], s[10:11] op_sel:[0,1]
	flat_load_dword v14, v[2:3]
.LBB97_2:
	s_andn2_b64 vcc, exec, s[16:17]
	v_mov_b32_e32 v15, s1
	s_cbranch_vccnz .LBB97_4
; %bb.3:
	v_pk_mov_b32 v[2:3], s[10:11], s[10:11] op_sel:[0,1]
	flat_load_dword v15, v[2:3] offset:4
.LBB97_4:
	s_waitcnt vmcnt(0) lgkmcnt(0)
	v_cmp_neq_f32_e32 vcc, 0, v14
	v_cmp_neq_f32_e64 s[0:1], 0, v15
	s_or_b64 s[0:1], vcc, s[0:1]
	s_and_saveexec_b64 s[10:11], s[0:1]
	s_cbranch_execz .LBB97_29
; %bb.5:
	s_load_dword s0, s[4:5], 0x0
	s_load_dwordx8 s[16:23], s[4:5], 0x28
	s_load_dword s1, s[4:5], 0x50
	v_and_b32_e32 v16, 31, v0
	v_lshl_or_b32 v0, s6, 8, v0
	s_waitcnt lgkmcnt(0)
	s_and_b32 s7, s0, 1
	s_bitcmp1_b32 s0, 8
	s_cselect_b64 s[4:5], -1, 0
	s_lshl_b32 s3, s1, 3
	v_lshrrev_b32_e32 v0, 5, v0
	v_mov_b32_e32 v1, 0
	s_cmp_eq_u32 s7, 0
	v_cmp_gt_i64_e64 s[0:1], s[8:9], v[0:1]
	s_mov_b64 s[6:7], -1
	s_cbranch_scc0 .LBB97_17
; %bb.6:
	s_and_saveexec_b64 s[6:7], s[0:1]
	s_cbranch_execz .LBB97_16
; %bb.7:
	v_subrev_co_u32_e32 v17, vcc, s2, v16
	s_mov_b32 s24, 0
	v_subb_co_u32_e64 v18, s[10:11], 0, 0, vcc
	s_mov_b64 s[10:11], 0
	v_mov_b32_e32 v19, s13
	v_mov_b32_e32 v20, s15
	;; [unrolled: 1-line block ×3, first 2 shown]
	v_pk_mov_b32 v[2:3], v[0:1], v[0:1] op_sel:[0,1]
	s_branch .LBB97_9
.LBB97_8:                               ;   in Loop: Header=BB97_9 Depth=1
	s_or_b64 exec, exec, s[24:25]
	v_add_co_u32_e32 v2, vcc, s3, v2
	v_addc_co_u32_e32 v3, vcc, 0, v3, vcc
	v_cmp_le_i64_e32 vcc, s[8:9], v[2:3]
	s_or_b64 s[10:11], vcc, s[10:11]
	s_andn2_b64 exec, exec, s[10:11]
	s_cbranch_execz .LBB97_16
.LBB97_9:                               ; =>This Loop Header: Depth=1
                                        ;     Child Loop BB97_11 Depth 2
                                        ;       Child Loop BB97_12 Depth 3
                                        ;       Child Loop BB97_14 Depth 3
	v_lshlrev_b64 v[8:9], 3, v[2:3]
	v_add_co_u32_e32 v4, vcc, s14, v8
	v_addc_co_u32_e32 v5, vcc, v20, v9, vcc
	global_load_dwordx2 v[4:5], v[4:5], off
	v_add_co_u32_e32 v6, vcc, s12, v8
	v_addc_co_u32_e32 v7, vcc, v19, v9, vcc
	global_load_dwordx2 v[6:7], v[6:7], off
	s_waitcnt vmcnt(1)
	v_subrev_co_u32_e32 v4, vcc, s2, v4
	v_subb_co_u32_e32 v5, vcc, v5, v21, vcc
	s_waitcnt vmcnt(0)
	v_add_co_u32_e32 v6, vcc, v6, v17
	v_addc_co_u32_e32 v7, vcc, v7, v18, vcc
	v_cmp_lt_i64_e32 vcc, v[6:7], v[4:5]
	s_and_saveexec_b64 s[24:25], vcc
	s_cbranch_execz .LBB97_8
; %bb.10:                               ;   in Loop: Header=BB97_9 Depth=1
	v_mov_b32_e32 v10, s21
	v_add_co_u32_e32 v8, vcc, s20, v8
	v_addc_co_u32_e32 v9, vcc, v10, v9, vcc
	global_load_dwordx2 v[8:9], v[8:9], off
	s_mov_b64 s[26:27], 0
	s_waitcnt vmcnt(0)
	v_mul_f32_e64 v22, v9, -v15
	v_mul_f32_e32 v23, v14, v9
	v_fmac_f32_e32 v22, v14, v8
	v_fmac_f32_e32 v23, v15, v8
.LBB97_11:                              ;   Parent Loop BB97_9 Depth=1
                                        ; =>  This Loop Header: Depth=2
                                        ;       Child Loop BB97_12 Depth 3
                                        ;       Child Loop BB97_14 Depth 3
	v_lshlrev_b64 v[8:9], 3, v[6:7]
	v_mov_b32_e32 v11, s17
	v_add_co_u32_e32 v10, vcc, s16, v8
	v_addc_co_u32_e32 v11, vcc, v11, v9, vcc
	global_load_dwordx2 v[12:13], v[10:11], off
	v_mov_b32_e32 v10, s19
	v_add_co_u32_e32 v8, vcc, s18, v8
	v_addc_co_u32_e32 v9, vcc, v10, v9, vcc
	global_load_dwordx2 v[10:11], v[8:9], off
	v_mov_b32_e32 v24, s23
	s_mov_b64 s[28:29], 0
	s_waitcnt vmcnt(1)
	v_subrev_co_u32_e32 v8, vcc, s2, v12
	v_subb_co_u32_e32 v9, vcc, v13, v21, vcc
	v_lshlrev_b64 v[8:9], 3, v[8:9]
	v_add_co_u32_e32 v8, vcc, s22, v8
	v_addc_co_u32_e32 v9, vcc, v24, v9, vcc
	global_load_dword v13, v[8:9], off
	s_waitcnt vmcnt(1)
	v_cndmask_b32_e64 v24, v11, -v11, s[4:5]
	v_mul_f32_e64 v11, v24, -v23
	v_fmac_f32_e32 v11, v22, v10
.LBB97_12:                              ;   Parent Loop BB97_9 Depth=1
                                        ;     Parent Loop BB97_11 Depth=2
                                        ; =>    This Inner Loop Header: Depth=3
	s_waitcnt vmcnt(0)
	v_add_f32_e32 v12, v13, v11
	global_atomic_cmpswap v12, v[8:9], v[12:13], off glc
	s_waitcnt vmcnt(0)
	v_cmp_eq_u32_e32 vcc, v12, v13
	s_or_b64 s[28:29], vcc, s[28:29]
	v_mov_b32_e32 v13, v12
	s_andn2_b64 exec, exec, s[28:29]
	s_cbranch_execnz .LBB97_12
; %bb.13:                               ;   in Loop: Header=BB97_11 Depth=2
	s_or_b64 exec, exec, s[28:29]
	global_load_dword v11, v[8:9], off offset:4
	v_mul_f32_e32 v12, v22, v24
	v_fmac_f32_e32 v12, v23, v10
	s_mov_b64 s[28:29], 0
.LBB97_14:                              ;   Parent Loop BB97_9 Depth=1
                                        ;     Parent Loop BB97_11 Depth=2
                                        ; =>    This Inner Loop Header: Depth=3
	s_waitcnt vmcnt(0)
	v_add_f32_e32 v10, v11, v12
	global_atomic_cmpswap v10, v[8:9], v[10:11], off offset:4 glc
	s_waitcnt vmcnt(0)
	v_cmp_eq_u32_e32 vcc, v10, v11
	s_or_b64 s[28:29], vcc, s[28:29]
	v_mov_b32_e32 v11, v10
	s_andn2_b64 exec, exec, s[28:29]
	s_cbranch_execnz .LBB97_14
; %bb.15:                               ;   in Loop: Header=BB97_11 Depth=2
	s_or_b64 exec, exec, s[28:29]
	v_add_co_u32_e32 v6, vcc, 32, v6
	v_addc_co_u32_e32 v7, vcc, 0, v7, vcc
	v_cmp_ge_i64_e32 vcc, v[6:7], v[4:5]
	s_or_b64 s[26:27], vcc, s[26:27]
	s_andn2_b64 exec, exec, s[26:27]
	s_cbranch_execnz .LBB97_11
	s_branch .LBB97_8
.LBB97_16:
	s_or_b64 exec, exec, s[6:7]
	s_mov_b64 s[6:7], 0
.LBB97_17:
	s_andn2_b64 vcc, exec, s[6:7]
	s_cbranch_vccnz .LBB97_29
; %bb.18:
	s_and_b64 exec, exec, s[0:1]
	s_cbranch_execz .LBB97_29
; %bb.19:
	v_subrev_co_u32_e32 v12, vcc, s2, v16
	s_mov_b32 s6, 0
	v_subb_co_u32_e64 v13, s[0:1], 0, 0, vcc
	s_mov_b64 s[0:1], 0
	v_mov_b32_e32 v16, s13
	v_mov_b32_e32 v17, s15
	;; [unrolled: 1-line block ×3, first 2 shown]
	s_branch .LBB97_21
.LBB97_20:                              ;   in Loop: Header=BB97_21 Depth=1
	s_or_b64 exec, exec, s[6:7]
	v_add_co_u32_e32 v0, vcc, s3, v0
	v_addc_co_u32_e32 v1, vcc, 0, v1, vcc
	v_cmp_le_i64_e32 vcc, s[8:9], v[0:1]
	s_or_b64 s[0:1], vcc, s[0:1]
	s_andn2_b64 exec, exec, s[0:1]
	s_cbranch_execz .LBB97_29
.LBB97_21:                              ; =>This Loop Header: Depth=1
                                        ;     Child Loop BB97_24 Depth 2
                                        ;       Child Loop BB97_26 Depth 3
                                        ;       Child Loop BB97_28 Depth 3
	v_lshlrev_b64 v[6:7], 3, v[0:1]
	v_add_co_u32_e32 v2, vcc, s14, v6
	v_addc_co_u32_e32 v3, vcc, v17, v7, vcc
	global_load_dwordx2 v[2:3], v[2:3], off
	v_add_co_u32_e32 v4, vcc, s12, v6
	v_addc_co_u32_e32 v5, vcc, v16, v7, vcc
	global_load_dwordx2 v[4:5], v[4:5], off
	s_waitcnt vmcnt(1)
	v_subrev_co_u32_e32 v2, vcc, s2, v2
	v_subb_co_u32_e32 v3, vcc, v3, v18, vcc
	s_waitcnt vmcnt(0)
	v_add_co_u32_e32 v4, vcc, v4, v12
	v_addc_co_u32_e32 v5, vcc, v5, v13, vcc
	v_cmp_lt_i64_e32 vcc, v[4:5], v[2:3]
	s_and_saveexec_b64 s[6:7], vcc
	s_cbranch_execz .LBB97_20
; %bb.22:                               ;   in Loop: Header=BB97_21 Depth=1
	v_mov_b32_e32 v8, s21
	v_add_co_u32_e32 v6, vcc, s20, v6
	v_addc_co_u32_e32 v7, vcc, v8, v7, vcc
	global_load_dwordx2 v[6:7], v[6:7], off
	s_mov_b64 s[10:11], 0
	s_waitcnt vmcnt(0)
	v_mul_f32_e64 v19, v7, -v15
	v_mul_f32_e32 v20, v14, v7
	v_fmac_f32_e32 v19, v14, v6
	v_fmac_f32_e32 v20, v15, v6
	s_branch .LBB97_24
.LBB97_23:                              ;   in Loop: Header=BB97_24 Depth=2
	s_or_b64 exec, exec, s[24:25]
	v_add_co_u32_e32 v4, vcc, 32, v4
	v_addc_co_u32_e32 v5, vcc, 0, v5, vcc
	v_cmp_ge_i64_e32 vcc, v[4:5], v[2:3]
	s_or_b64 s[10:11], vcc, s[10:11]
	s_andn2_b64 exec, exec, s[10:11]
	s_cbranch_execz .LBB97_20
.LBB97_24:                              ;   Parent Loop BB97_21 Depth=1
                                        ; =>  This Loop Header: Depth=2
                                        ;       Child Loop BB97_26 Depth 3
                                        ;       Child Loop BB97_28 Depth 3
	v_lshlrev_b64 v[6:7], 3, v[4:5]
	v_mov_b32_e32 v9, s17
	v_add_co_u32_e32 v8, vcc, s16, v6
	v_addc_co_u32_e32 v9, vcc, v9, v7, vcc
	global_load_dwordx2 v[8:9], v[8:9], off
	s_waitcnt vmcnt(0)
	v_subrev_co_u32_e32 v10, vcc, s2, v8
	v_subb_co_u32_e32 v11, vcc, v9, v18, vcc
	v_cmp_ne_u64_e32 vcc, v[10:11], v[0:1]
	s_and_saveexec_b64 s[24:25], vcc
	s_cbranch_execz .LBB97_23
; %bb.25:                               ;   in Loop: Header=BB97_24 Depth=2
	v_mov_b32_e32 v8, s19
	v_add_co_u32_e32 v6, vcc, s18, v6
	v_addc_co_u32_e32 v7, vcc, v8, v7, vcc
	global_load_dwordx2 v[8:9], v[6:7], off
	v_lshlrev_b64 v[6:7], 3, v[10:11]
	v_mov_b32_e32 v10, s23
	v_add_co_u32_e32 v6, vcc, s22, v6
	v_addc_co_u32_e32 v7, vcc, v10, v7, vcc
	global_load_dword v11, v[6:7], off
	s_mov_b64 s[26:27], 0
	s_waitcnt vmcnt(1)
	v_cndmask_b32_e64 v21, v9, -v9, s[4:5]
	v_mul_f32_e64 v9, v21, -v20
	v_fmac_f32_e32 v9, v19, v8
.LBB97_26:                              ;   Parent Loop BB97_21 Depth=1
                                        ;     Parent Loop BB97_24 Depth=2
                                        ; =>    This Inner Loop Header: Depth=3
	s_waitcnt vmcnt(0)
	v_add_f32_e32 v10, v11, v9
	global_atomic_cmpswap v10, v[6:7], v[10:11], off glc
	s_waitcnt vmcnt(0)
	v_cmp_eq_u32_e32 vcc, v10, v11
	s_or_b64 s[26:27], vcc, s[26:27]
	v_mov_b32_e32 v11, v10
	s_andn2_b64 exec, exec, s[26:27]
	s_cbranch_execnz .LBB97_26
; %bb.27:                               ;   in Loop: Header=BB97_24 Depth=2
	s_or_b64 exec, exec, s[26:27]
	global_load_dword v9, v[6:7], off offset:4
	v_mul_f32_e32 v10, v19, v21
	v_fmac_f32_e32 v10, v20, v8
	s_mov_b64 s[26:27], 0
.LBB97_28:                              ;   Parent Loop BB97_21 Depth=1
                                        ;     Parent Loop BB97_24 Depth=2
                                        ; =>    This Inner Loop Header: Depth=3
	s_waitcnt vmcnt(0)
	v_add_f32_e32 v8, v9, v10
	global_atomic_cmpswap v8, v[6:7], v[8:9], off offset:4 glc
	s_waitcnt vmcnt(0)
	v_cmp_eq_u32_e32 vcc, v8, v9
	s_or_b64 s[26:27], vcc, s[26:27]
	v_mov_b32_e32 v9, v8
	s_andn2_b64 exec, exec, s[26:27]
	s_cbranch_execnz .LBB97_28
	s_branch .LBB97_23
.LBB97_29:
	s_endpgm
	.section	.rodata,"a",@progbits
	.p2align	6, 0x0
	.amdhsa_kernel _ZN9rocsparseL21csrmvt_general_kernelILj256ELj32Ell21rocsparse_complex_numIfES2_S2_S2_EEvbbT2_NS_24const_host_device_scalarIT6_EEPKT1_S9_PKS3_PKT3_PKT4_PT5_21rocsparse_index_base_b
		.amdhsa_group_segment_fixed_size 0
		.amdhsa_private_segment_fixed_size 0
		.amdhsa_kernarg_size 336
		.amdhsa_user_sgpr_count 6
		.amdhsa_user_sgpr_private_segment_buffer 1
		.amdhsa_user_sgpr_dispatch_ptr 0
		.amdhsa_user_sgpr_queue_ptr 0
		.amdhsa_user_sgpr_kernarg_segment_ptr 1
		.amdhsa_user_sgpr_dispatch_id 0
		.amdhsa_user_sgpr_flat_scratch_init 0
		.amdhsa_user_sgpr_kernarg_preload_length 0
		.amdhsa_user_sgpr_kernarg_preload_offset 0
		.amdhsa_user_sgpr_private_segment_size 0
		.amdhsa_uses_dynamic_stack 0
		.amdhsa_system_sgpr_private_segment_wavefront_offset 0
		.amdhsa_system_sgpr_workgroup_id_x 1
		.amdhsa_system_sgpr_workgroup_id_y 0
		.amdhsa_system_sgpr_workgroup_id_z 0
		.amdhsa_system_sgpr_workgroup_info 0
		.amdhsa_system_vgpr_workitem_id 0
		.amdhsa_next_free_vgpr 25
		.amdhsa_next_free_sgpr 30
		.amdhsa_accum_offset 28
		.amdhsa_reserve_vcc 1
		.amdhsa_reserve_flat_scratch 0
		.amdhsa_float_round_mode_32 0
		.amdhsa_float_round_mode_16_64 0
		.amdhsa_float_denorm_mode_32 3
		.amdhsa_float_denorm_mode_16_64 3
		.amdhsa_dx10_clamp 1
		.amdhsa_ieee_mode 1
		.amdhsa_fp16_overflow 0
		.amdhsa_tg_split 0
		.amdhsa_exception_fp_ieee_invalid_op 0
		.amdhsa_exception_fp_denorm_src 0
		.amdhsa_exception_fp_ieee_div_zero 0
		.amdhsa_exception_fp_ieee_overflow 0
		.amdhsa_exception_fp_ieee_underflow 0
		.amdhsa_exception_fp_ieee_inexact 0
		.amdhsa_exception_int_div_zero 0
	.end_amdhsa_kernel
	.section	.text._ZN9rocsparseL21csrmvt_general_kernelILj256ELj32Ell21rocsparse_complex_numIfES2_S2_S2_EEvbbT2_NS_24const_host_device_scalarIT6_EEPKT1_S9_PKS3_PKT3_PKT4_PT5_21rocsparse_index_base_b,"axG",@progbits,_ZN9rocsparseL21csrmvt_general_kernelILj256ELj32Ell21rocsparse_complex_numIfES2_S2_S2_EEvbbT2_NS_24const_host_device_scalarIT6_EEPKT1_S9_PKS3_PKT3_PKT4_PT5_21rocsparse_index_base_b,comdat
.Lfunc_end97:
	.size	_ZN9rocsparseL21csrmvt_general_kernelILj256ELj32Ell21rocsparse_complex_numIfES2_S2_S2_EEvbbT2_NS_24const_host_device_scalarIT6_EEPKT1_S9_PKS3_PKT3_PKT4_PT5_21rocsparse_index_base_b, .Lfunc_end97-_ZN9rocsparseL21csrmvt_general_kernelILj256ELj32Ell21rocsparse_complex_numIfES2_S2_S2_EEvbbT2_NS_24const_host_device_scalarIT6_EEPKT1_S9_PKS3_PKT3_PKT4_PT5_21rocsparse_index_base_b
                                        ; -- End function
	.section	.AMDGPU.csdata,"",@progbits
; Kernel info:
; codeLenInByte = 1148
; NumSgprs: 34
; NumVgprs: 25
; NumAgprs: 0
; TotalNumVgprs: 25
; ScratchSize: 0
; MemoryBound: 0
; FloatMode: 240
; IeeeMode: 1
; LDSByteSize: 0 bytes/workgroup (compile time only)
; SGPRBlocks: 4
; VGPRBlocks: 3
; NumSGPRsForWavesPerEU: 34
; NumVGPRsForWavesPerEU: 25
; AccumOffset: 28
; Occupancy: 8
; WaveLimiterHint : 1
; COMPUTE_PGM_RSRC2:SCRATCH_EN: 0
; COMPUTE_PGM_RSRC2:USER_SGPR: 6
; COMPUTE_PGM_RSRC2:TRAP_HANDLER: 0
; COMPUTE_PGM_RSRC2:TGID_X_EN: 1
; COMPUTE_PGM_RSRC2:TGID_Y_EN: 0
; COMPUTE_PGM_RSRC2:TGID_Z_EN: 0
; COMPUTE_PGM_RSRC2:TIDIG_COMP_CNT: 0
; COMPUTE_PGM_RSRC3_GFX90A:ACCUM_OFFSET: 6
; COMPUTE_PGM_RSRC3_GFX90A:TG_SPLIT: 0
	.section	.text._ZN9rocsparseL21csrmvt_general_kernelILj256ELj64Ell21rocsparse_complex_numIfES2_S2_S2_EEvbbT2_NS_24const_host_device_scalarIT6_EEPKT1_S9_PKS3_PKT3_PKT4_PT5_21rocsparse_index_base_b,"axG",@progbits,_ZN9rocsparseL21csrmvt_general_kernelILj256ELj64Ell21rocsparse_complex_numIfES2_S2_S2_EEvbbT2_NS_24const_host_device_scalarIT6_EEPKT1_S9_PKS3_PKT3_PKT4_PT5_21rocsparse_index_base_b,comdat
	.globl	_ZN9rocsparseL21csrmvt_general_kernelILj256ELj64Ell21rocsparse_complex_numIfES2_S2_S2_EEvbbT2_NS_24const_host_device_scalarIT6_EEPKT1_S9_PKS3_PKT3_PKT4_PT5_21rocsparse_index_base_b ; -- Begin function _ZN9rocsparseL21csrmvt_general_kernelILj256ELj64Ell21rocsparse_complex_numIfES2_S2_S2_EEvbbT2_NS_24const_host_device_scalarIT6_EEPKT1_S9_PKS3_PKT3_PKT4_PT5_21rocsparse_index_base_b
	.p2align	8
	.type	_ZN9rocsparseL21csrmvt_general_kernelILj256ELj64Ell21rocsparse_complex_numIfES2_S2_S2_EEvbbT2_NS_24const_host_device_scalarIT6_EEPKT1_S9_PKS3_PKT3_PKT4_PT5_21rocsparse_index_base_b,@function
_ZN9rocsparseL21csrmvt_general_kernelILj256ELj64Ell21rocsparse_complex_numIfES2_S2_S2_EEvbbT2_NS_24const_host_device_scalarIT6_EEPKT1_S9_PKS3_PKT3_PKT4_PT5_21rocsparse_index_base_b: ; @_ZN9rocsparseL21csrmvt_general_kernelILj256ELj64Ell21rocsparse_complex_numIfES2_S2_S2_EEvbbT2_NS_24const_host_device_scalarIT6_EEPKT1_S9_PKS3_PKT3_PKT4_PT5_21rocsparse_index_base_b
; %bb.0:
	s_load_dwordx2 s[2:3], s[4:5], 0x48
	s_load_dwordx2 s[0:1], s[4:5], 0x10
	s_load_dwordx8 s[8:15], s[4:5], 0x8
	s_waitcnt lgkmcnt(0)
	s_bitcmp1_b32 s3, 0
	s_cselect_b64 s[18:19], -1, 0
	s_xor_b64 s[16:17], s[18:19], -1
	s_and_b64 vcc, exec, s[18:19]
	v_mov_b32_e32 v14, s0
	s_cbranch_vccnz .LBB98_2
; %bb.1:
	v_pk_mov_b32 v[2:3], s[10:11], s[10:11] op_sel:[0,1]
	flat_load_dword v14, v[2:3]
.LBB98_2:
	s_andn2_b64 vcc, exec, s[16:17]
	v_mov_b32_e32 v15, s1
	s_cbranch_vccnz .LBB98_4
; %bb.3:
	v_pk_mov_b32 v[2:3], s[10:11], s[10:11] op_sel:[0,1]
	flat_load_dword v15, v[2:3] offset:4
.LBB98_4:
	s_waitcnt vmcnt(0) lgkmcnt(0)
	v_cmp_neq_f32_e32 vcc, 0, v14
	v_cmp_neq_f32_e64 s[0:1], 0, v15
	s_or_b64 s[0:1], vcc, s[0:1]
	s_and_saveexec_b64 s[10:11], s[0:1]
	s_cbranch_execz .LBB98_29
; %bb.5:
	s_load_dword s0, s[4:5], 0x0
	s_load_dwordx8 s[16:23], s[4:5], 0x28
	s_load_dword s1, s[4:5], 0x50
	v_and_b32_e32 v16, 63, v0
	v_lshl_or_b32 v0, s6, 8, v0
	s_waitcnt lgkmcnt(0)
	s_and_b32 s7, s0, 1
	s_bitcmp1_b32 s0, 8
	s_cselect_b64 s[4:5], -1, 0
	s_lshl_b32 s3, s1, 2
	v_lshrrev_b32_e32 v0, 6, v0
	v_mov_b32_e32 v1, 0
	s_cmp_eq_u32 s7, 0
	v_cmp_gt_i64_e64 s[0:1], s[8:9], v[0:1]
	s_mov_b64 s[6:7], -1
	s_cbranch_scc0 .LBB98_17
; %bb.6:
	s_and_saveexec_b64 s[6:7], s[0:1]
	s_cbranch_execz .LBB98_16
; %bb.7:
	v_subrev_co_u32_e32 v17, vcc, s2, v16
	s_mov_b32 s24, 0
	v_subb_co_u32_e64 v18, s[10:11], 0, 0, vcc
	s_mov_b64 s[10:11], 0
	v_mov_b32_e32 v19, s13
	v_mov_b32_e32 v20, s15
	;; [unrolled: 1-line block ×3, first 2 shown]
	v_pk_mov_b32 v[2:3], v[0:1], v[0:1] op_sel:[0,1]
	s_branch .LBB98_9
.LBB98_8:                               ;   in Loop: Header=BB98_9 Depth=1
	s_or_b64 exec, exec, s[24:25]
	v_add_co_u32_e32 v2, vcc, s3, v2
	v_addc_co_u32_e32 v3, vcc, 0, v3, vcc
	v_cmp_le_i64_e32 vcc, s[8:9], v[2:3]
	s_or_b64 s[10:11], vcc, s[10:11]
	s_andn2_b64 exec, exec, s[10:11]
	s_cbranch_execz .LBB98_16
.LBB98_9:                               ; =>This Loop Header: Depth=1
                                        ;     Child Loop BB98_11 Depth 2
                                        ;       Child Loop BB98_12 Depth 3
                                        ;       Child Loop BB98_14 Depth 3
	v_lshlrev_b64 v[8:9], 3, v[2:3]
	v_add_co_u32_e32 v4, vcc, s14, v8
	v_addc_co_u32_e32 v5, vcc, v20, v9, vcc
	global_load_dwordx2 v[4:5], v[4:5], off
	v_add_co_u32_e32 v6, vcc, s12, v8
	v_addc_co_u32_e32 v7, vcc, v19, v9, vcc
	global_load_dwordx2 v[6:7], v[6:7], off
	s_waitcnt vmcnt(1)
	v_subrev_co_u32_e32 v4, vcc, s2, v4
	v_subb_co_u32_e32 v5, vcc, v5, v21, vcc
	s_waitcnt vmcnt(0)
	v_add_co_u32_e32 v6, vcc, v6, v17
	v_addc_co_u32_e32 v7, vcc, v7, v18, vcc
	v_cmp_lt_i64_e32 vcc, v[6:7], v[4:5]
	s_and_saveexec_b64 s[24:25], vcc
	s_cbranch_execz .LBB98_8
; %bb.10:                               ;   in Loop: Header=BB98_9 Depth=1
	v_mov_b32_e32 v10, s21
	v_add_co_u32_e32 v8, vcc, s20, v8
	v_addc_co_u32_e32 v9, vcc, v10, v9, vcc
	global_load_dwordx2 v[8:9], v[8:9], off
	s_mov_b64 s[26:27], 0
	s_waitcnt vmcnt(0)
	v_mul_f32_e64 v22, v9, -v15
	v_mul_f32_e32 v23, v14, v9
	v_fmac_f32_e32 v22, v14, v8
	v_fmac_f32_e32 v23, v15, v8
.LBB98_11:                              ;   Parent Loop BB98_9 Depth=1
                                        ; =>  This Loop Header: Depth=2
                                        ;       Child Loop BB98_12 Depth 3
                                        ;       Child Loop BB98_14 Depth 3
	v_lshlrev_b64 v[8:9], 3, v[6:7]
	v_mov_b32_e32 v11, s17
	v_add_co_u32_e32 v10, vcc, s16, v8
	v_addc_co_u32_e32 v11, vcc, v11, v9, vcc
	global_load_dwordx2 v[12:13], v[10:11], off
	v_mov_b32_e32 v10, s19
	v_add_co_u32_e32 v8, vcc, s18, v8
	v_addc_co_u32_e32 v9, vcc, v10, v9, vcc
	global_load_dwordx2 v[10:11], v[8:9], off
	v_mov_b32_e32 v24, s23
	s_mov_b64 s[28:29], 0
	s_waitcnt vmcnt(1)
	v_subrev_co_u32_e32 v8, vcc, s2, v12
	v_subb_co_u32_e32 v9, vcc, v13, v21, vcc
	v_lshlrev_b64 v[8:9], 3, v[8:9]
	v_add_co_u32_e32 v8, vcc, s22, v8
	v_addc_co_u32_e32 v9, vcc, v24, v9, vcc
	global_load_dword v13, v[8:9], off
	s_waitcnt vmcnt(1)
	v_cndmask_b32_e64 v24, v11, -v11, s[4:5]
	v_mul_f32_e64 v11, v24, -v23
	v_fmac_f32_e32 v11, v22, v10
.LBB98_12:                              ;   Parent Loop BB98_9 Depth=1
                                        ;     Parent Loop BB98_11 Depth=2
                                        ; =>    This Inner Loop Header: Depth=3
	s_waitcnt vmcnt(0)
	v_add_f32_e32 v12, v13, v11
	global_atomic_cmpswap v12, v[8:9], v[12:13], off glc
	s_waitcnt vmcnt(0)
	v_cmp_eq_u32_e32 vcc, v12, v13
	s_or_b64 s[28:29], vcc, s[28:29]
	v_mov_b32_e32 v13, v12
	s_andn2_b64 exec, exec, s[28:29]
	s_cbranch_execnz .LBB98_12
; %bb.13:                               ;   in Loop: Header=BB98_11 Depth=2
	s_or_b64 exec, exec, s[28:29]
	global_load_dword v11, v[8:9], off offset:4
	v_mul_f32_e32 v12, v22, v24
	v_fmac_f32_e32 v12, v23, v10
	s_mov_b64 s[28:29], 0
.LBB98_14:                              ;   Parent Loop BB98_9 Depth=1
                                        ;     Parent Loop BB98_11 Depth=2
                                        ; =>    This Inner Loop Header: Depth=3
	s_waitcnt vmcnt(0)
	v_add_f32_e32 v10, v11, v12
	global_atomic_cmpswap v10, v[8:9], v[10:11], off offset:4 glc
	s_waitcnt vmcnt(0)
	v_cmp_eq_u32_e32 vcc, v10, v11
	s_or_b64 s[28:29], vcc, s[28:29]
	v_mov_b32_e32 v11, v10
	s_andn2_b64 exec, exec, s[28:29]
	s_cbranch_execnz .LBB98_14
; %bb.15:                               ;   in Loop: Header=BB98_11 Depth=2
	s_or_b64 exec, exec, s[28:29]
	v_add_co_u32_e32 v6, vcc, 64, v6
	v_addc_co_u32_e32 v7, vcc, 0, v7, vcc
	v_cmp_ge_i64_e32 vcc, v[6:7], v[4:5]
	s_or_b64 s[26:27], vcc, s[26:27]
	s_andn2_b64 exec, exec, s[26:27]
	s_cbranch_execnz .LBB98_11
	s_branch .LBB98_8
.LBB98_16:
	s_or_b64 exec, exec, s[6:7]
	s_mov_b64 s[6:7], 0
.LBB98_17:
	s_andn2_b64 vcc, exec, s[6:7]
	s_cbranch_vccnz .LBB98_29
; %bb.18:
	s_and_b64 exec, exec, s[0:1]
	s_cbranch_execz .LBB98_29
; %bb.19:
	v_subrev_co_u32_e32 v12, vcc, s2, v16
	s_mov_b32 s6, 0
	v_subb_co_u32_e64 v13, s[0:1], 0, 0, vcc
	s_mov_b64 s[0:1], 0
	v_mov_b32_e32 v16, s13
	v_mov_b32_e32 v17, s15
	;; [unrolled: 1-line block ×3, first 2 shown]
	s_branch .LBB98_21
.LBB98_20:                              ;   in Loop: Header=BB98_21 Depth=1
	s_or_b64 exec, exec, s[6:7]
	v_add_co_u32_e32 v0, vcc, s3, v0
	v_addc_co_u32_e32 v1, vcc, 0, v1, vcc
	v_cmp_le_i64_e32 vcc, s[8:9], v[0:1]
	s_or_b64 s[0:1], vcc, s[0:1]
	s_andn2_b64 exec, exec, s[0:1]
	s_cbranch_execz .LBB98_29
.LBB98_21:                              ; =>This Loop Header: Depth=1
                                        ;     Child Loop BB98_24 Depth 2
                                        ;       Child Loop BB98_26 Depth 3
                                        ;       Child Loop BB98_28 Depth 3
	v_lshlrev_b64 v[6:7], 3, v[0:1]
	v_add_co_u32_e32 v2, vcc, s14, v6
	v_addc_co_u32_e32 v3, vcc, v17, v7, vcc
	global_load_dwordx2 v[2:3], v[2:3], off
	v_add_co_u32_e32 v4, vcc, s12, v6
	v_addc_co_u32_e32 v5, vcc, v16, v7, vcc
	global_load_dwordx2 v[4:5], v[4:5], off
	s_waitcnt vmcnt(1)
	v_subrev_co_u32_e32 v2, vcc, s2, v2
	v_subb_co_u32_e32 v3, vcc, v3, v18, vcc
	s_waitcnt vmcnt(0)
	v_add_co_u32_e32 v4, vcc, v4, v12
	v_addc_co_u32_e32 v5, vcc, v5, v13, vcc
	v_cmp_lt_i64_e32 vcc, v[4:5], v[2:3]
	s_and_saveexec_b64 s[6:7], vcc
	s_cbranch_execz .LBB98_20
; %bb.22:                               ;   in Loop: Header=BB98_21 Depth=1
	v_mov_b32_e32 v8, s21
	v_add_co_u32_e32 v6, vcc, s20, v6
	v_addc_co_u32_e32 v7, vcc, v8, v7, vcc
	global_load_dwordx2 v[6:7], v[6:7], off
	s_mov_b64 s[10:11], 0
	s_waitcnt vmcnt(0)
	v_mul_f32_e64 v19, v7, -v15
	v_mul_f32_e32 v20, v14, v7
	v_fmac_f32_e32 v19, v14, v6
	v_fmac_f32_e32 v20, v15, v6
	s_branch .LBB98_24
.LBB98_23:                              ;   in Loop: Header=BB98_24 Depth=2
	s_or_b64 exec, exec, s[24:25]
	v_add_co_u32_e32 v4, vcc, 64, v4
	v_addc_co_u32_e32 v5, vcc, 0, v5, vcc
	v_cmp_ge_i64_e32 vcc, v[4:5], v[2:3]
	s_or_b64 s[10:11], vcc, s[10:11]
	s_andn2_b64 exec, exec, s[10:11]
	s_cbranch_execz .LBB98_20
.LBB98_24:                              ;   Parent Loop BB98_21 Depth=1
                                        ; =>  This Loop Header: Depth=2
                                        ;       Child Loop BB98_26 Depth 3
                                        ;       Child Loop BB98_28 Depth 3
	v_lshlrev_b64 v[6:7], 3, v[4:5]
	v_mov_b32_e32 v9, s17
	v_add_co_u32_e32 v8, vcc, s16, v6
	v_addc_co_u32_e32 v9, vcc, v9, v7, vcc
	global_load_dwordx2 v[8:9], v[8:9], off
	s_waitcnt vmcnt(0)
	v_subrev_co_u32_e32 v10, vcc, s2, v8
	v_subb_co_u32_e32 v11, vcc, v9, v18, vcc
	v_cmp_ne_u64_e32 vcc, v[10:11], v[0:1]
	s_and_saveexec_b64 s[24:25], vcc
	s_cbranch_execz .LBB98_23
; %bb.25:                               ;   in Loop: Header=BB98_24 Depth=2
	v_mov_b32_e32 v8, s19
	v_add_co_u32_e32 v6, vcc, s18, v6
	v_addc_co_u32_e32 v7, vcc, v8, v7, vcc
	global_load_dwordx2 v[8:9], v[6:7], off
	v_lshlrev_b64 v[6:7], 3, v[10:11]
	v_mov_b32_e32 v10, s23
	v_add_co_u32_e32 v6, vcc, s22, v6
	v_addc_co_u32_e32 v7, vcc, v10, v7, vcc
	global_load_dword v11, v[6:7], off
	s_mov_b64 s[26:27], 0
	s_waitcnt vmcnt(1)
	v_cndmask_b32_e64 v21, v9, -v9, s[4:5]
	v_mul_f32_e64 v9, v21, -v20
	v_fmac_f32_e32 v9, v19, v8
.LBB98_26:                              ;   Parent Loop BB98_21 Depth=1
                                        ;     Parent Loop BB98_24 Depth=2
                                        ; =>    This Inner Loop Header: Depth=3
	s_waitcnt vmcnt(0)
	v_add_f32_e32 v10, v11, v9
	global_atomic_cmpswap v10, v[6:7], v[10:11], off glc
	s_waitcnt vmcnt(0)
	v_cmp_eq_u32_e32 vcc, v10, v11
	s_or_b64 s[26:27], vcc, s[26:27]
	v_mov_b32_e32 v11, v10
	s_andn2_b64 exec, exec, s[26:27]
	s_cbranch_execnz .LBB98_26
; %bb.27:                               ;   in Loop: Header=BB98_24 Depth=2
	s_or_b64 exec, exec, s[26:27]
	global_load_dword v9, v[6:7], off offset:4
	v_mul_f32_e32 v10, v19, v21
	v_fmac_f32_e32 v10, v20, v8
	s_mov_b64 s[26:27], 0
.LBB98_28:                              ;   Parent Loop BB98_21 Depth=1
                                        ;     Parent Loop BB98_24 Depth=2
                                        ; =>    This Inner Loop Header: Depth=3
	s_waitcnt vmcnt(0)
	v_add_f32_e32 v8, v9, v10
	global_atomic_cmpswap v8, v[6:7], v[8:9], off offset:4 glc
	s_waitcnt vmcnt(0)
	v_cmp_eq_u32_e32 vcc, v8, v9
	s_or_b64 s[26:27], vcc, s[26:27]
	v_mov_b32_e32 v9, v8
	s_andn2_b64 exec, exec, s[26:27]
	s_cbranch_execnz .LBB98_28
	s_branch .LBB98_23
.LBB98_29:
	s_endpgm
	.section	.rodata,"a",@progbits
	.p2align	6, 0x0
	.amdhsa_kernel _ZN9rocsparseL21csrmvt_general_kernelILj256ELj64Ell21rocsparse_complex_numIfES2_S2_S2_EEvbbT2_NS_24const_host_device_scalarIT6_EEPKT1_S9_PKS3_PKT3_PKT4_PT5_21rocsparse_index_base_b
		.amdhsa_group_segment_fixed_size 0
		.amdhsa_private_segment_fixed_size 0
		.amdhsa_kernarg_size 336
		.amdhsa_user_sgpr_count 6
		.amdhsa_user_sgpr_private_segment_buffer 1
		.amdhsa_user_sgpr_dispatch_ptr 0
		.amdhsa_user_sgpr_queue_ptr 0
		.amdhsa_user_sgpr_kernarg_segment_ptr 1
		.amdhsa_user_sgpr_dispatch_id 0
		.amdhsa_user_sgpr_flat_scratch_init 0
		.amdhsa_user_sgpr_kernarg_preload_length 0
		.amdhsa_user_sgpr_kernarg_preload_offset 0
		.amdhsa_user_sgpr_private_segment_size 0
		.amdhsa_uses_dynamic_stack 0
		.amdhsa_system_sgpr_private_segment_wavefront_offset 0
		.amdhsa_system_sgpr_workgroup_id_x 1
		.amdhsa_system_sgpr_workgroup_id_y 0
		.amdhsa_system_sgpr_workgroup_id_z 0
		.amdhsa_system_sgpr_workgroup_info 0
		.amdhsa_system_vgpr_workitem_id 0
		.amdhsa_next_free_vgpr 25
		.amdhsa_next_free_sgpr 30
		.amdhsa_accum_offset 28
		.amdhsa_reserve_vcc 1
		.amdhsa_reserve_flat_scratch 0
		.amdhsa_float_round_mode_32 0
		.amdhsa_float_round_mode_16_64 0
		.amdhsa_float_denorm_mode_32 3
		.amdhsa_float_denorm_mode_16_64 3
		.amdhsa_dx10_clamp 1
		.amdhsa_ieee_mode 1
		.amdhsa_fp16_overflow 0
		.amdhsa_tg_split 0
		.amdhsa_exception_fp_ieee_invalid_op 0
		.amdhsa_exception_fp_denorm_src 0
		.amdhsa_exception_fp_ieee_div_zero 0
		.amdhsa_exception_fp_ieee_overflow 0
		.amdhsa_exception_fp_ieee_underflow 0
		.amdhsa_exception_fp_ieee_inexact 0
		.amdhsa_exception_int_div_zero 0
	.end_amdhsa_kernel
	.section	.text._ZN9rocsparseL21csrmvt_general_kernelILj256ELj64Ell21rocsparse_complex_numIfES2_S2_S2_EEvbbT2_NS_24const_host_device_scalarIT6_EEPKT1_S9_PKS3_PKT3_PKT4_PT5_21rocsparse_index_base_b,"axG",@progbits,_ZN9rocsparseL21csrmvt_general_kernelILj256ELj64Ell21rocsparse_complex_numIfES2_S2_S2_EEvbbT2_NS_24const_host_device_scalarIT6_EEPKT1_S9_PKS3_PKT3_PKT4_PT5_21rocsparse_index_base_b,comdat
.Lfunc_end98:
	.size	_ZN9rocsparseL21csrmvt_general_kernelILj256ELj64Ell21rocsparse_complex_numIfES2_S2_S2_EEvbbT2_NS_24const_host_device_scalarIT6_EEPKT1_S9_PKS3_PKT3_PKT4_PT5_21rocsparse_index_base_b, .Lfunc_end98-_ZN9rocsparseL21csrmvt_general_kernelILj256ELj64Ell21rocsparse_complex_numIfES2_S2_S2_EEvbbT2_NS_24const_host_device_scalarIT6_EEPKT1_S9_PKS3_PKT3_PKT4_PT5_21rocsparse_index_base_b
                                        ; -- End function
	.section	.AMDGPU.csdata,"",@progbits
; Kernel info:
; codeLenInByte = 1148
; NumSgprs: 34
; NumVgprs: 25
; NumAgprs: 0
; TotalNumVgprs: 25
; ScratchSize: 0
; MemoryBound: 0
; FloatMode: 240
; IeeeMode: 1
; LDSByteSize: 0 bytes/workgroup (compile time only)
; SGPRBlocks: 4
; VGPRBlocks: 3
; NumSGPRsForWavesPerEU: 34
; NumVGPRsForWavesPerEU: 25
; AccumOffset: 28
; Occupancy: 8
; WaveLimiterHint : 1
; COMPUTE_PGM_RSRC2:SCRATCH_EN: 0
; COMPUTE_PGM_RSRC2:USER_SGPR: 6
; COMPUTE_PGM_RSRC2:TRAP_HANDLER: 0
; COMPUTE_PGM_RSRC2:TGID_X_EN: 1
; COMPUTE_PGM_RSRC2:TGID_Y_EN: 0
; COMPUTE_PGM_RSRC2:TGID_Z_EN: 0
; COMPUTE_PGM_RSRC2:TIDIG_COMP_CNT: 0
; COMPUTE_PGM_RSRC3_GFX90A:ACCUM_OFFSET: 6
; COMPUTE_PGM_RSRC3_GFX90A:TG_SPLIT: 0
	.section	.text._ZN9rocsparseL21csrmvn_general_kernelILj256ELj2Eii21rocsparse_complex_numIdES2_S2_S2_EEvbT2_NS_24const_host_device_scalarIT6_EEPKT1_S9_PKS3_PKT3_PKT4_S6_PT5_21rocsparse_index_base_b,"axG",@progbits,_ZN9rocsparseL21csrmvn_general_kernelILj256ELj2Eii21rocsparse_complex_numIdES2_S2_S2_EEvbT2_NS_24const_host_device_scalarIT6_EEPKT1_S9_PKS3_PKT3_PKT4_S6_PT5_21rocsparse_index_base_b,comdat
	.globl	_ZN9rocsparseL21csrmvn_general_kernelILj256ELj2Eii21rocsparse_complex_numIdES2_S2_S2_EEvbT2_NS_24const_host_device_scalarIT6_EEPKT1_S9_PKS3_PKT3_PKT4_S6_PT5_21rocsparse_index_base_b ; -- Begin function _ZN9rocsparseL21csrmvn_general_kernelILj256ELj2Eii21rocsparse_complex_numIdES2_S2_S2_EEvbT2_NS_24const_host_device_scalarIT6_EEPKT1_S9_PKS3_PKT3_PKT4_S6_PT5_21rocsparse_index_base_b
	.p2align	8
	.type	_ZN9rocsparseL21csrmvn_general_kernelILj256ELj2Eii21rocsparse_complex_numIdES2_S2_S2_EEvbT2_NS_24const_host_device_scalarIT6_EEPKT1_S9_PKS3_PKT3_PKT4_S6_PT5_21rocsparse_index_base_b,@function
_ZN9rocsparseL21csrmvn_general_kernelILj256ELj2Eii21rocsparse_complex_numIdES2_S2_S2_EEvbT2_NS_24const_host_device_scalarIT6_EEPKT1_S9_PKS3_PKT3_PKT4_S6_PT5_21rocsparse_index_base_b: ; @_ZN9rocsparseL21csrmvn_general_kernelILj256ELj2Eii21rocsparse_complex_numIdES2_S2_S2_EEvbT2_NS_24const_host_device_scalarIT6_EEPKT1_S9_PKS3_PKT3_PKT4_S6_PT5_21rocsparse_index_base_b
; %bb.0:
	s_load_dwordx2 s[24:25], s[6:7], 0x58
	s_load_dwordx8 s[12:19], s[6:7], 0x8
	s_load_dwordx4 s[20:23], s[6:7], 0x40
	s_mov_b64 s[2:3], src_shared_base
	s_load_dwordx2 s[4:5], s[4:5], 0x4
	s_waitcnt lgkmcnt(0)
	s_bitcmp1_b32 s25, 0
	s_cselect_b64 s[0:1], -1, 0
	s_and_b64 vcc, s[0:1], exec
	s_cselect_b32 s2, s3, s13
	s_lshr_b32 s4, s4, 16
	v_and_b32_e32 v1, 0x3ff, v0
	s_mul_i32 s4, s4, s5
	v_mul_lo_u32 v2, s4, v1
	v_bfe_u32 v3, v0, 10, 10
	v_mad_u32_u24 v2, v3, s5, v2
	v_bfe_u32 v0, v0, 20, 10
	v_add_lshl_u32 v0, v2, v0, 3
	v_mov_b32_e32 v6, s12
	v_add_u32_e32 v7, 0x800, v0
	v_pk_mov_b32 v[2:3], s[12:13], s[12:13] op_sel:[0,1]
	v_pk_mov_b32 v[4:5], s[20:21], s[20:21] op_sel:[0,1]
	ds_write2st64_b64 v0, v[4:5], v[2:3] offset1:4
	v_cndmask_b32_e64 v2, v6, v7, s[0:1]
	v_mov_b32_e32 v3, s2
	flat_load_dwordx2 v[4:5], v[2:3]
	s_xor_b64 s[4:5], s[0:1], -1
	v_pk_mov_b32 v[6:7], s[14:15], s[14:15] op_sel:[0,1]
	s_cbranch_vccnz .LBB99_2
; %bb.1:
	v_pk_mov_b32 v[2:3], s[12:13], s[12:13] op_sel:[0,1]
	flat_load_dwordx2 v[6:7], v[2:3] offset:8
.LBB99_2:
	s_and_b64 s[10:11], s[0:1], exec
	s_cselect_b32 s2, s3, s21
	v_mov_b32_e32 v2, s20
	v_cndmask_b32_e64 v2, v2, v0, s[0:1]
	v_mov_b32_e32 v3, s2
	flat_load_dwordx2 v[8:9], v[2:3]
	s_andn2_b64 vcc, exec, s[4:5]
	v_pk_mov_b32 v[10:11], s[22:23], s[22:23] op_sel:[0,1]
	s_cbranch_vccnz .LBB99_4
; %bb.3:
	v_pk_mov_b32 v[2:3], s[20:21], s[20:21] op_sel:[0,1]
	flat_load_dwordx2 v[10:11], v[2:3] offset:8
.LBB99_4:
	s_waitcnt vmcnt(0) lgkmcnt(0)
	v_cmp_eq_f64_e32 vcc, 0, v[4:5]
	v_cmp_eq_f64_e64 s[0:1], 0, v[6:7]
	s_and_b64 s[4:5], vcc, s[0:1]
	s_mov_b64 s[0:1], -1
	s_and_saveexec_b64 s[2:3], s[4:5]
; %bb.5:
	v_cmp_neq_f64_e32 vcc, 1.0, v[8:9]
	v_cmp_neq_f64_e64 s[0:1], 0, v[10:11]
	s_or_b64 s[0:1], vcc, s[0:1]
	s_orn2_b64 s[0:1], s[0:1], exec
; %bb.6:
	s_or_b64 exec, exec, s[2:3]
	s_and_saveexec_b64 s[2:3], s[0:1]
	s_cbranch_execz .LBB99_18
; %bb.7:
	s_load_dwordx2 s[12:13], s[6:7], 0x0
	v_lshl_or_b32 v0, s8, 8, v1
	v_lshrrev_b32_e32 v12, 1, v0
	s_waitcnt lgkmcnt(0)
	v_cmp_gt_i32_e32 vcc, s13, v12
	s_and_b64 exec, exec, vcc
	s_cbranch_execz .LBB99_18
; %bb.8:
	s_load_dword s2, s[6:7], 0x60
	s_load_dwordx2 s[14:15], s[6:7], 0x50
	s_load_dwordx4 s[8:11], s[6:7], 0x28
	s_load_dwordx2 s[0:1], s[6:7], 0x38
	v_and_b32_e32 v0, 1, v1
	s_waitcnt lgkmcnt(0)
	s_lshl_b32 s26, s2, 7
	s_bitcmp1_b32 s12, 0
	s_cselect_b64 vcc, -1, 0
	s_ashr_i32 s25, s24, 31
	s_lshl_b64 s[2:3], s[24:25], 4
	s_sub_u32 s12, s0, s2
	s_subb_u32 s25, s1, s3
	v_cmp_neq_f64_e64 s[2:3], 0, v[8:9]
	v_cmp_neq_f64_e64 s[4:5], 0, v[10:11]
	v_subrev_u32_e32 v18, s24, v0
	v_cmp_eq_u32_e64 s[0:1], 1, v0
	s_mov_b64 s[6:7], 0
	s_or_b64 s[4:5], s[2:3], s[4:5]
	v_mov_b32_e32 v19, s17
	v_mov_b32_e32 v20, s19
	s_branch .LBB99_11
.LBB99_9:                               ;   in Loop: Header=BB99_11 Depth=1
	s_or_b64 exec, exec, s[2:3]
	global_store_dwordx4 v[14:15], v[0:3], off
.LBB99_10:                              ;   in Loop: Header=BB99_11 Depth=1
	s_or_b64 exec, exec, s[20:21]
	v_add_u32_e32 v12, s26, v12
	v_cmp_le_i32_e64 s[2:3], s13, v12
	s_or_b64 s[6:7], s[2:3], s[6:7]
	s_andn2_b64 exec, exec, s[6:7]
	s_cbranch_execz .LBB99_18
.LBB99_11:                              ; =>This Loop Header: Depth=1
                                        ;     Child Loop BB99_13 Depth 2
	v_ashrrev_i32_e32 v13, 31, v12
	v_lshlrev_b64 v[0:1], 2, v[12:13]
	v_add_co_u32_e64 v2, s[2:3], s16, v0
	v_addc_co_u32_e64 v3, s[2:3], v19, v1, s[2:3]
	v_add_co_u32_e64 v0, s[2:3], s18, v0
	v_addc_co_u32_e64 v1, s[2:3], v20, v1, s[2:3]
	global_load_dword v14, v[0:1], off
	global_load_dword v15, v[2:3], off
	v_pk_mov_b32 v[2:3], 0, 0
	v_pk_mov_b32 v[0:1], v[2:3], v[2:3] op_sel:[0,1]
	s_waitcnt vmcnt(1)
	v_subrev_u32_e32 v16, s24, v14
	s_waitcnt vmcnt(0)
	v_add_u32_e32 v14, v15, v18
	v_cmp_lt_i32_e64 s[2:3], v14, v16
	s_and_saveexec_b64 s[20:21], s[2:3]
	s_cbranch_execz .LBB99_15
; %bb.12:                               ;   in Loop: Header=BB99_11 Depth=1
	v_pk_mov_b32 v[2:3], 0, 0
	s_mov_b64 s[22:23], 0
	v_pk_mov_b32 v[0:1], v[2:3], v[2:3] op_sel:[0,1]
.LBB99_13:                              ;   Parent Loop BB99_11 Depth=1
                                        ; =>  This Inner Loop Header: Depth=2
	v_ashrrev_i32_e32 v15, 31, v14
	v_lshlrev_b64 v[22:23], 2, v[14:15]
	v_mov_b32_e32 v17, s9
	v_add_co_u32_e64 v22, s[2:3], s8, v22
	v_addc_co_u32_e64 v23, s[2:3], v17, v23, s[2:3]
	global_load_dword v26, v[22:23], off
	v_lshlrev_b64 v[22:23], 4, v[14:15]
	v_mov_b32_e32 v17, s11
	v_add_co_u32_e64 v22, s[2:3], s10, v22
	v_addc_co_u32_e64 v23, s[2:3], v17, v23, s[2:3]
	global_load_dwordx4 v[22:25], v[22:23], off
	v_mov_b32_e32 v21, s25
	v_add_u32_e32 v14, 2, v14
	s_waitcnt vmcnt(1)
	v_ashrrev_i32_e32 v27, 31, v26
	v_lshlrev_b64 v[26:27], 4, v[26:27]
	v_add_co_u32_e64 v26, s[2:3], s12, v26
	v_addc_co_u32_e64 v27, s[2:3], v21, v27, s[2:3]
	global_load_dwordx4 v[26:29], v[26:27], off
	s_waitcnt vmcnt(1)
	v_xor_b32_e32 v15, 0x80000000, v25
	v_cndmask_b32_e32 v25, v25, v15, vcc
	v_mul_f64 v[30:31], v[24:25], -v[6:7]
	v_mul_f64 v[24:25], v[4:5], v[24:25]
	v_fmac_f64_e32 v[30:31], v[4:5], v[22:23]
	v_fmac_f64_e32 v[24:25], v[6:7], v[22:23]
	v_cmp_ge_i32_e64 s[2:3], v14, v16
	s_or_b64 s[22:23], s[2:3], s[22:23]
	s_waitcnt vmcnt(0)
	v_fmac_f64_e32 v[0:1], v[30:31], v[26:27]
	v_fmac_f64_e32 v[2:3], v[24:25], v[26:27]
	v_fma_f64 v[0:1], -v[24:25], v[28:29], v[0:1]
	v_fmac_f64_e32 v[2:3], v[30:31], v[28:29]
	s_andn2_b64 exec, exec, s[22:23]
	s_cbranch_execnz .LBB99_13
; %bb.14:                               ;   in Loop: Header=BB99_11 Depth=1
	s_or_b64 exec, exec, s[22:23]
.LBB99_15:                              ;   in Loop: Header=BB99_11 Depth=1
	s_or_b64 exec, exec, s[20:21]
	v_mov_b32_dpp v16, v0 row_shr:1 row_mask:0xf bank_mask:0xf
	v_mov_b32_dpp v17, v1 row_shr:1 row_mask:0xf bank_mask:0xf
	;; [unrolled: 1-line block ×4, first 2 shown]
	s_and_saveexec_b64 s[20:21], s[0:1]
	s_cbranch_execz .LBB99_10
; %bb.16:                               ;   in Loop: Header=BB99_11 Depth=1
	v_add_f64 v[2:3], v[2:3], v[14:15]
	v_lshlrev_b64 v[14:15], 4, v[12:13]
	v_mov_b32_e32 v13, s15
	v_add_co_u32_e64 v14, s[2:3], s14, v14
	v_add_f64 v[0:1], v[0:1], v[16:17]
	v_addc_co_u32_e64 v15, s[2:3], v13, v15, s[2:3]
	s_and_saveexec_b64 s[2:3], s[4:5]
	s_cbranch_execz .LBB99_9
; %bb.17:                               ;   in Loop: Header=BB99_11 Depth=1
	global_load_dwordx4 v[22:25], v[14:15], off
	s_waitcnt vmcnt(0)
	v_fmac_f64_e32 v[0:1], v[8:9], v[22:23]
	v_fmac_f64_e32 v[2:3], v[10:11], v[22:23]
	v_fma_f64 v[0:1], -v[10:11], v[24:25], v[0:1]
	v_fmac_f64_e32 v[2:3], v[8:9], v[24:25]
	s_branch .LBB99_9
.LBB99_18:
	s_endpgm
	.section	.rodata,"a",@progbits
	.p2align	6, 0x0
	.amdhsa_kernel _ZN9rocsparseL21csrmvn_general_kernelILj256ELj2Eii21rocsparse_complex_numIdES2_S2_S2_EEvbT2_NS_24const_host_device_scalarIT6_EEPKT1_S9_PKS3_PKT3_PKT4_S6_PT5_21rocsparse_index_base_b
		.amdhsa_group_segment_fixed_size 4096
		.amdhsa_private_segment_fixed_size 0
		.amdhsa_kernarg_size 352
		.amdhsa_user_sgpr_count 8
		.amdhsa_user_sgpr_private_segment_buffer 1
		.amdhsa_user_sgpr_dispatch_ptr 1
		.amdhsa_user_sgpr_queue_ptr 0
		.amdhsa_user_sgpr_kernarg_segment_ptr 1
		.amdhsa_user_sgpr_dispatch_id 0
		.amdhsa_user_sgpr_flat_scratch_init 0
		.amdhsa_user_sgpr_kernarg_preload_length 0
		.amdhsa_user_sgpr_kernarg_preload_offset 0
		.amdhsa_user_sgpr_private_segment_size 0
		.amdhsa_uses_dynamic_stack 0
		.amdhsa_system_sgpr_private_segment_wavefront_offset 0
		.amdhsa_system_sgpr_workgroup_id_x 1
		.amdhsa_system_sgpr_workgroup_id_y 0
		.amdhsa_system_sgpr_workgroup_id_z 0
		.amdhsa_system_sgpr_workgroup_info 0
		.amdhsa_system_vgpr_workitem_id 2
		.amdhsa_next_free_vgpr 32
		.amdhsa_next_free_sgpr 27
		.amdhsa_accum_offset 32
		.amdhsa_reserve_vcc 1
		.amdhsa_reserve_flat_scratch 0
		.amdhsa_float_round_mode_32 0
		.amdhsa_float_round_mode_16_64 0
		.amdhsa_float_denorm_mode_32 3
		.amdhsa_float_denorm_mode_16_64 3
		.amdhsa_dx10_clamp 1
		.amdhsa_ieee_mode 1
		.amdhsa_fp16_overflow 0
		.amdhsa_tg_split 0
		.amdhsa_exception_fp_ieee_invalid_op 0
		.amdhsa_exception_fp_denorm_src 0
		.amdhsa_exception_fp_ieee_div_zero 0
		.amdhsa_exception_fp_ieee_overflow 0
		.amdhsa_exception_fp_ieee_underflow 0
		.amdhsa_exception_fp_ieee_inexact 0
		.amdhsa_exception_int_div_zero 0
	.end_amdhsa_kernel
	.section	.text._ZN9rocsparseL21csrmvn_general_kernelILj256ELj2Eii21rocsparse_complex_numIdES2_S2_S2_EEvbT2_NS_24const_host_device_scalarIT6_EEPKT1_S9_PKS3_PKT3_PKT4_S6_PT5_21rocsparse_index_base_b,"axG",@progbits,_ZN9rocsparseL21csrmvn_general_kernelILj256ELj2Eii21rocsparse_complex_numIdES2_S2_S2_EEvbT2_NS_24const_host_device_scalarIT6_EEPKT1_S9_PKS3_PKT3_PKT4_S6_PT5_21rocsparse_index_base_b,comdat
.Lfunc_end99:
	.size	_ZN9rocsparseL21csrmvn_general_kernelILj256ELj2Eii21rocsparse_complex_numIdES2_S2_S2_EEvbT2_NS_24const_host_device_scalarIT6_EEPKT1_S9_PKS3_PKT3_PKT4_S6_PT5_21rocsparse_index_base_b, .Lfunc_end99-_ZN9rocsparseL21csrmvn_general_kernelILj256ELj2Eii21rocsparse_complex_numIdES2_S2_S2_EEvbT2_NS_24const_host_device_scalarIT6_EEPKT1_S9_PKS3_PKT3_PKT4_S6_PT5_21rocsparse_index_base_b
                                        ; -- End function
	.section	.AMDGPU.csdata,"",@progbits
; Kernel info:
; codeLenInByte = 992
; NumSgprs: 31
; NumVgprs: 32
; NumAgprs: 0
; TotalNumVgprs: 32
; ScratchSize: 0
; MemoryBound: 0
; FloatMode: 240
; IeeeMode: 1
; LDSByteSize: 4096 bytes/workgroup (compile time only)
; SGPRBlocks: 3
; VGPRBlocks: 3
; NumSGPRsForWavesPerEU: 31
; NumVGPRsForWavesPerEU: 32
; AccumOffset: 32
; Occupancy: 8
; WaveLimiterHint : 1
; COMPUTE_PGM_RSRC2:SCRATCH_EN: 0
; COMPUTE_PGM_RSRC2:USER_SGPR: 8
; COMPUTE_PGM_RSRC2:TRAP_HANDLER: 0
; COMPUTE_PGM_RSRC2:TGID_X_EN: 1
; COMPUTE_PGM_RSRC2:TGID_Y_EN: 0
; COMPUTE_PGM_RSRC2:TGID_Z_EN: 0
; COMPUTE_PGM_RSRC2:TIDIG_COMP_CNT: 2
; COMPUTE_PGM_RSRC3_GFX90A:ACCUM_OFFSET: 7
; COMPUTE_PGM_RSRC3_GFX90A:TG_SPLIT: 0
	.section	.text._ZN9rocsparseL21csrmvn_general_kernelILj256ELj4Eii21rocsparse_complex_numIdES2_S2_S2_EEvbT2_NS_24const_host_device_scalarIT6_EEPKT1_S9_PKS3_PKT3_PKT4_S6_PT5_21rocsparse_index_base_b,"axG",@progbits,_ZN9rocsparseL21csrmvn_general_kernelILj256ELj4Eii21rocsparse_complex_numIdES2_S2_S2_EEvbT2_NS_24const_host_device_scalarIT6_EEPKT1_S9_PKS3_PKT3_PKT4_S6_PT5_21rocsparse_index_base_b,comdat
	.globl	_ZN9rocsparseL21csrmvn_general_kernelILj256ELj4Eii21rocsparse_complex_numIdES2_S2_S2_EEvbT2_NS_24const_host_device_scalarIT6_EEPKT1_S9_PKS3_PKT3_PKT4_S6_PT5_21rocsparse_index_base_b ; -- Begin function _ZN9rocsparseL21csrmvn_general_kernelILj256ELj4Eii21rocsparse_complex_numIdES2_S2_S2_EEvbT2_NS_24const_host_device_scalarIT6_EEPKT1_S9_PKS3_PKT3_PKT4_S6_PT5_21rocsparse_index_base_b
	.p2align	8
	.type	_ZN9rocsparseL21csrmvn_general_kernelILj256ELj4Eii21rocsparse_complex_numIdES2_S2_S2_EEvbT2_NS_24const_host_device_scalarIT6_EEPKT1_S9_PKS3_PKT3_PKT4_S6_PT5_21rocsparse_index_base_b,@function
_ZN9rocsparseL21csrmvn_general_kernelILj256ELj4Eii21rocsparse_complex_numIdES2_S2_S2_EEvbT2_NS_24const_host_device_scalarIT6_EEPKT1_S9_PKS3_PKT3_PKT4_S6_PT5_21rocsparse_index_base_b: ; @_ZN9rocsparseL21csrmvn_general_kernelILj256ELj4Eii21rocsparse_complex_numIdES2_S2_S2_EEvbT2_NS_24const_host_device_scalarIT6_EEPKT1_S9_PKS3_PKT3_PKT4_S6_PT5_21rocsparse_index_base_b
; %bb.0:
	s_load_dwordx2 s[24:25], s[6:7], 0x58
	s_load_dwordx8 s[12:19], s[6:7], 0x8
	s_load_dwordx4 s[20:23], s[6:7], 0x40
	s_mov_b64 s[2:3], src_shared_base
	s_load_dwordx2 s[4:5], s[4:5], 0x4
	s_waitcnt lgkmcnt(0)
	s_bitcmp1_b32 s25, 0
	s_cselect_b64 s[0:1], -1, 0
	s_and_b64 vcc, s[0:1], exec
	s_cselect_b32 s2, s3, s13
	s_lshr_b32 s4, s4, 16
	v_and_b32_e32 v1, 0x3ff, v0
	s_mul_i32 s4, s4, s5
	v_mul_lo_u32 v2, s4, v1
	v_bfe_u32 v3, v0, 10, 10
	v_mad_u32_u24 v2, v3, s5, v2
	v_bfe_u32 v0, v0, 20, 10
	v_add_lshl_u32 v0, v2, v0, 3
	v_mov_b32_e32 v6, s12
	v_add_u32_e32 v7, 0x800, v0
	v_pk_mov_b32 v[2:3], s[12:13], s[12:13] op_sel:[0,1]
	v_pk_mov_b32 v[4:5], s[20:21], s[20:21] op_sel:[0,1]
	ds_write2st64_b64 v0, v[4:5], v[2:3] offset1:4
	v_cndmask_b32_e64 v2, v6, v7, s[0:1]
	v_mov_b32_e32 v3, s2
	flat_load_dwordx2 v[4:5], v[2:3]
	s_xor_b64 s[4:5], s[0:1], -1
	v_pk_mov_b32 v[6:7], s[14:15], s[14:15] op_sel:[0,1]
	s_cbranch_vccnz .LBB100_2
; %bb.1:
	v_pk_mov_b32 v[2:3], s[12:13], s[12:13] op_sel:[0,1]
	flat_load_dwordx2 v[6:7], v[2:3] offset:8
.LBB100_2:
	s_and_b64 s[10:11], s[0:1], exec
	s_cselect_b32 s2, s3, s21
	v_mov_b32_e32 v2, s20
	v_cndmask_b32_e64 v2, v2, v0, s[0:1]
	v_mov_b32_e32 v3, s2
	flat_load_dwordx2 v[8:9], v[2:3]
	s_andn2_b64 vcc, exec, s[4:5]
	v_pk_mov_b32 v[10:11], s[22:23], s[22:23] op_sel:[0,1]
	s_cbranch_vccnz .LBB100_4
; %bb.3:
	v_pk_mov_b32 v[2:3], s[20:21], s[20:21] op_sel:[0,1]
	flat_load_dwordx2 v[10:11], v[2:3] offset:8
.LBB100_4:
	s_waitcnt vmcnt(0) lgkmcnt(0)
	v_cmp_eq_f64_e32 vcc, 0, v[4:5]
	v_cmp_eq_f64_e64 s[0:1], 0, v[6:7]
	s_and_b64 s[4:5], vcc, s[0:1]
	s_mov_b64 s[0:1], -1
	s_and_saveexec_b64 s[2:3], s[4:5]
; %bb.5:
	v_cmp_neq_f64_e32 vcc, 1.0, v[8:9]
	v_cmp_neq_f64_e64 s[0:1], 0, v[10:11]
	s_or_b64 s[0:1], vcc, s[0:1]
	s_orn2_b64 s[0:1], s[0:1], exec
; %bb.6:
	s_or_b64 exec, exec, s[2:3]
	s_and_saveexec_b64 s[2:3], s[0:1]
	s_cbranch_execz .LBB100_18
; %bb.7:
	s_load_dwordx2 s[12:13], s[6:7], 0x0
	v_lshl_or_b32 v0, s8, 8, v1
	v_lshrrev_b32_e32 v12, 2, v0
	s_waitcnt lgkmcnt(0)
	v_cmp_gt_i32_e32 vcc, s13, v12
	s_and_b64 exec, exec, vcc
	s_cbranch_execz .LBB100_18
; %bb.8:
	s_load_dword s2, s[6:7], 0x60
	s_load_dwordx2 s[14:15], s[6:7], 0x50
	s_load_dwordx4 s[8:11], s[6:7], 0x28
	s_load_dwordx2 s[0:1], s[6:7], 0x38
	v_and_b32_e32 v0, 3, v1
	s_waitcnt lgkmcnt(0)
	s_lshl_b32 s26, s2, 6
	s_bitcmp1_b32 s12, 0
	s_cselect_b64 vcc, -1, 0
	s_ashr_i32 s25, s24, 31
	s_lshl_b64 s[2:3], s[24:25], 4
	s_sub_u32 s12, s0, s2
	s_subb_u32 s25, s1, s3
	v_cmp_neq_f64_e64 s[2:3], 0, v[8:9]
	v_cmp_neq_f64_e64 s[4:5], 0, v[10:11]
	v_subrev_u32_e32 v20, s24, v0
	v_cmp_eq_u32_e64 s[0:1], 3, v0
	s_mov_b64 s[6:7], 0
	s_or_b64 s[4:5], s[2:3], s[4:5]
	v_mov_b32_e32 v21, s17
	v_mov_b32_e32 v22, s19
	s_branch .LBB100_11
.LBB100_9:                              ;   in Loop: Header=BB100_11 Depth=1
	s_or_b64 exec, exec, s[2:3]
	global_store_dwordx4 v[14:15], v[0:3], off
.LBB100_10:                             ;   in Loop: Header=BB100_11 Depth=1
	s_or_b64 exec, exec, s[20:21]
	v_add_u32_e32 v12, s26, v12
	v_cmp_le_i32_e64 s[2:3], s13, v12
	s_or_b64 s[6:7], s[2:3], s[6:7]
	s_andn2_b64 exec, exec, s[6:7]
	s_cbranch_execz .LBB100_18
.LBB100_11:                             ; =>This Loop Header: Depth=1
                                        ;     Child Loop BB100_13 Depth 2
	v_ashrrev_i32_e32 v13, 31, v12
	v_lshlrev_b64 v[0:1], 2, v[12:13]
	v_add_co_u32_e64 v2, s[2:3], s16, v0
	v_addc_co_u32_e64 v3, s[2:3], v21, v1, s[2:3]
	v_add_co_u32_e64 v0, s[2:3], s18, v0
	v_addc_co_u32_e64 v1, s[2:3], v22, v1, s[2:3]
	global_load_dword v14, v[0:1], off
	global_load_dword v15, v[2:3], off
	v_pk_mov_b32 v[0:1], 0, 0
	v_pk_mov_b32 v[2:3], v[0:1], v[0:1] op_sel:[0,1]
	s_waitcnt vmcnt(1)
	v_subrev_u32_e32 v16, s24, v14
	s_waitcnt vmcnt(0)
	v_add_u32_e32 v14, v15, v20
	v_cmp_lt_i32_e64 s[2:3], v14, v16
	s_and_saveexec_b64 s[20:21], s[2:3]
	s_cbranch_execz .LBB100_15
; %bb.12:                               ;   in Loop: Header=BB100_11 Depth=1
	v_pk_mov_b32 v[0:1], 0, 0
	s_mov_b64 s[22:23], 0
	v_pk_mov_b32 v[2:3], v[0:1], v[0:1] op_sel:[0,1]
.LBB100_13:                             ;   Parent Loop BB100_11 Depth=1
                                        ; =>  This Inner Loop Header: Depth=2
	v_ashrrev_i32_e32 v15, 31, v14
	v_lshlrev_b64 v[18:19], 2, v[14:15]
	v_mov_b32_e32 v17, s9
	v_add_co_u32_e64 v18, s[2:3], s8, v18
	v_addc_co_u32_e64 v19, s[2:3], v17, v19, s[2:3]
	global_load_dword v18, v[18:19], off
	v_lshlrev_b64 v[24:25], 4, v[14:15]
	v_mov_b32_e32 v17, s11
	v_add_co_u32_e64 v24, s[2:3], s10, v24
	v_addc_co_u32_e64 v25, s[2:3], v17, v25, s[2:3]
	global_load_dwordx4 v[24:27], v[24:25], off
	v_mov_b32_e32 v23, s25
	v_add_u32_e32 v14, 4, v14
	s_waitcnt vmcnt(1)
	v_ashrrev_i32_e32 v19, 31, v18
	v_lshlrev_b64 v[18:19], 4, v[18:19]
	v_add_co_u32_e64 v18, s[2:3], s12, v18
	v_addc_co_u32_e64 v19, s[2:3], v23, v19, s[2:3]
	global_load_dwordx4 v[28:31], v[18:19], off
	s_waitcnt vmcnt(1)
	v_xor_b32_e32 v15, 0x80000000, v27
	v_cndmask_b32_e32 v27, v27, v15, vcc
	v_mul_f64 v[18:19], v[26:27], -v[6:7]
	v_mul_f64 v[26:27], v[4:5], v[26:27]
	v_fmac_f64_e32 v[18:19], v[4:5], v[24:25]
	v_fmac_f64_e32 v[26:27], v[6:7], v[24:25]
	v_cmp_ge_i32_e64 s[2:3], v14, v16
	s_or_b64 s[22:23], s[2:3], s[22:23]
	s_waitcnt vmcnt(0)
	v_fmac_f64_e32 v[2:3], v[18:19], v[28:29]
	v_fmac_f64_e32 v[0:1], v[26:27], v[28:29]
	v_fma_f64 v[2:3], -v[26:27], v[30:31], v[2:3]
	v_fmac_f64_e32 v[0:1], v[18:19], v[30:31]
	s_andn2_b64 exec, exec, s[22:23]
	s_cbranch_execnz .LBB100_13
; %bb.14:                               ;   in Loop: Header=BB100_11 Depth=1
	s_or_b64 exec, exec, s[22:23]
.LBB100_15:                             ;   in Loop: Header=BB100_11 Depth=1
	s_or_b64 exec, exec, s[20:21]
	v_mov_b32_dpp v14, v2 row_shr:1 row_mask:0xf bank_mask:0xf
	v_mov_b32_dpp v15, v3 row_shr:1 row_mask:0xf bank_mask:0xf
	;; [unrolled: 1-line block ×4, first 2 shown]
	v_add_f64 v[2:3], v[2:3], v[14:15]
	v_add_f64 v[16:17], v[0:1], v[16:17]
	s_nop 0
	v_mov_b32_dpp v14, v2 row_shr:2 row_mask:0xf bank_mask:0xf
	v_mov_b32_dpp v15, v3 row_shr:2 row_mask:0xf bank_mask:0xf
	;; [unrolled: 1-line block ×4, first 2 shown]
	s_and_saveexec_b64 s[20:21], s[0:1]
	s_cbranch_execz .LBB100_10
; %bb.16:                               ;   in Loop: Header=BB100_11 Depth=1
	v_add_f64 v[0:1], v[2:3], v[14:15]
	v_lshlrev_b64 v[14:15], 4, v[12:13]
	v_mov_b32_e32 v13, s15
	v_add_co_u32_e64 v14, s[2:3], s14, v14
	v_add_f64 v[2:3], v[16:17], v[18:19]
	v_addc_co_u32_e64 v15, s[2:3], v13, v15, s[2:3]
	s_and_saveexec_b64 s[2:3], s[4:5]
	s_cbranch_execz .LBB100_9
; %bb.17:                               ;   in Loop: Header=BB100_11 Depth=1
	global_load_dwordx4 v[16:19], v[14:15], off
	s_waitcnt vmcnt(0)
	v_fmac_f64_e32 v[0:1], v[8:9], v[16:17]
	v_fmac_f64_e32 v[2:3], v[10:11], v[16:17]
	v_fma_f64 v[0:1], -v[10:11], v[18:19], v[0:1]
	v_fmac_f64_e32 v[2:3], v[8:9], v[18:19]
	s_branch .LBB100_9
.LBB100_18:
	s_endpgm
	.section	.rodata,"a",@progbits
	.p2align	6, 0x0
	.amdhsa_kernel _ZN9rocsparseL21csrmvn_general_kernelILj256ELj4Eii21rocsparse_complex_numIdES2_S2_S2_EEvbT2_NS_24const_host_device_scalarIT6_EEPKT1_S9_PKS3_PKT3_PKT4_S6_PT5_21rocsparse_index_base_b
		.amdhsa_group_segment_fixed_size 4096
		.amdhsa_private_segment_fixed_size 0
		.amdhsa_kernarg_size 352
		.amdhsa_user_sgpr_count 8
		.amdhsa_user_sgpr_private_segment_buffer 1
		.amdhsa_user_sgpr_dispatch_ptr 1
		.amdhsa_user_sgpr_queue_ptr 0
		.amdhsa_user_sgpr_kernarg_segment_ptr 1
		.amdhsa_user_sgpr_dispatch_id 0
		.amdhsa_user_sgpr_flat_scratch_init 0
		.amdhsa_user_sgpr_kernarg_preload_length 0
		.amdhsa_user_sgpr_kernarg_preload_offset 0
		.amdhsa_user_sgpr_private_segment_size 0
		.amdhsa_uses_dynamic_stack 0
		.amdhsa_system_sgpr_private_segment_wavefront_offset 0
		.amdhsa_system_sgpr_workgroup_id_x 1
		.amdhsa_system_sgpr_workgroup_id_y 0
		.amdhsa_system_sgpr_workgroup_id_z 0
		.amdhsa_system_sgpr_workgroup_info 0
		.amdhsa_system_vgpr_workitem_id 2
		.amdhsa_next_free_vgpr 32
		.amdhsa_next_free_sgpr 27
		.amdhsa_accum_offset 32
		.amdhsa_reserve_vcc 1
		.amdhsa_reserve_flat_scratch 0
		.amdhsa_float_round_mode_32 0
		.amdhsa_float_round_mode_16_64 0
		.amdhsa_float_denorm_mode_32 3
		.amdhsa_float_denorm_mode_16_64 3
		.amdhsa_dx10_clamp 1
		.amdhsa_ieee_mode 1
		.amdhsa_fp16_overflow 0
		.amdhsa_tg_split 0
		.amdhsa_exception_fp_ieee_invalid_op 0
		.amdhsa_exception_fp_denorm_src 0
		.amdhsa_exception_fp_ieee_div_zero 0
		.amdhsa_exception_fp_ieee_overflow 0
		.amdhsa_exception_fp_ieee_underflow 0
		.amdhsa_exception_fp_ieee_inexact 0
		.amdhsa_exception_int_div_zero 0
	.end_amdhsa_kernel
	.section	.text._ZN9rocsparseL21csrmvn_general_kernelILj256ELj4Eii21rocsparse_complex_numIdES2_S2_S2_EEvbT2_NS_24const_host_device_scalarIT6_EEPKT1_S9_PKS3_PKT3_PKT4_S6_PT5_21rocsparse_index_base_b,"axG",@progbits,_ZN9rocsparseL21csrmvn_general_kernelILj256ELj4Eii21rocsparse_complex_numIdES2_S2_S2_EEvbT2_NS_24const_host_device_scalarIT6_EEPKT1_S9_PKS3_PKT3_PKT4_S6_PT5_21rocsparse_index_base_b,comdat
.Lfunc_end100:
	.size	_ZN9rocsparseL21csrmvn_general_kernelILj256ELj4Eii21rocsparse_complex_numIdES2_S2_S2_EEvbT2_NS_24const_host_device_scalarIT6_EEPKT1_S9_PKS3_PKT3_PKT4_S6_PT5_21rocsparse_index_base_b, .Lfunc_end100-_ZN9rocsparseL21csrmvn_general_kernelILj256ELj4Eii21rocsparse_complex_numIdES2_S2_S2_EEvbT2_NS_24const_host_device_scalarIT6_EEPKT1_S9_PKS3_PKT3_PKT4_S6_PT5_21rocsparse_index_base_b
                                        ; -- End function
	.section	.AMDGPU.csdata,"",@progbits
; Kernel info:
; codeLenInByte = 1044
; NumSgprs: 31
; NumVgprs: 32
; NumAgprs: 0
; TotalNumVgprs: 32
; ScratchSize: 0
; MemoryBound: 0
; FloatMode: 240
; IeeeMode: 1
; LDSByteSize: 4096 bytes/workgroup (compile time only)
; SGPRBlocks: 3
; VGPRBlocks: 3
; NumSGPRsForWavesPerEU: 31
; NumVGPRsForWavesPerEU: 32
; AccumOffset: 32
; Occupancy: 8
; WaveLimiterHint : 1
; COMPUTE_PGM_RSRC2:SCRATCH_EN: 0
; COMPUTE_PGM_RSRC2:USER_SGPR: 8
; COMPUTE_PGM_RSRC2:TRAP_HANDLER: 0
; COMPUTE_PGM_RSRC2:TGID_X_EN: 1
; COMPUTE_PGM_RSRC2:TGID_Y_EN: 0
; COMPUTE_PGM_RSRC2:TGID_Z_EN: 0
; COMPUTE_PGM_RSRC2:TIDIG_COMP_CNT: 2
; COMPUTE_PGM_RSRC3_GFX90A:ACCUM_OFFSET: 7
; COMPUTE_PGM_RSRC3_GFX90A:TG_SPLIT: 0
	.section	.text._ZN9rocsparseL21csrmvn_general_kernelILj256ELj8Eii21rocsparse_complex_numIdES2_S2_S2_EEvbT2_NS_24const_host_device_scalarIT6_EEPKT1_S9_PKS3_PKT3_PKT4_S6_PT5_21rocsparse_index_base_b,"axG",@progbits,_ZN9rocsparseL21csrmvn_general_kernelILj256ELj8Eii21rocsparse_complex_numIdES2_S2_S2_EEvbT2_NS_24const_host_device_scalarIT6_EEPKT1_S9_PKS3_PKT3_PKT4_S6_PT5_21rocsparse_index_base_b,comdat
	.globl	_ZN9rocsparseL21csrmvn_general_kernelILj256ELj8Eii21rocsparse_complex_numIdES2_S2_S2_EEvbT2_NS_24const_host_device_scalarIT6_EEPKT1_S9_PKS3_PKT3_PKT4_S6_PT5_21rocsparse_index_base_b ; -- Begin function _ZN9rocsparseL21csrmvn_general_kernelILj256ELj8Eii21rocsparse_complex_numIdES2_S2_S2_EEvbT2_NS_24const_host_device_scalarIT6_EEPKT1_S9_PKS3_PKT3_PKT4_S6_PT5_21rocsparse_index_base_b
	.p2align	8
	.type	_ZN9rocsparseL21csrmvn_general_kernelILj256ELj8Eii21rocsparse_complex_numIdES2_S2_S2_EEvbT2_NS_24const_host_device_scalarIT6_EEPKT1_S9_PKS3_PKT3_PKT4_S6_PT5_21rocsparse_index_base_b,@function
_ZN9rocsparseL21csrmvn_general_kernelILj256ELj8Eii21rocsparse_complex_numIdES2_S2_S2_EEvbT2_NS_24const_host_device_scalarIT6_EEPKT1_S9_PKS3_PKT3_PKT4_S6_PT5_21rocsparse_index_base_b: ; @_ZN9rocsparseL21csrmvn_general_kernelILj256ELj8Eii21rocsparse_complex_numIdES2_S2_S2_EEvbT2_NS_24const_host_device_scalarIT6_EEPKT1_S9_PKS3_PKT3_PKT4_S6_PT5_21rocsparse_index_base_b
; %bb.0:
	s_load_dwordx2 s[24:25], s[6:7], 0x58
	s_load_dwordx8 s[12:19], s[6:7], 0x8
	s_load_dwordx4 s[20:23], s[6:7], 0x40
	s_mov_b64 s[2:3], src_shared_base
	s_load_dwordx2 s[4:5], s[4:5], 0x4
	s_waitcnt lgkmcnt(0)
	s_bitcmp1_b32 s25, 0
	s_cselect_b64 s[0:1], -1, 0
	s_and_b64 vcc, s[0:1], exec
	s_cselect_b32 s2, s3, s13
	s_lshr_b32 s4, s4, 16
	v_and_b32_e32 v1, 0x3ff, v0
	s_mul_i32 s4, s4, s5
	v_mul_lo_u32 v2, s4, v1
	v_bfe_u32 v3, v0, 10, 10
	v_mad_u32_u24 v2, v3, s5, v2
	v_bfe_u32 v0, v0, 20, 10
	v_add_lshl_u32 v0, v2, v0, 3
	v_mov_b32_e32 v6, s12
	v_add_u32_e32 v7, 0x800, v0
	v_pk_mov_b32 v[2:3], s[12:13], s[12:13] op_sel:[0,1]
	v_pk_mov_b32 v[4:5], s[20:21], s[20:21] op_sel:[0,1]
	ds_write2st64_b64 v0, v[4:5], v[2:3] offset1:4
	v_cndmask_b32_e64 v2, v6, v7, s[0:1]
	v_mov_b32_e32 v3, s2
	flat_load_dwordx2 v[4:5], v[2:3]
	s_xor_b64 s[4:5], s[0:1], -1
	v_pk_mov_b32 v[6:7], s[14:15], s[14:15] op_sel:[0,1]
	s_cbranch_vccnz .LBB101_2
; %bb.1:
	v_pk_mov_b32 v[2:3], s[12:13], s[12:13] op_sel:[0,1]
	flat_load_dwordx2 v[6:7], v[2:3] offset:8
.LBB101_2:
	s_and_b64 s[10:11], s[0:1], exec
	s_cselect_b32 s2, s3, s21
	v_mov_b32_e32 v2, s20
	v_cndmask_b32_e64 v2, v2, v0, s[0:1]
	v_mov_b32_e32 v3, s2
	flat_load_dwordx2 v[8:9], v[2:3]
	s_andn2_b64 vcc, exec, s[4:5]
	v_pk_mov_b32 v[10:11], s[22:23], s[22:23] op_sel:[0,1]
	s_cbranch_vccnz .LBB101_4
; %bb.3:
	v_pk_mov_b32 v[2:3], s[20:21], s[20:21] op_sel:[0,1]
	flat_load_dwordx2 v[10:11], v[2:3] offset:8
.LBB101_4:
	s_waitcnt vmcnt(0) lgkmcnt(0)
	v_cmp_eq_f64_e32 vcc, 0, v[4:5]
	v_cmp_eq_f64_e64 s[0:1], 0, v[6:7]
	s_and_b64 s[4:5], vcc, s[0:1]
	s_mov_b64 s[0:1], -1
	s_and_saveexec_b64 s[2:3], s[4:5]
; %bb.5:
	v_cmp_neq_f64_e32 vcc, 1.0, v[8:9]
	v_cmp_neq_f64_e64 s[0:1], 0, v[10:11]
	s_or_b64 s[0:1], vcc, s[0:1]
	s_orn2_b64 s[0:1], s[0:1], exec
; %bb.6:
	s_or_b64 exec, exec, s[2:3]
	s_and_saveexec_b64 s[2:3], s[0:1]
	s_cbranch_execz .LBB101_18
; %bb.7:
	s_load_dwordx2 s[12:13], s[6:7], 0x0
	v_lshl_or_b32 v0, s8, 8, v1
	v_lshrrev_b32_e32 v12, 3, v0
	s_waitcnt lgkmcnt(0)
	v_cmp_gt_i32_e32 vcc, s13, v12
	s_and_b64 exec, exec, vcc
	s_cbranch_execz .LBB101_18
; %bb.8:
	s_load_dword s2, s[6:7], 0x60
	s_load_dwordx2 s[14:15], s[6:7], 0x50
	s_load_dwordx4 s[8:11], s[6:7], 0x28
	s_load_dwordx2 s[0:1], s[6:7], 0x38
	v_and_b32_e32 v0, 7, v1
	s_waitcnt lgkmcnt(0)
	s_lshl_b32 s26, s2, 5
	s_bitcmp1_b32 s12, 0
	s_cselect_b64 vcc, -1, 0
	s_ashr_i32 s25, s24, 31
	s_lshl_b64 s[2:3], s[24:25], 4
	s_sub_u32 s12, s0, s2
	s_subb_u32 s25, s1, s3
	v_cmp_neq_f64_e64 s[2:3], 0, v[8:9]
	v_cmp_neq_f64_e64 s[4:5], 0, v[10:11]
	v_subrev_u32_e32 v20, s24, v0
	v_cmp_eq_u32_e64 s[0:1], 7, v0
	s_mov_b64 s[6:7], 0
	s_or_b64 s[4:5], s[2:3], s[4:5]
	v_mov_b32_e32 v21, s17
	v_mov_b32_e32 v22, s19
	s_branch .LBB101_11
.LBB101_9:                              ;   in Loop: Header=BB101_11 Depth=1
	s_or_b64 exec, exec, s[2:3]
	global_store_dwordx4 v[14:15], v[0:3], off
.LBB101_10:                             ;   in Loop: Header=BB101_11 Depth=1
	s_or_b64 exec, exec, s[20:21]
	v_add_u32_e32 v12, s26, v12
	v_cmp_le_i32_e64 s[2:3], s13, v12
	s_or_b64 s[6:7], s[2:3], s[6:7]
	s_andn2_b64 exec, exec, s[6:7]
	s_cbranch_execz .LBB101_18
.LBB101_11:                             ; =>This Loop Header: Depth=1
                                        ;     Child Loop BB101_13 Depth 2
	v_ashrrev_i32_e32 v13, 31, v12
	v_lshlrev_b64 v[0:1], 2, v[12:13]
	v_add_co_u32_e64 v2, s[2:3], s16, v0
	v_addc_co_u32_e64 v3, s[2:3], v21, v1, s[2:3]
	v_add_co_u32_e64 v0, s[2:3], s18, v0
	v_addc_co_u32_e64 v1, s[2:3], v22, v1, s[2:3]
	global_load_dword v14, v[0:1], off
	global_load_dword v15, v[2:3], off
	v_pk_mov_b32 v[0:1], 0, 0
	v_pk_mov_b32 v[2:3], v[0:1], v[0:1] op_sel:[0,1]
	s_waitcnt vmcnt(1)
	v_subrev_u32_e32 v16, s24, v14
	s_waitcnt vmcnt(0)
	v_add_u32_e32 v14, v15, v20
	v_cmp_lt_i32_e64 s[2:3], v14, v16
	s_and_saveexec_b64 s[20:21], s[2:3]
	s_cbranch_execz .LBB101_15
; %bb.12:                               ;   in Loop: Header=BB101_11 Depth=1
	v_pk_mov_b32 v[0:1], 0, 0
	s_mov_b64 s[22:23], 0
	v_pk_mov_b32 v[2:3], v[0:1], v[0:1] op_sel:[0,1]
.LBB101_13:                             ;   Parent Loop BB101_11 Depth=1
                                        ; =>  This Inner Loop Header: Depth=2
	v_ashrrev_i32_e32 v15, 31, v14
	v_lshlrev_b64 v[18:19], 2, v[14:15]
	v_mov_b32_e32 v17, s9
	v_add_co_u32_e64 v18, s[2:3], s8, v18
	v_addc_co_u32_e64 v19, s[2:3], v17, v19, s[2:3]
	global_load_dword v18, v[18:19], off
	v_lshlrev_b64 v[24:25], 4, v[14:15]
	v_mov_b32_e32 v17, s11
	v_add_co_u32_e64 v24, s[2:3], s10, v24
	v_addc_co_u32_e64 v25, s[2:3], v17, v25, s[2:3]
	global_load_dwordx4 v[24:27], v[24:25], off
	v_mov_b32_e32 v23, s25
	v_add_u32_e32 v14, 8, v14
	s_waitcnt vmcnt(1)
	v_ashrrev_i32_e32 v19, 31, v18
	v_lshlrev_b64 v[18:19], 4, v[18:19]
	v_add_co_u32_e64 v18, s[2:3], s12, v18
	v_addc_co_u32_e64 v19, s[2:3], v23, v19, s[2:3]
	global_load_dwordx4 v[28:31], v[18:19], off
	s_waitcnt vmcnt(1)
	v_xor_b32_e32 v15, 0x80000000, v27
	v_cndmask_b32_e32 v27, v27, v15, vcc
	v_mul_f64 v[18:19], v[26:27], -v[6:7]
	v_mul_f64 v[26:27], v[4:5], v[26:27]
	v_fmac_f64_e32 v[18:19], v[4:5], v[24:25]
	v_fmac_f64_e32 v[26:27], v[6:7], v[24:25]
	v_cmp_ge_i32_e64 s[2:3], v14, v16
	s_or_b64 s[22:23], s[2:3], s[22:23]
	s_waitcnt vmcnt(0)
	v_fmac_f64_e32 v[2:3], v[18:19], v[28:29]
	v_fmac_f64_e32 v[0:1], v[26:27], v[28:29]
	v_fma_f64 v[2:3], -v[26:27], v[30:31], v[2:3]
	v_fmac_f64_e32 v[0:1], v[18:19], v[30:31]
	s_andn2_b64 exec, exec, s[22:23]
	s_cbranch_execnz .LBB101_13
; %bb.14:                               ;   in Loop: Header=BB101_11 Depth=1
	s_or_b64 exec, exec, s[22:23]
.LBB101_15:                             ;   in Loop: Header=BB101_11 Depth=1
	s_or_b64 exec, exec, s[20:21]
	v_mov_b32_dpp v14, v2 row_shr:1 row_mask:0xf bank_mask:0xf
	v_mov_b32_dpp v15, v3 row_shr:1 row_mask:0xf bank_mask:0xf
	;; [unrolled: 1-line block ×4, first 2 shown]
	v_add_f64 v[2:3], v[2:3], v[14:15]
	v_add_f64 v[0:1], v[0:1], v[16:17]
	s_nop 0
	v_mov_b32_dpp v14, v2 row_shr:2 row_mask:0xf bank_mask:0xf
	v_mov_b32_dpp v15, v3 row_shr:2 row_mask:0xf bank_mask:0xf
	;; [unrolled: 1-line block ×4, first 2 shown]
	v_add_f64 v[2:3], v[2:3], v[14:15]
	v_add_f64 v[16:17], v[0:1], v[16:17]
	s_nop 0
	v_mov_b32_dpp v14, v2 row_shr:4 row_mask:0xf bank_mask:0xe
	v_mov_b32_dpp v15, v3 row_shr:4 row_mask:0xf bank_mask:0xe
	;; [unrolled: 1-line block ×4, first 2 shown]
	s_and_saveexec_b64 s[20:21], s[0:1]
	s_cbranch_execz .LBB101_10
; %bb.16:                               ;   in Loop: Header=BB101_11 Depth=1
	v_add_f64 v[0:1], v[2:3], v[14:15]
	v_lshlrev_b64 v[14:15], 4, v[12:13]
	v_mov_b32_e32 v13, s15
	v_add_co_u32_e64 v14, s[2:3], s14, v14
	v_add_f64 v[2:3], v[16:17], v[18:19]
	v_addc_co_u32_e64 v15, s[2:3], v13, v15, s[2:3]
	s_and_saveexec_b64 s[2:3], s[4:5]
	s_cbranch_execz .LBB101_9
; %bb.17:                               ;   in Loop: Header=BB101_11 Depth=1
	global_load_dwordx4 v[16:19], v[14:15], off
	s_waitcnt vmcnt(0)
	v_fmac_f64_e32 v[0:1], v[8:9], v[16:17]
	v_fmac_f64_e32 v[2:3], v[10:11], v[16:17]
	v_fma_f64 v[0:1], -v[10:11], v[18:19], v[0:1]
	v_fmac_f64_e32 v[2:3], v[8:9], v[18:19]
	s_branch .LBB101_9
.LBB101_18:
	s_endpgm
	.section	.rodata,"a",@progbits
	.p2align	6, 0x0
	.amdhsa_kernel _ZN9rocsparseL21csrmvn_general_kernelILj256ELj8Eii21rocsparse_complex_numIdES2_S2_S2_EEvbT2_NS_24const_host_device_scalarIT6_EEPKT1_S9_PKS3_PKT3_PKT4_S6_PT5_21rocsparse_index_base_b
		.amdhsa_group_segment_fixed_size 4096
		.amdhsa_private_segment_fixed_size 0
		.amdhsa_kernarg_size 352
		.amdhsa_user_sgpr_count 8
		.amdhsa_user_sgpr_private_segment_buffer 1
		.amdhsa_user_sgpr_dispatch_ptr 1
		.amdhsa_user_sgpr_queue_ptr 0
		.amdhsa_user_sgpr_kernarg_segment_ptr 1
		.amdhsa_user_sgpr_dispatch_id 0
		.amdhsa_user_sgpr_flat_scratch_init 0
		.amdhsa_user_sgpr_kernarg_preload_length 0
		.amdhsa_user_sgpr_kernarg_preload_offset 0
		.amdhsa_user_sgpr_private_segment_size 0
		.amdhsa_uses_dynamic_stack 0
		.amdhsa_system_sgpr_private_segment_wavefront_offset 0
		.amdhsa_system_sgpr_workgroup_id_x 1
		.amdhsa_system_sgpr_workgroup_id_y 0
		.amdhsa_system_sgpr_workgroup_id_z 0
		.amdhsa_system_sgpr_workgroup_info 0
		.amdhsa_system_vgpr_workitem_id 2
		.amdhsa_next_free_vgpr 32
		.amdhsa_next_free_sgpr 27
		.amdhsa_accum_offset 32
		.amdhsa_reserve_vcc 1
		.amdhsa_reserve_flat_scratch 0
		.amdhsa_float_round_mode_32 0
		.amdhsa_float_round_mode_16_64 0
		.amdhsa_float_denorm_mode_32 3
		.amdhsa_float_denorm_mode_16_64 3
		.amdhsa_dx10_clamp 1
		.amdhsa_ieee_mode 1
		.amdhsa_fp16_overflow 0
		.amdhsa_tg_split 0
		.amdhsa_exception_fp_ieee_invalid_op 0
		.amdhsa_exception_fp_denorm_src 0
		.amdhsa_exception_fp_ieee_div_zero 0
		.amdhsa_exception_fp_ieee_overflow 0
		.amdhsa_exception_fp_ieee_underflow 0
		.amdhsa_exception_fp_ieee_inexact 0
		.amdhsa_exception_int_div_zero 0
	.end_amdhsa_kernel
	.section	.text._ZN9rocsparseL21csrmvn_general_kernelILj256ELj8Eii21rocsparse_complex_numIdES2_S2_S2_EEvbT2_NS_24const_host_device_scalarIT6_EEPKT1_S9_PKS3_PKT3_PKT4_S6_PT5_21rocsparse_index_base_b,"axG",@progbits,_ZN9rocsparseL21csrmvn_general_kernelILj256ELj8Eii21rocsparse_complex_numIdES2_S2_S2_EEvbT2_NS_24const_host_device_scalarIT6_EEPKT1_S9_PKS3_PKT3_PKT4_S6_PT5_21rocsparse_index_base_b,comdat
.Lfunc_end101:
	.size	_ZN9rocsparseL21csrmvn_general_kernelILj256ELj8Eii21rocsparse_complex_numIdES2_S2_S2_EEvbT2_NS_24const_host_device_scalarIT6_EEPKT1_S9_PKS3_PKT3_PKT4_S6_PT5_21rocsparse_index_base_b, .Lfunc_end101-_ZN9rocsparseL21csrmvn_general_kernelILj256ELj8Eii21rocsparse_complex_numIdES2_S2_S2_EEvbT2_NS_24const_host_device_scalarIT6_EEPKT1_S9_PKS3_PKT3_PKT4_S6_PT5_21rocsparse_index_base_b
                                        ; -- End function
	.section	.AMDGPU.csdata,"",@progbits
; Kernel info:
; codeLenInByte = 1096
; NumSgprs: 31
; NumVgprs: 32
; NumAgprs: 0
; TotalNumVgprs: 32
; ScratchSize: 0
; MemoryBound: 0
; FloatMode: 240
; IeeeMode: 1
; LDSByteSize: 4096 bytes/workgroup (compile time only)
; SGPRBlocks: 3
; VGPRBlocks: 3
; NumSGPRsForWavesPerEU: 31
; NumVGPRsForWavesPerEU: 32
; AccumOffset: 32
; Occupancy: 8
; WaveLimiterHint : 1
; COMPUTE_PGM_RSRC2:SCRATCH_EN: 0
; COMPUTE_PGM_RSRC2:USER_SGPR: 8
; COMPUTE_PGM_RSRC2:TRAP_HANDLER: 0
; COMPUTE_PGM_RSRC2:TGID_X_EN: 1
; COMPUTE_PGM_RSRC2:TGID_Y_EN: 0
; COMPUTE_PGM_RSRC2:TGID_Z_EN: 0
; COMPUTE_PGM_RSRC2:TIDIG_COMP_CNT: 2
; COMPUTE_PGM_RSRC3_GFX90A:ACCUM_OFFSET: 7
; COMPUTE_PGM_RSRC3_GFX90A:TG_SPLIT: 0
	.section	.text._ZN9rocsparseL21csrmvn_general_kernelILj256ELj16Eii21rocsparse_complex_numIdES2_S2_S2_EEvbT2_NS_24const_host_device_scalarIT6_EEPKT1_S9_PKS3_PKT3_PKT4_S6_PT5_21rocsparse_index_base_b,"axG",@progbits,_ZN9rocsparseL21csrmvn_general_kernelILj256ELj16Eii21rocsparse_complex_numIdES2_S2_S2_EEvbT2_NS_24const_host_device_scalarIT6_EEPKT1_S9_PKS3_PKT3_PKT4_S6_PT5_21rocsparse_index_base_b,comdat
	.globl	_ZN9rocsparseL21csrmvn_general_kernelILj256ELj16Eii21rocsparse_complex_numIdES2_S2_S2_EEvbT2_NS_24const_host_device_scalarIT6_EEPKT1_S9_PKS3_PKT3_PKT4_S6_PT5_21rocsparse_index_base_b ; -- Begin function _ZN9rocsparseL21csrmvn_general_kernelILj256ELj16Eii21rocsparse_complex_numIdES2_S2_S2_EEvbT2_NS_24const_host_device_scalarIT6_EEPKT1_S9_PKS3_PKT3_PKT4_S6_PT5_21rocsparse_index_base_b
	.p2align	8
	.type	_ZN9rocsparseL21csrmvn_general_kernelILj256ELj16Eii21rocsparse_complex_numIdES2_S2_S2_EEvbT2_NS_24const_host_device_scalarIT6_EEPKT1_S9_PKS3_PKT3_PKT4_S6_PT5_21rocsparse_index_base_b,@function
_ZN9rocsparseL21csrmvn_general_kernelILj256ELj16Eii21rocsparse_complex_numIdES2_S2_S2_EEvbT2_NS_24const_host_device_scalarIT6_EEPKT1_S9_PKS3_PKT3_PKT4_S6_PT5_21rocsparse_index_base_b: ; @_ZN9rocsparseL21csrmvn_general_kernelILj256ELj16Eii21rocsparse_complex_numIdES2_S2_S2_EEvbT2_NS_24const_host_device_scalarIT6_EEPKT1_S9_PKS3_PKT3_PKT4_S6_PT5_21rocsparse_index_base_b
; %bb.0:
	s_load_dwordx2 s[24:25], s[6:7], 0x58
	s_load_dwordx8 s[12:19], s[6:7], 0x8
	s_load_dwordx4 s[20:23], s[6:7], 0x40
	s_mov_b64 s[2:3], src_shared_base
	s_load_dwordx2 s[4:5], s[4:5], 0x4
	s_waitcnt lgkmcnt(0)
	s_bitcmp1_b32 s25, 0
	s_cselect_b64 s[0:1], -1, 0
	s_and_b64 vcc, s[0:1], exec
	s_cselect_b32 s2, s3, s13
	s_lshr_b32 s4, s4, 16
	v_and_b32_e32 v1, 0x3ff, v0
	s_mul_i32 s4, s4, s5
	v_mul_lo_u32 v2, s4, v1
	v_bfe_u32 v3, v0, 10, 10
	v_mad_u32_u24 v2, v3, s5, v2
	v_bfe_u32 v0, v0, 20, 10
	v_add_lshl_u32 v0, v2, v0, 3
	v_mov_b32_e32 v6, s12
	v_add_u32_e32 v7, 0x800, v0
	v_pk_mov_b32 v[2:3], s[12:13], s[12:13] op_sel:[0,1]
	v_pk_mov_b32 v[4:5], s[20:21], s[20:21] op_sel:[0,1]
	ds_write2st64_b64 v0, v[4:5], v[2:3] offset1:4
	v_cndmask_b32_e64 v2, v6, v7, s[0:1]
	v_mov_b32_e32 v3, s2
	flat_load_dwordx2 v[4:5], v[2:3]
	s_xor_b64 s[4:5], s[0:1], -1
	v_pk_mov_b32 v[6:7], s[14:15], s[14:15] op_sel:[0,1]
	s_cbranch_vccnz .LBB102_2
; %bb.1:
	v_pk_mov_b32 v[2:3], s[12:13], s[12:13] op_sel:[0,1]
	flat_load_dwordx2 v[6:7], v[2:3] offset:8
.LBB102_2:
	s_and_b64 s[10:11], s[0:1], exec
	s_cselect_b32 s2, s3, s21
	v_mov_b32_e32 v2, s20
	v_cndmask_b32_e64 v2, v2, v0, s[0:1]
	v_mov_b32_e32 v3, s2
	flat_load_dwordx2 v[8:9], v[2:3]
	s_andn2_b64 vcc, exec, s[4:5]
	v_pk_mov_b32 v[10:11], s[22:23], s[22:23] op_sel:[0,1]
	s_cbranch_vccnz .LBB102_4
; %bb.3:
	v_pk_mov_b32 v[2:3], s[20:21], s[20:21] op_sel:[0,1]
	flat_load_dwordx2 v[10:11], v[2:3] offset:8
.LBB102_4:
	s_waitcnt vmcnt(0) lgkmcnt(0)
	v_cmp_eq_f64_e32 vcc, 0, v[4:5]
	v_cmp_eq_f64_e64 s[0:1], 0, v[6:7]
	s_and_b64 s[4:5], vcc, s[0:1]
	s_mov_b64 s[0:1], -1
	s_and_saveexec_b64 s[2:3], s[4:5]
; %bb.5:
	v_cmp_neq_f64_e32 vcc, 1.0, v[8:9]
	v_cmp_neq_f64_e64 s[0:1], 0, v[10:11]
	s_or_b64 s[0:1], vcc, s[0:1]
	s_orn2_b64 s[0:1], s[0:1], exec
; %bb.6:
	s_or_b64 exec, exec, s[2:3]
	s_and_saveexec_b64 s[2:3], s[0:1]
	s_cbranch_execz .LBB102_18
; %bb.7:
	s_load_dwordx2 s[12:13], s[6:7], 0x0
	v_lshl_or_b32 v0, s8, 8, v1
	v_lshrrev_b32_e32 v12, 4, v0
	s_waitcnt lgkmcnt(0)
	v_cmp_gt_i32_e32 vcc, s13, v12
	s_and_b64 exec, exec, vcc
	s_cbranch_execz .LBB102_18
; %bb.8:
	s_load_dword s2, s[6:7], 0x60
	s_load_dwordx2 s[14:15], s[6:7], 0x50
	s_load_dwordx4 s[8:11], s[6:7], 0x28
	s_load_dwordx2 s[0:1], s[6:7], 0x38
	v_and_b32_e32 v0, 15, v1
	s_waitcnt lgkmcnt(0)
	s_lshl_b32 s26, s2, 4
	s_bitcmp1_b32 s12, 0
	s_cselect_b64 vcc, -1, 0
	s_ashr_i32 s25, s24, 31
	s_lshl_b64 s[2:3], s[24:25], 4
	s_sub_u32 s12, s0, s2
	s_subb_u32 s25, s1, s3
	v_cmp_neq_f64_e64 s[2:3], 0, v[8:9]
	v_cmp_neq_f64_e64 s[4:5], 0, v[10:11]
	v_subrev_u32_e32 v20, s24, v0
	v_cmp_eq_u32_e64 s[0:1], 15, v0
	s_mov_b64 s[6:7], 0
	s_or_b64 s[4:5], s[2:3], s[4:5]
	v_mov_b32_e32 v21, s17
	v_mov_b32_e32 v22, s19
	s_branch .LBB102_11
.LBB102_9:                              ;   in Loop: Header=BB102_11 Depth=1
	s_or_b64 exec, exec, s[2:3]
	global_store_dwordx4 v[14:15], v[0:3], off
.LBB102_10:                             ;   in Loop: Header=BB102_11 Depth=1
	s_or_b64 exec, exec, s[20:21]
	v_add_u32_e32 v12, s26, v12
	v_cmp_le_i32_e64 s[2:3], s13, v12
	s_or_b64 s[6:7], s[2:3], s[6:7]
	s_andn2_b64 exec, exec, s[6:7]
	s_cbranch_execz .LBB102_18
.LBB102_11:                             ; =>This Loop Header: Depth=1
                                        ;     Child Loop BB102_13 Depth 2
	v_ashrrev_i32_e32 v13, 31, v12
	v_lshlrev_b64 v[0:1], 2, v[12:13]
	v_add_co_u32_e64 v2, s[2:3], s16, v0
	v_addc_co_u32_e64 v3, s[2:3], v21, v1, s[2:3]
	v_add_co_u32_e64 v0, s[2:3], s18, v0
	v_addc_co_u32_e64 v1, s[2:3], v22, v1, s[2:3]
	global_load_dword v14, v[0:1], off
	global_load_dword v15, v[2:3], off
	v_pk_mov_b32 v[0:1], 0, 0
	v_pk_mov_b32 v[2:3], v[0:1], v[0:1] op_sel:[0,1]
	s_waitcnt vmcnt(1)
	v_subrev_u32_e32 v16, s24, v14
	s_waitcnt vmcnt(0)
	v_add_u32_e32 v14, v15, v20
	v_cmp_lt_i32_e64 s[2:3], v14, v16
	s_and_saveexec_b64 s[20:21], s[2:3]
	s_cbranch_execz .LBB102_15
; %bb.12:                               ;   in Loop: Header=BB102_11 Depth=1
	v_pk_mov_b32 v[0:1], 0, 0
	s_mov_b64 s[22:23], 0
	v_pk_mov_b32 v[2:3], v[0:1], v[0:1] op_sel:[0,1]
.LBB102_13:                             ;   Parent Loop BB102_11 Depth=1
                                        ; =>  This Inner Loop Header: Depth=2
	v_ashrrev_i32_e32 v15, 31, v14
	v_lshlrev_b64 v[18:19], 2, v[14:15]
	v_mov_b32_e32 v17, s9
	v_add_co_u32_e64 v18, s[2:3], s8, v18
	v_addc_co_u32_e64 v19, s[2:3], v17, v19, s[2:3]
	global_load_dword v18, v[18:19], off
	v_lshlrev_b64 v[24:25], 4, v[14:15]
	v_mov_b32_e32 v17, s11
	v_add_co_u32_e64 v24, s[2:3], s10, v24
	v_addc_co_u32_e64 v25, s[2:3], v17, v25, s[2:3]
	global_load_dwordx4 v[24:27], v[24:25], off
	v_mov_b32_e32 v23, s25
	v_add_u32_e32 v14, 16, v14
	s_waitcnt vmcnt(1)
	v_ashrrev_i32_e32 v19, 31, v18
	v_lshlrev_b64 v[18:19], 4, v[18:19]
	v_add_co_u32_e64 v18, s[2:3], s12, v18
	v_addc_co_u32_e64 v19, s[2:3], v23, v19, s[2:3]
	global_load_dwordx4 v[28:31], v[18:19], off
	s_waitcnt vmcnt(1)
	v_xor_b32_e32 v15, 0x80000000, v27
	v_cndmask_b32_e32 v27, v27, v15, vcc
	v_mul_f64 v[18:19], v[26:27], -v[6:7]
	v_mul_f64 v[26:27], v[4:5], v[26:27]
	v_fmac_f64_e32 v[18:19], v[4:5], v[24:25]
	v_fmac_f64_e32 v[26:27], v[6:7], v[24:25]
	v_cmp_ge_i32_e64 s[2:3], v14, v16
	s_or_b64 s[22:23], s[2:3], s[22:23]
	s_waitcnt vmcnt(0)
	v_fmac_f64_e32 v[2:3], v[18:19], v[28:29]
	v_fmac_f64_e32 v[0:1], v[26:27], v[28:29]
	v_fma_f64 v[2:3], -v[26:27], v[30:31], v[2:3]
	v_fmac_f64_e32 v[0:1], v[18:19], v[30:31]
	s_andn2_b64 exec, exec, s[22:23]
	s_cbranch_execnz .LBB102_13
; %bb.14:                               ;   in Loop: Header=BB102_11 Depth=1
	s_or_b64 exec, exec, s[22:23]
.LBB102_15:                             ;   in Loop: Header=BB102_11 Depth=1
	s_or_b64 exec, exec, s[20:21]
	v_mov_b32_dpp v14, v2 row_shr:1 row_mask:0xf bank_mask:0xf
	v_mov_b32_dpp v15, v3 row_shr:1 row_mask:0xf bank_mask:0xf
	v_mov_b32_dpp v16, v0 row_shr:1 row_mask:0xf bank_mask:0xf
	v_mov_b32_dpp v17, v1 row_shr:1 row_mask:0xf bank_mask:0xf
	v_add_f64 v[2:3], v[2:3], v[14:15]
	v_add_f64 v[0:1], v[0:1], v[16:17]
	s_nop 0
	v_mov_b32_dpp v14, v2 row_shr:2 row_mask:0xf bank_mask:0xf
	v_mov_b32_dpp v15, v3 row_shr:2 row_mask:0xf bank_mask:0xf
	v_mov_b32_dpp v16, v0 row_shr:2 row_mask:0xf bank_mask:0xf
	v_mov_b32_dpp v17, v1 row_shr:2 row_mask:0xf bank_mask:0xf
	v_add_f64 v[2:3], v[2:3], v[14:15]
	v_add_f64 v[0:1], v[0:1], v[16:17]
	s_nop 0
	;; [unrolled: 7-line block ×3, first 2 shown]
	v_mov_b32_dpp v14, v2 row_shr:8 row_mask:0xf bank_mask:0xc
	v_mov_b32_dpp v15, v3 row_shr:8 row_mask:0xf bank_mask:0xc
	v_mov_b32_dpp v18, v16 row_shr:8 row_mask:0xf bank_mask:0xc
	v_mov_b32_dpp v19, v17 row_shr:8 row_mask:0xf bank_mask:0xc
	s_and_saveexec_b64 s[20:21], s[0:1]
	s_cbranch_execz .LBB102_10
; %bb.16:                               ;   in Loop: Header=BB102_11 Depth=1
	v_add_f64 v[0:1], v[2:3], v[14:15]
	v_lshlrev_b64 v[14:15], 4, v[12:13]
	v_mov_b32_e32 v13, s15
	v_add_co_u32_e64 v14, s[2:3], s14, v14
	v_add_f64 v[2:3], v[16:17], v[18:19]
	v_addc_co_u32_e64 v15, s[2:3], v13, v15, s[2:3]
	s_and_saveexec_b64 s[2:3], s[4:5]
	s_cbranch_execz .LBB102_9
; %bb.17:                               ;   in Loop: Header=BB102_11 Depth=1
	global_load_dwordx4 v[16:19], v[14:15], off
	s_waitcnt vmcnt(0)
	v_fmac_f64_e32 v[0:1], v[8:9], v[16:17]
	v_fmac_f64_e32 v[2:3], v[10:11], v[16:17]
	v_fma_f64 v[0:1], -v[10:11], v[18:19], v[0:1]
	v_fmac_f64_e32 v[2:3], v[8:9], v[18:19]
	s_branch .LBB102_9
.LBB102_18:
	s_endpgm
	.section	.rodata,"a",@progbits
	.p2align	6, 0x0
	.amdhsa_kernel _ZN9rocsparseL21csrmvn_general_kernelILj256ELj16Eii21rocsparse_complex_numIdES2_S2_S2_EEvbT2_NS_24const_host_device_scalarIT6_EEPKT1_S9_PKS3_PKT3_PKT4_S6_PT5_21rocsparse_index_base_b
		.amdhsa_group_segment_fixed_size 4096
		.amdhsa_private_segment_fixed_size 0
		.amdhsa_kernarg_size 352
		.amdhsa_user_sgpr_count 8
		.amdhsa_user_sgpr_private_segment_buffer 1
		.amdhsa_user_sgpr_dispatch_ptr 1
		.amdhsa_user_sgpr_queue_ptr 0
		.amdhsa_user_sgpr_kernarg_segment_ptr 1
		.amdhsa_user_sgpr_dispatch_id 0
		.amdhsa_user_sgpr_flat_scratch_init 0
		.amdhsa_user_sgpr_kernarg_preload_length 0
		.amdhsa_user_sgpr_kernarg_preload_offset 0
		.amdhsa_user_sgpr_private_segment_size 0
		.amdhsa_uses_dynamic_stack 0
		.amdhsa_system_sgpr_private_segment_wavefront_offset 0
		.amdhsa_system_sgpr_workgroup_id_x 1
		.amdhsa_system_sgpr_workgroup_id_y 0
		.amdhsa_system_sgpr_workgroup_id_z 0
		.amdhsa_system_sgpr_workgroup_info 0
		.amdhsa_system_vgpr_workitem_id 2
		.amdhsa_next_free_vgpr 32
		.amdhsa_next_free_sgpr 27
		.amdhsa_accum_offset 32
		.amdhsa_reserve_vcc 1
		.amdhsa_reserve_flat_scratch 0
		.amdhsa_float_round_mode_32 0
		.amdhsa_float_round_mode_16_64 0
		.amdhsa_float_denorm_mode_32 3
		.amdhsa_float_denorm_mode_16_64 3
		.amdhsa_dx10_clamp 1
		.amdhsa_ieee_mode 1
		.amdhsa_fp16_overflow 0
		.amdhsa_tg_split 0
		.amdhsa_exception_fp_ieee_invalid_op 0
		.amdhsa_exception_fp_denorm_src 0
		.amdhsa_exception_fp_ieee_div_zero 0
		.amdhsa_exception_fp_ieee_overflow 0
		.amdhsa_exception_fp_ieee_underflow 0
		.amdhsa_exception_fp_ieee_inexact 0
		.amdhsa_exception_int_div_zero 0
	.end_amdhsa_kernel
	.section	.text._ZN9rocsparseL21csrmvn_general_kernelILj256ELj16Eii21rocsparse_complex_numIdES2_S2_S2_EEvbT2_NS_24const_host_device_scalarIT6_EEPKT1_S9_PKS3_PKT3_PKT4_S6_PT5_21rocsparse_index_base_b,"axG",@progbits,_ZN9rocsparseL21csrmvn_general_kernelILj256ELj16Eii21rocsparse_complex_numIdES2_S2_S2_EEvbT2_NS_24const_host_device_scalarIT6_EEPKT1_S9_PKS3_PKT3_PKT4_S6_PT5_21rocsparse_index_base_b,comdat
.Lfunc_end102:
	.size	_ZN9rocsparseL21csrmvn_general_kernelILj256ELj16Eii21rocsparse_complex_numIdES2_S2_S2_EEvbT2_NS_24const_host_device_scalarIT6_EEPKT1_S9_PKS3_PKT3_PKT4_S6_PT5_21rocsparse_index_base_b, .Lfunc_end102-_ZN9rocsparseL21csrmvn_general_kernelILj256ELj16Eii21rocsparse_complex_numIdES2_S2_S2_EEvbT2_NS_24const_host_device_scalarIT6_EEPKT1_S9_PKS3_PKT3_PKT4_S6_PT5_21rocsparse_index_base_b
                                        ; -- End function
	.section	.AMDGPU.csdata,"",@progbits
; Kernel info:
; codeLenInByte = 1148
; NumSgprs: 31
; NumVgprs: 32
; NumAgprs: 0
; TotalNumVgprs: 32
; ScratchSize: 0
; MemoryBound: 0
; FloatMode: 240
; IeeeMode: 1
; LDSByteSize: 4096 bytes/workgroup (compile time only)
; SGPRBlocks: 3
; VGPRBlocks: 3
; NumSGPRsForWavesPerEU: 31
; NumVGPRsForWavesPerEU: 32
; AccumOffset: 32
; Occupancy: 8
; WaveLimiterHint : 1
; COMPUTE_PGM_RSRC2:SCRATCH_EN: 0
; COMPUTE_PGM_RSRC2:USER_SGPR: 8
; COMPUTE_PGM_RSRC2:TRAP_HANDLER: 0
; COMPUTE_PGM_RSRC2:TGID_X_EN: 1
; COMPUTE_PGM_RSRC2:TGID_Y_EN: 0
; COMPUTE_PGM_RSRC2:TGID_Z_EN: 0
; COMPUTE_PGM_RSRC2:TIDIG_COMP_CNT: 2
; COMPUTE_PGM_RSRC3_GFX90A:ACCUM_OFFSET: 7
; COMPUTE_PGM_RSRC3_GFX90A:TG_SPLIT: 0
	.section	.text._ZN9rocsparseL21csrmvn_general_kernelILj256ELj32Eii21rocsparse_complex_numIdES2_S2_S2_EEvbT2_NS_24const_host_device_scalarIT6_EEPKT1_S9_PKS3_PKT3_PKT4_S6_PT5_21rocsparse_index_base_b,"axG",@progbits,_ZN9rocsparseL21csrmvn_general_kernelILj256ELj32Eii21rocsparse_complex_numIdES2_S2_S2_EEvbT2_NS_24const_host_device_scalarIT6_EEPKT1_S9_PKS3_PKT3_PKT4_S6_PT5_21rocsparse_index_base_b,comdat
	.globl	_ZN9rocsparseL21csrmvn_general_kernelILj256ELj32Eii21rocsparse_complex_numIdES2_S2_S2_EEvbT2_NS_24const_host_device_scalarIT6_EEPKT1_S9_PKS3_PKT3_PKT4_S6_PT5_21rocsparse_index_base_b ; -- Begin function _ZN9rocsparseL21csrmvn_general_kernelILj256ELj32Eii21rocsparse_complex_numIdES2_S2_S2_EEvbT2_NS_24const_host_device_scalarIT6_EEPKT1_S9_PKS3_PKT3_PKT4_S6_PT5_21rocsparse_index_base_b
	.p2align	8
	.type	_ZN9rocsparseL21csrmvn_general_kernelILj256ELj32Eii21rocsparse_complex_numIdES2_S2_S2_EEvbT2_NS_24const_host_device_scalarIT6_EEPKT1_S9_PKS3_PKT3_PKT4_S6_PT5_21rocsparse_index_base_b,@function
_ZN9rocsparseL21csrmvn_general_kernelILj256ELj32Eii21rocsparse_complex_numIdES2_S2_S2_EEvbT2_NS_24const_host_device_scalarIT6_EEPKT1_S9_PKS3_PKT3_PKT4_S6_PT5_21rocsparse_index_base_b: ; @_ZN9rocsparseL21csrmvn_general_kernelILj256ELj32Eii21rocsparse_complex_numIdES2_S2_S2_EEvbT2_NS_24const_host_device_scalarIT6_EEPKT1_S9_PKS3_PKT3_PKT4_S6_PT5_21rocsparse_index_base_b
; %bb.0:
	s_load_dwordx2 s[24:25], s[6:7], 0x58
	s_load_dwordx8 s[12:19], s[6:7], 0x8
	s_load_dwordx4 s[20:23], s[6:7], 0x40
	s_mov_b64 s[2:3], src_shared_base
	s_load_dwordx2 s[4:5], s[4:5], 0x4
	s_waitcnt lgkmcnt(0)
	s_bitcmp1_b32 s25, 0
	s_cselect_b64 s[0:1], -1, 0
	s_and_b64 vcc, s[0:1], exec
	s_cselect_b32 s2, s3, s13
	s_lshr_b32 s4, s4, 16
	v_and_b32_e32 v1, 0x3ff, v0
	s_mul_i32 s4, s4, s5
	v_mul_lo_u32 v2, s4, v1
	v_bfe_u32 v3, v0, 10, 10
	v_mad_u32_u24 v2, v3, s5, v2
	v_bfe_u32 v0, v0, 20, 10
	v_add_lshl_u32 v0, v2, v0, 3
	v_mov_b32_e32 v6, s12
	v_add_u32_e32 v7, 0x800, v0
	v_pk_mov_b32 v[2:3], s[12:13], s[12:13] op_sel:[0,1]
	v_pk_mov_b32 v[4:5], s[20:21], s[20:21] op_sel:[0,1]
	ds_write2st64_b64 v0, v[4:5], v[2:3] offset1:4
	v_cndmask_b32_e64 v2, v6, v7, s[0:1]
	v_mov_b32_e32 v3, s2
	flat_load_dwordx2 v[4:5], v[2:3]
	s_xor_b64 s[4:5], s[0:1], -1
	v_pk_mov_b32 v[6:7], s[14:15], s[14:15] op_sel:[0,1]
	s_cbranch_vccnz .LBB103_2
; %bb.1:
	v_pk_mov_b32 v[2:3], s[12:13], s[12:13] op_sel:[0,1]
	flat_load_dwordx2 v[6:7], v[2:3] offset:8
.LBB103_2:
	s_and_b64 s[10:11], s[0:1], exec
	s_cselect_b32 s2, s3, s21
	v_mov_b32_e32 v2, s20
	v_cndmask_b32_e64 v2, v2, v0, s[0:1]
	v_mov_b32_e32 v3, s2
	flat_load_dwordx2 v[8:9], v[2:3]
	s_andn2_b64 vcc, exec, s[4:5]
	v_pk_mov_b32 v[10:11], s[22:23], s[22:23] op_sel:[0,1]
	s_cbranch_vccnz .LBB103_4
; %bb.3:
	v_pk_mov_b32 v[2:3], s[20:21], s[20:21] op_sel:[0,1]
	flat_load_dwordx2 v[10:11], v[2:3] offset:8
.LBB103_4:
	s_waitcnt vmcnt(0) lgkmcnt(0)
	v_cmp_eq_f64_e32 vcc, 0, v[4:5]
	v_cmp_eq_f64_e64 s[0:1], 0, v[6:7]
	s_and_b64 s[4:5], vcc, s[0:1]
	s_mov_b64 s[0:1], -1
	s_and_saveexec_b64 s[2:3], s[4:5]
; %bb.5:
	v_cmp_neq_f64_e32 vcc, 1.0, v[8:9]
	v_cmp_neq_f64_e64 s[0:1], 0, v[10:11]
	s_or_b64 s[0:1], vcc, s[0:1]
	s_orn2_b64 s[0:1], s[0:1], exec
; %bb.6:
	s_or_b64 exec, exec, s[2:3]
	s_and_saveexec_b64 s[2:3], s[0:1]
	s_cbranch_execz .LBB103_18
; %bb.7:
	s_load_dwordx2 s[12:13], s[6:7], 0x0
	v_lshl_or_b32 v0, s8, 8, v1
	v_lshrrev_b32_e32 v12, 5, v0
	s_waitcnt lgkmcnt(0)
	v_cmp_gt_i32_e32 vcc, s13, v12
	s_and_b64 exec, exec, vcc
	s_cbranch_execz .LBB103_18
; %bb.8:
	s_load_dword s2, s[6:7], 0x60
	s_load_dwordx2 s[14:15], s[6:7], 0x50
	s_load_dwordx4 s[8:11], s[6:7], 0x28
	s_load_dwordx2 s[0:1], s[6:7], 0x38
	v_and_b32_e32 v0, 31, v1
	s_waitcnt lgkmcnt(0)
	s_lshl_b32 s26, s2, 3
	s_bitcmp1_b32 s12, 0
	s_cselect_b64 vcc, -1, 0
	s_ashr_i32 s25, s24, 31
	s_lshl_b64 s[2:3], s[24:25], 4
	s_sub_u32 s12, s0, s2
	s_subb_u32 s25, s1, s3
	v_cmp_neq_f64_e64 s[2:3], 0, v[8:9]
	v_cmp_neq_f64_e64 s[4:5], 0, v[10:11]
	v_subrev_u32_e32 v20, s24, v0
	v_cmp_eq_u32_e64 s[0:1], 31, v0
	s_mov_b64 s[6:7], 0
	s_or_b64 s[4:5], s[2:3], s[4:5]
	v_mov_b32_e32 v21, s17
	v_mov_b32_e32 v22, s19
	s_branch .LBB103_11
.LBB103_9:                              ;   in Loop: Header=BB103_11 Depth=1
	s_or_b64 exec, exec, s[2:3]
	global_store_dwordx4 v[14:15], v[0:3], off
.LBB103_10:                             ;   in Loop: Header=BB103_11 Depth=1
	s_or_b64 exec, exec, s[20:21]
	v_add_u32_e32 v12, s26, v12
	v_cmp_le_i32_e64 s[2:3], s13, v12
	s_or_b64 s[6:7], s[2:3], s[6:7]
	s_andn2_b64 exec, exec, s[6:7]
	s_cbranch_execz .LBB103_18
.LBB103_11:                             ; =>This Loop Header: Depth=1
                                        ;     Child Loop BB103_13 Depth 2
	v_ashrrev_i32_e32 v13, 31, v12
	v_lshlrev_b64 v[0:1], 2, v[12:13]
	v_add_co_u32_e64 v2, s[2:3], s16, v0
	v_addc_co_u32_e64 v3, s[2:3], v21, v1, s[2:3]
	v_add_co_u32_e64 v0, s[2:3], s18, v0
	v_addc_co_u32_e64 v1, s[2:3], v22, v1, s[2:3]
	global_load_dword v14, v[0:1], off
	global_load_dword v15, v[2:3], off
	v_pk_mov_b32 v[0:1], 0, 0
	v_pk_mov_b32 v[2:3], v[0:1], v[0:1] op_sel:[0,1]
	s_waitcnt vmcnt(1)
	v_subrev_u32_e32 v16, s24, v14
	s_waitcnt vmcnt(0)
	v_add_u32_e32 v14, v15, v20
	v_cmp_lt_i32_e64 s[2:3], v14, v16
	s_and_saveexec_b64 s[20:21], s[2:3]
	s_cbranch_execz .LBB103_15
; %bb.12:                               ;   in Loop: Header=BB103_11 Depth=1
	v_pk_mov_b32 v[0:1], 0, 0
	s_mov_b64 s[22:23], 0
	v_pk_mov_b32 v[2:3], v[0:1], v[0:1] op_sel:[0,1]
.LBB103_13:                             ;   Parent Loop BB103_11 Depth=1
                                        ; =>  This Inner Loop Header: Depth=2
	v_ashrrev_i32_e32 v15, 31, v14
	v_lshlrev_b64 v[18:19], 2, v[14:15]
	v_mov_b32_e32 v17, s9
	v_add_co_u32_e64 v18, s[2:3], s8, v18
	v_addc_co_u32_e64 v19, s[2:3], v17, v19, s[2:3]
	global_load_dword v18, v[18:19], off
	v_lshlrev_b64 v[24:25], 4, v[14:15]
	v_mov_b32_e32 v17, s11
	v_add_co_u32_e64 v24, s[2:3], s10, v24
	v_addc_co_u32_e64 v25, s[2:3], v17, v25, s[2:3]
	global_load_dwordx4 v[24:27], v[24:25], off
	v_mov_b32_e32 v23, s25
	v_add_u32_e32 v14, 32, v14
	s_waitcnt vmcnt(1)
	v_ashrrev_i32_e32 v19, 31, v18
	v_lshlrev_b64 v[18:19], 4, v[18:19]
	v_add_co_u32_e64 v18, s[2:3], s12, v18
	v_addc_co_u32_e64 v19, s[2:3], v23, v19, s[2:3]
	global_load_dwordx4 v[28:31], v[18:19], off
	s_waitcnt vmcnt(1)
	v_xor_b32_e32 v15, 0x80000000, v27
	v_cndmask_b32_e32 v27, v27, v15, vcc
	v_mul_f64 v[18:19], v[26:27], -v[6:7]
	v_mul_f64 v[26:27], v[4:5], v[26:27]
	v_fmac_f64_e32 v[18:19], v[4:5], v[24:25]
	v_fmac_f64_e32 v[26:27], v[6:7], v[24:25]
	v_cmp_ge_i32_e64 s[2:3], v14, v16
	s_or_b64 s[22:23], s[2:3], s[22:23]
	s_waitcnt vmcnt(0)
	v_fmac_f64_e32 v[2:3], v[18:19], v[28:29]
	v_fmac_f64_e32 v[0:1], v[26:27], v[28:29]
	v_fma_f64 v[2:3], -v[26:27], v[30:31], v[2:3]
	v_fmac_f64_e32 v[0:1], v[18:19], v[30:31]
	s_andn2_b64 exec, exec, s[22:23]
	s_cbranch_execnz .LBB103_13
; %bb.14:                               ;   in Loop: Header=BB103_11 Depth=1
	s_or_b64 exec, exec, s[22:23]
.LBB103_15:                             ;   in Loop: Header=BB103_11 Depth=1
	s_or_b64 exec, exec, s[20:21]
	v_mov_b32_dpp v14, v2 row_shr:1 row_mask:0xf bank_mask:0xf
	v_mov_b32_dpp v15, v3 row_shr:1 row_mask:0xf bank_mask:0xf
	v_mov_b32_dpp v16, v0 row_shr:1 row_mask:0xf bank_mask:0xf
	v_mov_b32_dpp v17, v1 row_shr:1 row_mask:0xf bank_mask:0xf
	v_add_f64 v[2:3], v[2:3], v[14:15]
	v_add_f64 v[0:1], v[0:1], v[16:17]
	s_nop 0
	v_mov_b32_dpp v14, v2 row_shr:2 row_mask:0xf bank_mask:0xf
	v_mov_b32_dpp v15, v3 row_shr:2 row_mask:0xf bank_mask:0xf
	v_mov_b32_dpp v16, v0 row_shr:2 row_mask:0xf bank_mask:0xf
	v_mov_b32_dpp v17, v1 row_shr:2 row_mask:0xf bank_mask:0xf
	v_add_f64 v[2:3], v[2:3], v[14:15]
	v_add_f64 v[0:1], v[0:1], v[16:17]
	s_nop 0
	;; [unrolled: 7-line block ×4, first 2 shown]
	v_mov_b32_dpp v14, v2 row_bcast:15 row_mask:0xa bank_mask:0xf
	v_mov_b32_dpp v15, v3 row_bcast:15 row_mask:0xa bank_mask:0xf
	;; [unrolled: 1-line block ×4, first 2 shown]
	s_and_saveexec_b64 s[20:21], s[0:1]
	s_cbranch_execz .LBB103_10
; %bb.16:                               ;   in Loop: Header=BB103_11 Depth=1
	v_add_f64 v[0:1], v[2:3], v[14:15]
	v_lshlrev_b64 v[14:15], 4, v[12:13]
	v_mov_b32_e32 v13, s15
	v_add_co_u32_e64 v14, s[2:3], s14, v14
	v_add_f64 v[2:3], v[16:17], v[18:19]
	v_addc_co_u32_e64 v15, s[2:3], v13, v15, s[2:3]
	s_and_saveexec_b64 s[2:3], s[4:5]
	s_cbranch_execz .LBB103_9
; %bb.17:                               ;   in Loop: Header=BB103_11 Depth=1
	global_load_dwordx4 v[16:19], v[14:15], off
	s_waitcnt vmcnt(0)
	v_fmac_f64_e32 v[0:1], v[8:9], v[16:17]
	v_fmac_f64_e32 v[2:3], v[10:11], v[16:17]
	v_fma_f64 v[0:1], -v[10:11], v[18:19], v[0:1]
	v_fmac_f64_e32 v[2:3], v[8:9], v[18:19]
	s_branch .LBB103_9
.LBB103_18:
	s_endpgm
	.section	.rodata,"a",@progbits
	.p2align	6, 0x0
	.amdhsa_kernel _ZN9rocsparseL21csrmvn_general_kernelILj256ELj32Eii21rocsparse_complex_numIdES2_S2_S2_EEvbT2_NS_24const_host_device_scalarIT6_EEPKT1_S9_PKS3_PKT3_PKT4_S6_PT5_21rocsparse_index_base_b
		.amdhsa_group_segment_fixed_size 4096
		.amdhsa_private_segment_fixed_size 0
		.amdhsa_kernarg_size 352
		.amdhsa_user_sgpr_count 8
		.amdhsa_user_sgpr_private_segment_buffer 1
		.amdhsa_user_sgpr_dispatch_ptr 1
		.amdhsa_user_sgpr_queue_ptr 0
		.amdhsa_user_sgpr_kernarg_segment_ptr 1
		.amdhsa_user_sgpr_dispatch_id 0
		.amdhsa_user_sgpr_flat_scratch_init 0
		.amdhsa_user_sgpr_kernarg_preload_length 0
		.amdhsa_user_sgpr_kernarg_preload_offset 0
		.amdhsa_user_sgpr_private_segment_size 0
		.amdhsa_uses_dynamic_stack 0
		.amdhsa_system_sgpr_private_segment_wavefront_offset 0
		.amdhsa_system_sgpr_workgroup_id_x 1
		.amdhsa_system_sgpr_workgroup_id_y 0
		.amdhsa_system_sgpr_workgroup_id_z 0
		.amdhsa_system_sgpr_workgroup_info 0
		.amdhsa_system_vgpr_workitem_id 2
		.amdhsa_next_free_vgpr 32
		.amdhsa_next_free_sgpr 27
		.amdhsa_accum_offset 32
		.amdhsa_reserve_vcc 1
		.amdhsa_reserve_flat_scratch 0
		.amdhsa_float_round_mode_32 0
		.amdhsa_float_round_mode_16_64 0
		.amdhsa_float_denorm_mode_32 3
		.amdhsa_float_denorm_mode_16_64 3
		.amdhsa_dx10_clamp 1
		.amdhsa_ieee_mode 1
		.amdhsa_fp16_overflow 0
		.amdhsa_tg_split 0
		.amdhsa_exception_fp_ieee_invalid_op 0
		.amdhsa_exception_fp_denorm_src 0
		.amdhsa_exception_fp_ieee_div_zero 0
		.amdhsa_exception_fp_ieee_overflow 0
		.amdhsa_exception_fp_ieee_underflow 0
		.amdhsa_exception_fp_ieee_inexact 0
		.amdhsa_exception_int_div_zero 0
	.end_amdhsa_kernel
	.section	.text._ZN9rocsparseL21csrmvn_general_kernelILj256ELj32Eii21rocsparse_complex_numIdES2_S2_S2_EEvbT2_NS_24const_host_device_scalarIT6_EEPKT1_S9_PKS3_PKT3_PKT4_S6_PT5_21rocsparse_index_base_b,"axG",@progbits,_ZN9rocsparseL21csrmvn_general_kernelILj256ELj32Eii21rocsparse_complex_numIdES2_S2_S2_EEvbT2_NS_24const_host_device_scalarIT6_EEPKT1_S9_PKS3_PKT3_PKT4_S6_PT5_21rocsparse_index_base_b,comdat
.Lfunc_end103:
	.size	_ZN9rocsparseL21csrmvn_general_kernelILj256ELj32Eii21rocsparse_complex_numIdES2_S2_S2_EEvbT2_NS_24const_host_device_scalarIT6_EEPKT1_S9_PKS3_PKT3_PKT4_S6_PT5_21rocsparse_index_base_b, .Lfunc_end103-_ZN9rocsparseL21csrmvn_general_kernelILj256ELj32Eii21rocsparse_complex_numIdES2_S2_S2_EEvbT2_NS_24const_host_device_scalarIT6_EEPKT1_S9_PKS3_PKT3_PKT4_S6_PT5_21rocsparse_index_base_b
                                        ; -- End function
	.section	.AMDGPU.csdata,"",@progbits
; Kernel info:
; codeLenInByte = 1200
; NumSgprs: 31
; NumVgprs: 32
; NumAgprs: 0
; TotalNumVgprs: 32
; ScratchSize: 0
; MemoryBound: 0
; FloatMode: 240
; IeeeMode: 1
; LDSByteSize: 4096 bytes/workgroup (compile time only)
; SGPRBlocks: 3
; VGPRBlocks: 3
; NumSGPRsForWavesPerEU: 31
; NumVGPRsForWavesPerEU: 32
; AccumOffset: 32
; Occupancy: 8
; WaveLimiterHint : 1
; COMPUTE_PGM_RSRC2:SCRATCH_EN: 0
; COMPUTE_PGM_RSRC2:USER_SGPR: 8
; COMPUTE_PGM_RSRC2:TRAP_HANDLER: 0
; COMPUTE_PGM_RSRC2:TGID_X_EN: 1
; COMPUTE_PGM_RSRC2:TGID_Y_EN: 0
; COMPUTE_PGM_RSRC2:TGID_Z_EN: 0
; COMPUTE_PGM_RSRC2:TIDIG_COMP_CNT: 2
; COMPUTE_PGM_RSRC3_GFX90A:ACCUM_OFFSET: 7
; COMPUTE_PGM_RSRC3_GFX90A:TG_SPLIT: 0
	.section	.text._ZN9rocsparseL21csrmvn_general_kernelILj256ELj64Eii21rocsparse_complex_numIdES2_S2_S2_EEvbT2_NS_24const_host_device_scalarIT6_EEPKT1_S9_PKS3_PKT3_PKT4_S6_PT5_21rocsparse_index_base_b,"axG",@progbits,_ZN9rocsparseL21csrmvn_general_kernelILj256ELj64Eii21rocsparse_complex_numIdES2_S2_S2_EEvbT2_NS_24const_host_device_scalarIT6_EEPKT1_S9_PKS3_PKT3_PKT4_S6_PT5_21rocsparse_index_base_b,comdat
	.globl	_ZN9rocsparseL21csrmvn_general_kernelILj256ELj64Eii21rocsparse_complex_numIdES2_S2_S2_EEvbT2_NS_24const_host_device_scalarIT6_EEPKT1_S9_PKS3_PKT3_PKT4_S6_PT5_21rocsparse_index_base_b ; -- Begin function _ZN9rocsparseL21csrmvn_general_kernelILj256ELj64Eii21rocsparse_complex_numIdES2_S2_S2_EEvbT2_NS_24const_host_device_scalarIT6_EEPKT1_S9_PKS3_PKT3_PKT4_S6_PT5_21rocsparse_index_base_b
	.p2align	8
	.type	_ZN9rocsparseL21csrmvn_general_kernelILj256ELj64Eii21rocsparse_complex_numIdES2_S2_S2_EEvbT2_NS_24const_host_device_scalarIT6_EEPKT1_S9_PKS3_PKT3_PKT4_S6_PT5_21rocsparse_index_base_b,@function
_ZN9rocsparseL21csrmvn_general_kernelILj256ELj64Eii21rocsparse_complex_numIdES2_S2_S2_EEvbT2_NS_24const_host_device_scalarIT6_EEPKT1_S9_PKS3_PKT3_PKT4_S6_PT5_21rocsparse_index_base_b: ; @_ZN9rocsparseL21csrmvn_general_kernelILj256ELj64Eii21rocsparse_complex_numIdES2_S2_S2_EEvbT2_NS_24const_host_device_scalarIT6_EEPKT1_S9_PKS3_PKT3_PKT4_S6_PT5_21rocsparse_index_base_b
; %bb.0:
	s_load_dwordx2 s[24:25], s[6:7], 0x58
	s_load_dwordx8 s[12:19], s[6:7], 0x8
	s_load_dwordx4 s[20:23], s[6:7], 0x40
	s_mov_b64 s[2:3], src_shared_base
	s_load_dwordx2 s[4:5], s[4:5], 0x4
	s_waitcnt lgkmcnt(0)
	s_bitcmp1_b32 s25, 0
	s_cselect_b64 s[0:1], -1, 0
	s_and_b64 vcc, s[0:1], exec
	s_cselect_b32 s2, s3, s13
	s_lshr_b32 s4, s4, 16
	v_and_b32_e32 v1, 0x3ff, v0
	s_mul_i32 s4, s4, s5
	v_mul_lo_u32 v2, s4, v1
	v_bfe_u32 v3, v0, 10, 10
	v_mad_u32_u24 v2, v3, s5, v2
	v_bfe_u32 v0, v0, 20, 10
	v_add_lshl_u32 v0, v2, v0, 3
	v_mov_b32_e32 v6, s12
	v_add_u32_e32 v7, 0x800, v0
	v_pk_mov_b32 v[2:3], s[12:13], s[12:13] op_sel:[0,1]
	v_pk_mov_b32 v[4:5], s[20:21], s[20:21] op_sel:[0,1]
	ds_write2st64_b64 v0, v[4:5], v[2:3] offset1:4
	v_cndmask_b32_e64 v2, v6, v7, s[0:1]
	v_mov_b32_e32 v3, s2
	flat_load_dwordx2 v[4:5], v[2:3]
	s_xor_b64 s[4:5], s[0:1], -1
	v_pk_mov_b32 v[6:7], s[14:15], s[14:15] op_sel:[0,1]
	s_cbranch_vccnz .LBB104_2
; %bb.1:
	v_pk_mov_b32 v[2:3], s[12:13], s[12:13] op_sel:[0,1]
	flat_load_dwordx2 v[6:7], v[2:3] offset:8
.LBB104_2:
	s_and_b64 s[10:11], s[0:1], exec
	s_cselect_b32 s2, s3, s21
	v_mov_b32_e32 v2, s20
	v_cndmask_b32_e64 v2, v2, v0, s[0:1]
	v_mov_b32_e32 v3, s2
	flat_load_dwordx2 v[8:9], v[2:3]
	s_andn2_b64 vcc, exec, s[4:5]
	v_pk_mov_b32 v[10:11], s[22:23], s[22:23] op_sel:[0,1]
	s_cbranch_vccnz .LBB104_4
; %bb.3:
	v_pk_mov_b32 v[2:3], s[20:21], s[20:21] op_sel:[0,1]
	flat_load_dwordx2 v[10:11], v[2:3] offset:8
.LBB104_4:
	s_waitcnt vmcnt(0) lgkmcnt(0)
	v_cmp_eq_f64_e32 vcc, 0, v[4:5]
	v_cmp_eq_f64_e64 s[0:1], 0, v[6:7]
	s_and_b64 s[4:5], vcc, s[0:1]
	s_mov_b64 s[0:1], -1
	s_and_saveexec_b64 s[2:3], s[4:5]
; %bb.5:
	v_cmp_neq_f64_e32 vcc, 1.0, v[8:9]
	v_cmp_neq_f64_e64 s[0:1], 0, v[10:11]
	s_or_b64 s[0:1], vcc, s[0:1]
	s_orn2_b64 s[0:1], s[0:1], exec
; %bb.6:
	s_or_b64 exec, exec, s[2:3]
	s_and_saveexec_b64 s[2:3], s[0:1]
	s_cbranch_execz .LBB104_18
; %bb.7:
	s_load_dwordx2 s[12:13], s[6:7], 0x0
	v_lshl_or_b32 v0, s8, 8, v1
	v_lshrrev_b32_e32 v12, 6, v0
	s_waitcnt lgkmcnt(0)
	v_cmp_gt_i32_e32 vcc, s13, v12
	s_and_b64 exec, exec, vcc
	s_cbranch_execz .LBB104_18
; %bb.8:
	s_load_dword s2, s[6:7], 0x60
	s_load_dwordx2 s[14:15], s[6:7], 0x50
	s_load_dwordx4 s[8:11], s[6:7], 0x28
	s_load_dwordx2 s[0:1], s[6:7], 0x38
	v_and_b32_e32 v0, 63, v1
	s_waitcnt lgkmcnt(0)
	s_lshl_b32 s26, s2, 2
	s_bitcmp1_b32 s12, 0
	s_cselect_b64 vcc, -1, 0
	s_ashr_i32 s25, s24, 31
	s_lshl_b64 s[2:3], s[24:25], 4
	s_sub_u32 s12, s0, s2
	s_subb_u32 s25, s1, s3
	v_cmp_neq_f64_e64 s[2:3], 0, v[8:9]
	v_cmp_neq_f64_e64 s[4:5], 0, v[10:11]
	v_subrev_u32_e32 v20, s24, v0
	v_cmp_eq_u32_e64 s[0:1], 63, v0
	s_mov_b64 s[6:7], 0
	s_or_b64 s[4:5], s[2:3], s[4:5]
	v_mov_b32_e32 v21, s17
	v_mov_b32_e32 v22, s19
	s_branch .LBB104_11
.LBB104_9:                              ;   in Loop: Header=BB104_11 Depth=1
	s_or_b64 exec, exec, s[2:3]
	global_store_dwordx4 v[14:15], v[0:3], off
.LBB104_10:                             ;   in Loop: Header=BB104_11 Depth=1
	s_or_b64 exec, exec, s[20:21]
	v_add_u32_e32 v12, s26, v12
	v_cmp_le_i32_e64 s[2:3], s13, v12
	s_or_b64 s[6:7], s[2:3], s[6:7]
	s_andn2_b64 exec, exec, s[6:7]
	s_cbranch_execz .LBB104_18
.LBB104_11:                             ; =>This Loop Header: Depth=1
                                        ;     Child Loop BB104_13 Depth 2
	v_ashrrev_i32_e32 v13, 31, v12
	v_lshlrev_b64 v[0:1], 2, v[12:13]
	v_add_co_u32_e64 v2, s[2:3], s16, v0
	v_addc_co_u32_e64 v3, s[2:3], v21, v1, s[2:3]
	v_add_co_u32_e64 v0, s[2:3], s18, v0
	v_addc_co_u32_e64 v1, s[2:3], v22, v1, s[2:3]
	global_load_dword v14, v[0:1], off
	global_load_dword v15, v[2:3], off
	v_pk_mov_b32 v[0:1], 0, 0
	v_pk_mov_b32 v[2:3], v[0:1], v[0:1] op_sel:[0,1]
	s_waitcnt vmcnt(1)
	v_subrev_u32_e32 v16, s24, v14
	s_waitcnt vmcnt(0)
	v_add_u32_e32 v14, v15, v20
	v_cmp_lt_i32_e64 s[2:3], v14, v16
	s_and_saveexec_b64 s[20:21], s[2:3]
	s_cbranch_execz .LBB104_15
; %bb.12:                               ;   in Loop: Header=BB104_11 Depth=1
	v_pk_mov_b32 v[0:1], 0, 0
	s_mov_b64 s[22:23], 0
	v_pk_mov_b32 v[2:3], v[0:1], v[0:1] op_sel:[0,1]
.LBB104_13:                             ;   Parent Loop BB104_11 Depth=1
                                        ; =>  This Inner Loop Header: Depth=2
	v_ashrrev_i32_e32 v15, 31, v14
	v_lshlrev_b64 v[18:19], 2, v[14:15]
	v_mov_b32_e32 v17, s9
	v_add_co_u32_e64 v18, s[2:3], s8, v18
	v_addc_co_u32_e64 v19, s[2:3], v17, v19, s[2:3]
	global_load_dword v18, v[18:19], off
	v_lshlrev_b64 v[24:25], 4, v[14:15]
	v_mov_b32_e32 v17, s11
	v_add_co_u32_e64 v24, s[2:3], s10, v24
	v_addc_co_u32_e64 v25, s[2:3], v17, v25, s[2:3]
	global_load_dwordx4 v[24:27], v[24:25], off
	v_mov_b32_e32 v23, s25
	v_add_u32_e32 v14, 64, v14
	s_waitcnt vmcnt(1)
	v_ashrrev_i32_e32 v19, 31, v18
	v_lshlrev_b64 v[18:19], 4, v[18:19]
	v_add_co_u32_e64 v18, s[2:3], s12, v18
	v_addc_co_u32_e64 v19, s[2:3], v23, v19, s[2:3]
	global_load_dwordx4 v[28:31], v[18:19], off
	s_waitcnt vmcnt(1)
	v_xor_b32_e32 v15, 0x80000000, v27
	v_cndmask_b32_e32 v27, v27, v15, vcc
	v_mul_f64 v[18:19], v[26:27], -v[6:7]
	v_mul_f64 v[26:27], v[4:5], v[26:27]
	v_fmac_f64_e32 v[18:19], v[4:5], v[24:25]
	v_fmac_f64_e32 v[26:27], v[6:7], v[24:25]
	v_cmp_ge_i32_e64 s[2:3], v14, v16
	s_or_b64 s[22:23], s[2:3], s[22:23]
	s_waitcnt vmcnt(0)
	v_fmac_f64_e32 v[2:3], v[18:19], v[28:29]
	v_fmac_f64_e32 v[0:1], v[26:27], v[28:29]
	v_fma_f64 v[2:3], -v[26:27], v[30:31], v[2:3]
	v_fmac_f64_e32 v[0:1], v[18:19], v[30:31]
	s_andn2_b64 exec, exec, s[22:23]
	s_cbranch_execnz .LBB104_13
; %bb.14:                               ;   in Loop: Header=BB104_11 Depth=1
	s_or_b64 exec, exec, s[22:23]
.LBB104_15:                             ;   in Loop: Header=BB104_11 Depth=1
	s_or_b64 exec, exec, s[20:21]
	v_mov_b32_dpp v14, v2 row_shr:1 row_mask:0xf bank_mask:0xf
	v_mov_b32_dpp v15, v3 row_shr:1 row_mask:0xf bank_mask:0xf
	v_mov_b32_dpp v16, v0 row_shr:1 row_mask:0xf bank_mask:0xf
	v_mov_b32_dpp v17, v1 row_shr:1 row_mask:0xf bank_mask:0xf
	v_add_f64 v[2:3], v[2:3], v[14:15]
	v_add_f64 v[0:1], v[0:1], v[16:17]
	s_nop 0
	v_mov_b32_dpp v14, v2 row_shr:2 row_mask:0xf bank_mask:0xf
	v_mov_b32_dpp v15, v3 row_shr:2 row_mask:0xf bank_mask:0xf
	v_mov_b32_dpp v16, v0 row_shr:2 row_mask:0xf bank_mask:0xf
	v_mov_b32_dpp v17, v1 row_shr:2 row_mask:0xf bank_mask:0xf
	v_add_f64 v[2:3], v[2:3], v[14:15]
	v_add_f64 v[0:1], v[0:1], v[16:17]
	s_nop 0
	;; [unrolled: 7-line block ×4, first 2 shown]
	v_mov_b32_dpp v14, v2 row_bcast:15 row_mask:0xa bank_mask:0xf
	v_mov_b32_dpp v15, v3 row_bcast:15 row_mask:0xa bank_mask:0xf
	v_mov_b32_dpp v16, v0 row_bcast:15 row_mask:0xa bank_mask:0xf
	v_mov_b32_dpp v17, v1 row_bcast:15 row_mask:0xa bank_mask:0xf
	v_add_f64 v[2:3], v[2:3], v[14:15]
	v_add_f64 v[16:17], v[0:1], v[16:17]
	s_nop 0
	v_mov_b32_dpp v14, v2 row_bcast:31 row_mask:0xc bank_mask:0xf
	v_mov_b32_dpp v15, v3 row_bcast:31 row_mask:0xc bank_mask:0xf
	v_mov_b32_dpp v18, v16 row_bcast:31 row_mask:0xc bank_mask:0xf
	v_mov_b32_dpp v19, v17 row_bcast:31 row_mask:0xc bank_mask:0xf
	s_and_saveexec_b64 s[20:21], s[0:1]
	s_cbranch_execz .LBB104_10
; %bb.16:                               ;   in Loop: Header=BB104_11 Depth=1
	v_add_f64 v[0:1], v[2:3], v[14:15]
	v_lshlrev_b64 v[14:15], 4, v[12:13]
	v_mov_b32_e32 v13, s15
	v_add_co_u32_e64 v14, s[2:3], s14, v14
	v_add_f64 v[2:3], v[16:17], v[18:19]
	v_addc_co_u32_e64 v15, s[2:3], v13, v15, s[2:3]
	s_and_saveexec_b64 s[2:3], s[4:5]
	s_cbranch_execz .LBB104_9
; %bb.17:                               ;   in Loop: Header=BB104_11 Depth=1
	global_load_dwordx4 v[16:19], v[14:15], off
	s_waitcnt vmcnt(0)
	v_fmac_f64_e32 v[0:1], v[8:9], v[16:17]
	v_fmac_f64_e32 v[2:3], v[10:11], v[16:17]
	v_fma_f64 v[0:1], -v[10:11], v[18:19], v[0:1]
	v_fmac_f64_e32 v[2:3], v[8:9], v[18:19]
	s_branch .LBB104_9
.LBB104_18:
	s_endpgm
	.section	.rodata,"a",@progbits
	.p2align	6, 0x0
	.amdhsa_kernel _ZN9rocsparseL21csrmvn_general_kernelILj256ELj64Eii21rocsparse_complex_numIdES2_S2_S2_EEvbT2_NS_24const_host_device_scalarIT6_EEPKT1_S9_PKS3_PKT3_PKT4_S6_PT5_21rocsparse_index_base_b
		.amdhsa_group_segment_fixed_size 4096
		.amdhsa_private_segment_fixed_size 0
		.amdhsa_kernarg_size 352
		.amdhsa_user_sgpr_count 8
		.amdhsa_user_sgpr_private_segment_buffer 1
		.amdhsa_user_sgpr_dispatch_ptr 1
		.amdhsa_user_sgpr_queue_ptr 0
		.amdhsa_user_sgpr_kernarg_segment_ptr 1
		.amdhsa_user_sgpr_dispatch_id 0
		.amdhsa_user_sgpr_flat_scratch_init 0
		.amdhsa_user_sgpr_kernarg_preload_length 0
		.amdhsa_user_sgpr_kernarg_preload_offset 0
		.amdhsa_user_sgpr_private_segment_size 0
		.amdhsa_uses_dynamic_stack 0
		.amdhsa_system_sgpr_private_segment_wavefront_offset 0
		.amdhsa_system_sgpr_workgroup_id_x 1
		.amdhsa_system_sgpr_workgroup_id_y 0
		.amdhsa_system_sgpr_workgroup_id_z 0
		.amdhsa_system_sgpr_workgroup_info 0
		.amdhsa_system_vgpr_workitem_id 2
		.amdhsa_next_free_vgpr 32
		.amdhsa_next_free_sgpr 27
		.amdhsa_accum_offset 32
		.amdhsa_reserve_vcc 1
		.amdhsa_reserve_flat_scratch 0
		.amdhsa_float_round_mode_32 0
		.amdhsa_float_round_mode_16_64 0
		.amdhsa_float_denorm_mode_32 3
		.amdhsa_float_denorm_mode_16_64 3
		.amdhsa_dx10_clamp 1
		.amdhsa_ieee_mode 1
		.amdhsa_fp16_overflow 0
		.amdhsa_tg_split 0
		.amdhsa_exception_fp_ieee_invalid_op 0
		.amdhsa_exception_fp_denorm_src 0
		.amdhsa_exception_fp_ieee_div_zero 0
		.amdhsa_exception_fp_ieee_overflow 0
		.amdhsa_exception_fp_ieee_underflow 0
		.amdhsa_exception_fp_ieee_inexact 0
		.amdhsa_exception_int_div_zero 0
	.end_amdhsa_kernel
	.section	.text._ZN9rocsparseL21csrmvn_general_kernelILj256ELj64Eii21rocsparse_complex_numIdES2_S2_S2_EEvbT2_NS_24const_host_device_scalarIT6_EEPKT1_S9_PKS3_PKT3_PKT4_S6_PT5_21rocsparse_index_base_b,"axG",@progbits,_ZN9rocsparseL21csrmvn_general_kernelILj256ELj64Eii21rocsparse_complex_numIdES2_S2_S2_EEvbT2_NS_24const_host_device_scalarIT6_EEPKT1_S9_PKS3_PKT3_PKT4_S6_PT5_21rocsparse_index_base_b,comdat
.Lfunc_end104:
	.size	_ZN9rocsparseL21csrmvn_general_kernelILj256ELj64Eii21rocsparse_complex_numIdES2_S2_S2_EEvbT2_NS_24const_host_device_scalarIT6_EEPKT1_S9_PKS3_PKT3_PKT4_S6_PT5_21rocsparse_index_base_b, .Lfunc_end104-_ZN9rocsparseL21csrmvn_general_kernelILj256ELj64Eii21rocsparse_complex_numIdES2_S2_S2_EEvbT2_NS_24const_host_device_scalarIT6_EEPKT1_S9_PKS3_PKT3_PKT4_S6_PT5_21rocsparse_index_base_b
                                        ; -- End function
	.section	.AMDGPU.csdata,"",@progbits
; Kernel info:
; codeLenInByte = 1252
; NumSgprs: 31
; NumVgprs: 32
; NumAgprs: 0
; TotalNumVgprs: 32
; ScratchSize: 0
; MemoryBound: 0
; FloatMode: 240
; IeeeMode: 1
; LDSByteSize: 4096 bytes/workgroup (compile time only)
; SGPRBlocks: 3
; VGPRBlocks: 3
; NumSGPRsForWavesPerEU: 31
; NumVGPRsForWavesPerEU: 32
; AccumOffset: 32
; Occupancy: 8
; WaveLimiterHint : 1
; COMPUTE_PGM_RSRC2:SCRATCH_EN: 0
; COMPUTE_PGM_RSRC2:USER_SGPR: 8
; COMPUTE_PGM_RSRC2:TRAP_HANDLER: 0
; COMPUTE_PGM_RSRC2:TGID_X_EN: 1
; COMPUTE_PGM_RSRC2:TGID_Y_EN: 0
; COMPUTE_PGM_RSRC2:TGID_Z_EN: 0
; COMPUTE_PGM_RSRC2:TIDIG_COMP_CNT: 2
; COMPUTE_PGM_RSRC3_GFX90A:ACCUM_OFFSET: 7
; COMPUTE_PGM_RSRC3_GFX90A:TG_SPLIT: 0
	.section	.text._ZN9rocsparseL21csrmvt_general_kernelILj256ELj4Eii21rocsparse_complex_numIdES2_S2_S2_EEvbbT2_NS_24const_host_device_scalarIT6_EEPKT1_S9_PKS3_PKT3_PKT4_PT5_21rocsparse_index_base_b,"axG",@progbits,_ZN9rocsparseL21csrmvt_general_kernelILj256ELj4Eii21rocsparse_complex_numIdES2_S2_S2_EEvbbT2_NS_24const_host_device_scalarIT6_EEPKT1_S9_PKS3_PKT3_PKT4_PT5_21rocsparse_index_base_b,comdat
	.globl	_ZN9rocsparseL21csrmvt_general_kernelILj256ELj4Eii21rocsparse_complex_numIdES2_S2_S2_EEvbbT2_NS_24const_host_device_scalarIT6_EEPKT1_S9_PKS3_PKT3_PKT4_PT5_21rocsparse_index_base_b ; -- Begin function _ZN9rocsparseL21csrmvt_general_kernelILj256ELj4Eii21rocsparse_complex_numIdES2_S2_S2_EEvbbT2_NS_24const_host_device_scalarIT6_EEPKT1_S9_PKS3_PKT3_PKT4_PT5_21rocsparse_index_base_b
	.p2align	8
	.type	_ZN9rocsparseL21csrmvt_general_kernelILj256ELj4Eii21rocsparse_complex_numIdES2_S2_S2_EEvbbT2_NS_24const_host_device_scalarIT6_EEPKT1_S9_PKS3_PKT3_PKT4_PT5_21rocsparse_index_base_b,@function
_ZN9rocsparseL21csrmvt_general_kernelILj256ELj4Eii21rocsparse_complex_numIdES2_S2_S2_EEvbbT2_NS_24const_host_device_scalarIT6_EEPKT1_S9_PKS3_PKT3_PKT4_PT5_21rocsparse_index_base_b: ; @_ZN9rocsparseL21csrmvt_general_kernelILj256ELj4Eii21rocsparse_complex_numIdES2_S2_S2_EEvbbT2_NS_24const_host_device_scalarIT6_EEPKT1_S9_PKS3_PKT3_PKT4_PT5_21rocsparse_index_base_b
; %bb.0:
	s_load_dwordx2 s[10:11], s[6:7], 0x48
	s_load_dwordx2 s[0:1], s[4:5], 0x4
	s_load_dwordx8 s[12:19], s[6:7], 0x8
	v_and_b32_e32 v1, 0x3ff, v0
	v_bfe_u32 v3, v0, 10, 10
	s_waitcnt lgkmcnt(0)
	s_and_b32 s2, 1, s11
	s_lshr_b32 s0, s0, 16
	s_mul_i32 s0, s0, s1
	v_mul_lo_u32 v2, s0, v1
	s_cmp_eq_u32 s2, 1
	v_mad_u32_u24 v2, v3, s1, v2
	v_bfe_u32 v0, v0, 20, 10
	v_add_lshl_u32 v0, v2, v0, 3
	v_pk_mov_b32 v[2:3], s[12:13], s[12:13] op_sel:[0,1]
	s_cselect_b64 vcc, -1, 0
	ds_write_b64 v0, v[2:3]
	s_mov_b64 s[0:1], src_shared_base
	v_cndmask_b32_e32 v2, v2, v0, vcc
	s_and_b64 vcc, vcc, exec
	s_cselect_b32 s0, s1, s13
	v_mov_b32_e32 v3, s0
	flat_load_dwordx2 v[8:9], v[2:3]
	v_pk_mov_b32 v[10:11], s[14:15], s[14:15] op_sel:[0,1]
	s_cbranch_vccnz .LBB105_2
; %bb.1:
	v_pk_mov_b32 v[2:3], s[12:13], s[12:13] op_sel:[0,1]
	flat_load_dwordx2 v[10:11], v[2:3] offset:8
.LBB105_2:
	s_waitcnt vmcnt(0) lgkmcnt(0)
	v_cmp_neq_f64_e32 vcc, 0, v[8:9]
	v_cmp_neq_f64_e64 s[0:1], 0, v[10:11]
	s_or_b64 s[0:1], vcc, s[0:1]
	s_and_saveexec_b64 s[2:3], s[0:1]
	s_cbranch_execz .LBB105_27
; %bb.3:
	s_load_dword s0, s[6:7], 0x0
	s_load_dwordx2 s[4:5], s[6:7], 0x0
	s_load_dword s2, s[6:7], 0x50
	s_load_dwordx8 s[20:27], s[6:7], 0x28
	v_lshl_or_b32 v0, s8, 8, v1
	s_waitcnt lgkmcnt(0)
	s_and_b32 s3, s0, 1
	s_bitcmp1_b32 s4, 8
	s_cselect_b64 s[0:1], -1, 0
	s_lshl_b32 s4, s2, 6
	v_lshrrev_b32_e32 v12, 2, v0
	s_cmp_eq_u32 s3, 0
	v_and_b32_e32 v13, 3, v1
	v_cmp_gt_i32_e64 s[2:3], s5, v12
	s_mov_b64 s[6:7], -1
	s_cbranch_scc0 .LBB105_15
; %bb.4:
	s_and_saveexec_b64 s[6:7], s[2:3]
	s_cbranch_execz .LBB105_14
; %bb.5:
	v_subrev_u32_e32 v26, s10, v13
	s_mov_b64 s[8:9], 0
	v_mov_b32_e32 v27, s17
	v_mov_b32_e32 v28, s19
	;; [unrolled: 1-line block ×3, first 2 shown]
	s_branch .LBB105_7
.LBB105_6:                              ;   in Loop: Header=BB105_7 Depth=1
	s_or_b64 exec, exec, s[12:13]
	v_add_u32_e32 v14, s4, v14
	v_cmp_le_i32_e32 vcc, s5, v14
	s_or_b64 s[8:9], vcc, s[8:9]
	s_andn2_b64 exec, exec, s[8:9]
	s_cbranch_execz .LBB105_14
.LBB105_7:                              ; =>This Loop Header: Depth=1
                                        ;     Child Loop BB105_9 Depth 2
                                        ;       Child Loop BB105_10 Depth 3
                                        ;       Child Loop BB105_12 Depth 3
	v_ashrrev_i32_e32 v15, 31, v14
	v_lshlrev_b64 v[0:1], 2, v[14:15]
	v_add_co_u32_e32 v2, vcc, s16, v0
	v_addc_co_u32_e32 v3, vcc, v27, v1, vcc
	v_add_co_u32_e32 v0, vcc, s18, v0
	v_addc_co_u32_e32 v1, vcc, v28, v1, vcc
	global_load_dword v4, v[0:1], off
	global_load_dword v5, v[2:3], off
	s_waitcnt vmcnt(1)
	v_subrev_u32_e32 v29, s10, v4
	s_waitcnt vmcnt(0)
	v_add_u32_e32 v16, v5, v26
	v_cmp_lt_i32_e32 vcc, v16, v29
	s_and_saveexec_b64 s[12:13], vcc
	s_cbranch_execz .LBB105_6
; %bb.8:                                ;   in Loop: Header=BB105_7 Depth=1
	v_lshlrev_b64 v[0:1], 4, v[14:15]
	v_mov_b32_e32 v2, s25
	v_add_co_u32_e32 v0, vcc, s24, v0
	v_addc_co_u32_e32 v1, vcc, v2, v1, vcc
	global_load_dwordx4 v[0:3], v[0:1], off
	s_mov_b64 s[14:15], 0
	s_waitcnt vmcnt(0)
	v_mul_f64 v[18:19], v[2:3], -v[10:11]
	v_mul_f64 v[20:21], v[8:9], v[2:3]
	v_fmac_f64_e32 v[18:19], v[8:9], v[0:1]
	v_fmac_f64_e32 v[20:21], v[10:11], v[0:1]
.LBB105_9:                              ;   Parent Loop BB105_7 Depth=1
                                        ; =>  This Loop Header: Depth=2
                                        ;       Child Loop BB105_10 Depth 3
                                        ;       Child Loop BB105_12 Depth 3
	v_ashrrev_i32_e32 v17, 31, v16
	v_lshlrev_b64 v[0:1], 2, v[16:17]
	v_mov_b32_e32 v2, s21
	v_add_co_u32_e32 v0, vcc, s20, v0
	v_addc_co_u32_e32 v1, vcc, v2, v1, vcc
	global_load_dword v4, v[0:1], off
	v_lshlrev_b64 v[0:1], 4, v[16:17]
	v_mov_b32_e32 v2, s23
	v_add_co_u32_e32 v0, vcc, s22, v0
	v_addc_co_u32_e32 v1, vcc, v2, v1, vcc
	global_load_dwordx4 v[0:3], v[0:1], off
	v_mov_b32_e32 v6, s27
	s_mov_b64 s[28:29], 0
	s_waitcnt vmcnt(1)
	v_subrev_u32_e32 v4, s10, v4
	v_ashrrev_i32_e32 v5, 31, v4
	v_lshlrev_b64 v[4:5], 4, v[4:5]
	v_add_co_u32_e32 v22, vcc, s26, v4
	v_addc_co_u32_e32 v23, vcc, v6, v5, vcc
	global_load_dwordx2 v[6:7], v[22:23], off
	s_waitcnt vmcnt(1)
	v_xor_b32_e32 v4, 0x80000000, v3
	v_cndmask_b32_e64 v3, v3, v4, s[0:1]
	v_mul_f64 v[24:25], v[2:3], -v[20:21]
	v_fmac_f64_e32 v[24:25], v[18:19], v[0:1]
.LBB105_10:                             ;   Parent Loop BB105_7 Depth=1
                                        ;     Parent Loop BB105_9 Depth=2
                                        ; =>    This Inner Loop Header: Depth=3
	s_waitcnt vmcnt(0)
	v_add_f64 v[4:5], v[6:7], v[24:25]
	global_atomic_cmpswap_x2 v[4:5], v[22:23], v[4:7], off glc
	s_waitcnt vmcnt(0)
	v_cmp_eq_u64_e32 vcc, v[4:5], v[6:7]
	s_or_b64 s[28:29], vcc, s[28:29]
	v_pk_mov_b32 v[6:7], v[4:5], v[4:5] op_sel:[0,1]
	s_andn2_b64 exec, exec, s[28:29]
	s_cbranch_execnz .LBB105_10
; %bb.11:                               ;   in Loop: Header=BB105_9 Depth=2
	s_or_b64 exec, exec, s[28:29]
	global_load_dwordx2 v[4:5], v[22:23], off offset:8
	v_mul_f64 v[6:7], v[18:19], v[2:3]
	v_fmac_f64_e32 v[6:7], v[20:21], v[0:1]
	s_mov_b64 s[28:29], 0
.LBB105_12:                             ;   Parent Loop BB105_7 Depth=1
                                        ;     Parent Loop BB105_9 Depth=2
                                        ; =>    This Inner Loop Header: Depth=3
	s_waitcnt vmcnt(0)
	v_add_f64 v[2:3], v[4:5], v[6:7]
	global_atomic_cmpswap_x2 v[0:1], v[22:23], v[2:5], off offset:8 glc
	s_waitcnt vmcnt(0)
	v_cmp_eq_u64_e32 vcc, v[0:1], v[4:5]
	s_or_b64 s[28:29], vcc, s[28:29]
	v_pk_mov_b32 v[4:5], v[0:1], v[0:1] op_sel:[0,1]
	s_andn2_b64 exec, exec, s[28:29]
	s_cbranch_execnz .LBB105_12
; %bb.13:                               ;   in Loop: Header=BB105_9 Depth=2
	s_or_b64 exec, exec, s[28:29]
	v_add_u32_e32 v16, 4, v16
	v_cmp_ge_i32_e32 vcc, v16, v29
	s_or_b64 s[14:15], vcc, s[14:15]
	s_andn2_b64 exec, exec, s[14:15]
	s_cbranch_execnz .LBB105_9
	s_branch .LBB105_6
.LBB105_14:
	s_or_b64 exec, exec, s[6:7]
	s_mov_b64 s[6:7], 0
.LBB105_15:
	s_andn2_b64 vcc, exec, s[6:7]
	s_cbranch_vccnz .LBB105_27
; %bb.16:
	s_and_b64 exec, exec, s[2:3]
	s_cbranch_execz .LBB105_27
; %bb.17:
	v_subrev_u32_e32 v24, s10, v13
	s_mov_b64 s[2:3], 0
	v_mov_b32_e32 v25, s17
	v_mov_b32_e32 v26, s19
	s_branch .LBB105_19
.LBB105_18:                             ;   in Loop: Header=BB105_19 Depth=1
	s_or_b64 exec, exec, s[6:7]
	v_add_u32_e32 v12, s4, v12
	v_cmp_le_i32_e32 vcc, s5, v12
	s_or_b64 s[2:3], vcc, s[2:3]
	s_andn2_b64 exec, exec, s[2:3]
	s_cbranch_execz .LBB105_27
.LBB105_19:                             ; =>This Loop Header: Depth=1
                                        ;     Child Loop BB105_22 Depth 2
                                        ;       Child Loop BB105_24 Depth 3
                                        ;       Child Loop BB105_26 Depth 3
	v_ashrrev_i32_e32 v13, 31, v12
	v_lshlrev_b64 v[0:1], 2, v[12:13]
	v_add_co_u32_e32 v2, vcc, s16, v0
	v_addc_co_u32_e32 v3, vcc, v25, v1, vcc
	v_add_co_u32_e32 v0, vcc, s18, v0
	v_addc_co_u32_e32 v1, vcc, v26, v1, vcc
	global_load_dword v4, v[0:1], off
	global_load_dword v5, v[2:3], off
	s_waitcnt vmcnt(1)
	v_subrev_u32_e32 v27, s10, v4
	s_waitcnt vmcnt(0)
	v_add_u32_e32 v14, v5, v24
	v_cmp_lt_i32_e32 vcc, v14, v27
	s_and_saveexec_b64 s[6:7], vcc
	s_cbranch_execz .LBB105_18
; %bb.20:                               ;   in Loop: Header=BB105_19 Depth=1
	v_lshlrev_b64 v[0:1], 4, v[12:13]
	v_mov_b32_e32 v2, s25
	v_add_co_u32_e32 v0, vcc, s24, v0
	v_addc_co_u32_e32 v1, vcc, v2, v1, vcc
	global_load_dwordx4 v[0:3], v[0:1], off
	s_mov_b64 s[8:9], 0
	s_waitcnt vmcnt(0)
	v_mul_f64 v[16:17], v[2:3], -v[10:11]
	v_mul_f64 v[18:19], v[8:9], v[2:3]
	v_fmac_f64_e32 v[16:17], v[8:9], v[0:1]
	v_fmac_f64_e32 v[18:19], v[10:11], v[0:1]
	s_branch .LBB105_22
.LBB105_21:                             ;   in Loop: Header=BB105_22 Depth=2
	s_or_b64 exec, exec, s[12:13]
	v_add_u32_e32 v14, 4, v14
	v_cmp_ge_i32_e32 vcc, v14, v27
	s_or_b64 s[8:9], vcc, s[8:9]
	s_andn2_b64 exec, exec, s[8:9]
	s_cbranch_execz .LBB105_18
.LBB105_22:                             ;   Parent Loop BB105_19 Depth=1
                                        ; =>  This Loop Header: Depth=2
                                        ;       Child Loop BB105_24 Depth 3
                                        ;       Child Loop BB105_26 Depth 3
	v_ashrrev_i32_e32 v15, 31, v14
	v_lshlrev_b64 v[0:1], 2, v[14:15]
	v_mov_b32_e32 v2, s21
	v_add_co_u32_e32 v0, vcc, s20, v0
	v_addc_co_u32_e32 v1, vcc, v2, v1, vcc
	global_load_dword v0, v[0:1], off
	s_waitcnt vmcnt(0)
	v_subrev_u32_e32 v4, s10, v0
	v_cmp_ne_u32_e32 vcc, v4, v12
	s_and_saveexec_b64 s[12:13], vcc
	s_cbranch_execz .LBB105_21
; %bb.23:                               ;   in Loop: Header=BB105_22 Depth=2
	v_lshlrev_b64 v[0:1], 4, v[14:15]
	v_mov_b32_e32 v2, s23
	v_add_co_u32_e32 v0, vcc, s22, v0
	v_addc_co_u32_e32 v1, vcc, v2, v1, vcc
	global_load_dwordx4 v[0:3], v[0:1], off
	v_ashrrev_i32_e32 v5, 31, v4
	v_lshlrev_b64 v[4:5], 4, v[4:5]
	v_mov_b32_e32 v6, s27
	v_add_co_u32_e32 v20, vcc, s26, v4
	v_addc_co_u32_e32 v21, vcc, v6, v5, vcc
	global_load_dwordx2 v[6:7], v[20:21], off
	s_mov_b64 s[14:15], 0
	s_waitcnt vmcnt(1)
	v_xor_b32_e32 v4, 0x80000000, v3
	v_cndmask_b32_e64 v3, v3, v4, s[0:1]
	v_mul_f64 v[22:23], v[2:3], -v[18:19]
	v_fmac_f64_e32 v[22:23], v[16:17], v[0:1]
.LBB105_24:                             ;   Parent Loop BB105_19 Depth=1
                                        ;     Parent Loop BB105_22 Depth=2
                                        ; =>    This Inner Loop Header: Depth=3
	s_waitcnt vmcnt(0)
	v_add_f64 v[4:5], v[6:7], v[22:23]
	global_atomic_cmpswap_x2 v[4:5], v[20:21], v[4:7], off glc
	s_waitcnt vmcnt(0)
	v_cmp_eq_u64_e32 vcc, v[4:5], v[6:7]
	s_or_b64 s[14:15], vcc, s[14:15]
	v_pk_mov_b32 v[6:7], v[4:5], v[4:5] op_sel:[0,1]
	s_andn2_b64 exec, exec, s[14:15]
	s_cbranch_execnz .LBB105_24
; %bb.25:                               ;   in Loop: Header=BB105_22 Depth=2
	s_or_b64 exec, exec, s[14:15]
	global_load_dwordx2 v[4:5], v[20:21], off offset:8
	v_mul_f64 v[6:7], v[16:17], v[2:3]
	v_fmac_f64_e32 v[6:7], v[18:19], v[0:1]
	s_mov_b64 s[14:15], 0
.LBB105_26:                             ;   Parent Loop BB105_19 Depth=1
                                        ;     Parent Loop BB105_22 Depth=2
                                        ; =>    This Inner Loop Header: Depth=3
	s_waitcnt vmcnt(0)
	v_add_f64 v[2:3], v[4:5], v[6:7]
	global_atomic_cmpswap_x2 v[0:1], v[20:21], v[2:5], off offset:8 glc
	s_waitcnt vmcnt(0)
	v_cmp_eq_u64_e32 vcc, v[0:1], v[4:5]
	s_or_b64 s[14:15], vcc, s[14:15]
	v_pk_mov_b32 v[4:5], v[0:1], v[0:1] op_sel:[0,1]
	s_andn2_b64 exec, exec, s[14:15]
	s_cbranch_execnz .LBB105_26
	s_branch .LBB105_21
.LBB105_27:
	s_endpgm
	.section	.rodata,"a",@progbits
	.p2align	6, 0x0
	.amdhsa_kernel _ZN9rocsparseL21csrmvt_general_kernelILj256ELj4Eii21rocsparse_complex_numIdES2_S2_S2_EEvbbT2_NS_24const_host_device_scalarIT6_EEPKT1_S9_PKS3_PKT3_PKT4_PT5_21rocsparse_index_base_b
		.amdhsa_group_segment_fixed_size 2048
		.amdhsa_private_segment_fixed_size 0
		.amdhsa_kernarg_size 336
		.amdhsa_user_sgpr_count 8
		.amdhsa_user_sgpr_private_segment_buffer 1
		.amdhsa_user_sgpr_dispatch_ptr 1
		.amdhsa_user_sgpr_queue_ptr 0
		.amdhsa_user_sgpr_kernarg_segment_ptr 1
		.amdhsa_user_sgpr_dispatch_id 0
		.amdhsa_user_sgpr_flat_scratch_init 0
		.amdhsa_user_sgpr_kernarg_preload_length 0
		.amdhsa_user_sgpr_kernarg_preload_offset 0
		.amdhsa_user_sgpr_private_segment_size 0
		.amdhsa_uses_dynamic_stack 0
		.amdhsa_system_sgpr_private_segment_wavefront_offset 0
		.amdhsa_system_sgpr_workgroup_id_x 1
		.amdhsa_system_sgpr_workgroup_id_y 0
		.amdhsa_system_sgpr_workgroup_id_z 0
		.amdhsa_system_sgpr_workgroup_info 0
		.amdhsa_system_vgpr_workitem_id 2
		.amdhsa_next_free_vgpr 30
		.amdhsa_next_free_sgpr 30
		.amdhsa_accum_offset 32
		.amdhsa_reserve_vcc 1
		.amdhsa_reserve_flat_scratch 0
		.amdhsa_float_round_mode_32 0
		.amdhsa_float_round_mode_16_64 0
		.amdhsa_float_denorm_mode_32 3
		.amdhsa_float_denorm_mode_16_64 3
		.amdhsa_dx10_clamp 1
		.amdhsa_ieee_mode 1
		.amdhsa_fp16_overflow 0
		.amdhsa_tg_split 0
		.amdhsa_exception_fp_ieee_invalid_op 0
		.amdhsa_exception_fp_denorm_src 0
		.amdhsa_exception_fp_ieee_div_zero 0
		.amdhsa_exception_fp_ieee_overflow 0
		.amdhsa_exception_fp_ieee_underflow 0
		.amdhsa_exception_fp_ieee_inexact 0
		.amdhsa_exception_int_div_zero 0
	.end_amdhsa_kernel
	.section	.text._ZN9rocsparseL21csrmvt_general_kernelILj256ELj4Eii21rocsparse_complex_numIdES2_S2_S2_EEvbbT2_NS_24const_host_device_scalarIT6_EEPKT1_S9_PKS3_PKT3_PKT4_PT5_21rocsparse_index_base_b,"axG",@progbits,_ZN9rocsparseL21csrmvt_general_kernelILj256ELj4Eii21rocsparse_complex_numIdES2_S2_S2_EEvbbT2_NS_24const_host_device_scalarIT6_EEPKT1_S9_PKS3_PKT3_PKT4_PT5_21rocsparse_index_base_b,comdat
.Lfunc_end105:
	.size	_ZN9rocsparseL21csrmvt_general_kernelILj256ELj4Eii21rocsparse_complex_numIdES2_S2_S2_EEvbbT2_NS_24const_host_device_scalarIT6_EEPKT1_S9_PKS3_PKT3_PKT4_PT5_21rocsparse_index_base_b, .Lfunc_end105-_ZN9rocsparseL21csrmvt_general_kernelILj256ELj4Eii21rocsparse_complex_numIdES2_S2_S2_EEvbbT2_NS_24const_host_device_scalarIT6_EEPKT1_S9_PKS3_PKT3_PKT4_PT5_21rocsparse_index_base_b
                                        ; -- End function
	.section	.AMDGPU.csdata,"",@progbits
; Kernel info:
; codeLenInByte = 1268
; NumSgprs: 34
; NumVgprs: 30
; NumAgprs: 0
; TotalNumVgprs: 30
; ScratchSize: 0
; MemoryBound: 0
; FloatMode: 240
; IeeeMode: 1
; LDSByteSize: 2048 bytes/workgroup (compile time only)
; SGPRBlocks: 4
; VGPRBlocks: 3
; NumSGPRsForWavesPerEU: 34
; NumVGPRsForWavesPerEU: 30
; AccumOffset: 32
; Occupancy: 8
; WaveLimiterHint : 1
; COMPUTE_PGM_RSRC2:SCRATCH_EN: 0
; COMPUTE_PGM_RSRC2:USER_SGPR: 8
; COMPUTE_PGM_RSRC2:TRAP_HANDLER: 0
; COMPUTE_PGM_RSRC2:TGID_X_EN: 1
; COMPUTE_PGM_RSRC2:TGID_Y_EN: 0
; COMPUTE_PGM_RSRC2:TGID_Z_EN: 0
; COMPUTE_PGM_RSRC2:TIDIG_COMP_CNT: 2
; COMPUTE_PGM_RSRC3_GFX90A:ACCUM_OFFSET: 7
; COMPUTE_PGM_RSRC3_GFX90A:TG_SPLIT: 0
	.section	.text._ZN9rocsparseL21csrmvt_general_kernelILj256ELj8Eii21rocsparse_complex_numIdES2_S2_S2_EEvbbT2_NS_24const_host_device_scalarIT6_EEPKT1_S9_PKS3_PKT3_PKT4_PT5_21rocsparse_index_base_b,"axG",@progbits,_ZN9rocsparseL21csrmvt_general_kernelILj256ELj8Eii21rocsparse_complex_numIdES2_S2_S2_EEvbbT2_NS_24const_host_device_scalarIT6_EEPKT1_S9_PKS3_PKT3_PKT4_PT5_21rocsparse_index_base_b,comdat
	.globl	_ZN9rocsparseL21csrmvt_general_kernelILj256ELj8Eii21rocsparse_complex_numIdES2_S2_S2_EEvbbT2_NS_24const_host_device_scalarIT6_EEPKT1_S9_PKS3_PKT3_PKT4_PT5_21rocsparse_index_base_b ; -- Begin function _ZN9rocsparseL21csrmvt_general_kernelILj256ELj8Eii21rocsparse_complex_numIdES2_S2_S2_EEvbbT2_NS_24const_host_device_scalarIT6_EEPKT1_S9_PKS3_PKT3_PKT4_PT5_21rocsparse_index_base_b
	.p2align	8
	.type	_ZN9rocsparseL21csrmvt_general_kernelILj256ELj8Eii21rocsparse_complex_numIdES2_S2_S2_EEvbbT2_NS_24const_host_device_scalarIT6_EEPKT1_S9_PKS3_PKT3_PKT4_PT5_21rocsparse_index_base_b,@function
_ZN9rocsparseL21csrmvt_general_kernelILj256ELj8Eii21rocsparse_complex_numIdES2_S2_S2_EEvbbT2_NS_24const_host_device_scalarIT6_EEPKT1_S9_PKS3_PKT3_PKT4_PT5_21rocsparse_index_base_b: ; @_ZN9rocsparseL21csrmvt_general_kernelILj256ELj8Eii21rocsparse_complex_numIdES2_S2_S2_EEvbbT2_NS_24const_host_device_scalarIT6_EEPKT1_S9_PKS3_PKT3_PKT4_PT5_21rocsparse_index_base_b
; %bb.0:
	s_load_dwordx2 s[10:11], s[6:7], 0x48
	s_load_dwordx2 s[0:1], s[4:5], 0x4
	s_load_dwordx8 s[12:19], s[6:7], 0x8
	v_and_b32_e32 v1, 0x3ff, v0
	v_bfe_u32 v3, v0, 10, 10
	s_waitcnt lgkmcnt(0)
	s_and_b32 s2, 1, s11
	s_lshr_b32 s0, s0, 16
	s_mul_i32 s0, s0, s1
	v_mul_lo_u32 v2, s0, v1
	s_cmp_eq_u32 s2, 1
	v_mad_u32_u24 v2, v3, s1, v2
	v_bfe_u32 v0, v0, 20, 10
	v_add_lshl_u32 v0, v2, v0, 3
	v_pk_mov_b32 v[2:3], s[12:13], s[12:13] op_sel:[0,1]
	s_cselect_b64 vcc, -1, 0
	ds_write_b64 v0, v[2:3]
	s_mov_b64 s[0:1], src_shared_base
	v_cndmask_b32_e32 v2, v2, v0, vcc
	s_and_b64 vcc, vcc, exec
	s_cselect_b32 s0, s1, s13
	v_mov_b32_e32 v3, s0
	flat_load_dwordx2 v[8:9], v[2:3]
	v_pk_mov_b32 v[10:11], s[14:15], s[14:15] op_sel:[0,1]
	s_cbranch_vccnz .LBB106_2
; %bb.1:
	v_pk_mov_b32 v[2:3], s[12:13], s[12:13] op_sel:[0,1]
	flat_load_dwordx2 v[10:11], v[2:3] offset:8
.LBB106_2:
	s_waitcnt vmcnt(0) lgkmcnt(0)
	v_cmp_neq_f64_e32 vcc, 0, v[8:9]
	v_cmp_neq_f64_e64 s[0:1], 0, v[10:11]
	s_or_b64 s[0:1], vcc, s[0:1]
	s_and_saveexec_b64 s[2:3], s[0:1]
	s_cbranch_execz .LBB106_27
; %bb.3:
	s_load_dword s0, s[6:7], 0x0
	s_load_dwordx2 s[4:5], s[6:7], 0x0
	s_load_dword s2, s[6:7], 0x50
	s_load_dwordx8 s[20:27], s[6:7], 0x28
	v_lshl_or_b32 v0, s8, 8, v1
	s_waitcnt lgkmcnt(0)
	s_and_b32 s3, s0, 1
	s_bitcmp1_b32 s4, 8
	s_cselect_b64 s[0:1], -1, 0
	s_lshl_b32 s4, s2, 5
	v_lshrrev_b32_e32 v12, 3, v0
	s_cmp_eq_u32 s3, 0
	v_and_b32_e32 v13, 7, v1
	v_cmp_gt_i32_e64 s[2:3], s5, v12
	s_mov_b64 s[6:7], -1
	s_cbranch_scc0 .LBB106_15
; %bb.4:
	s_and_saveexec_b64 s[6:7], s[2:3]
	s_cbranch_execz .LBB106_14
; %bb.5:
	v_subrev_u32_e32 v26, s10, v13
	s_mov_b64 s[8:9], 0
	v_mov_b32_e32 v27, s17
	v_mov_b32_e32 v28, s19
	v_mov_b32_e32 v14, v12
	s_branch .LBB106_7
.LBB106_6:                              ;   in Loop: Header=BB106_7 Depth=1
	s_or_b64 exec, exec, s[12:13]
	v_add_u32_e32 v14, s4, v14
	v_cmp_le_i32_e32 vcc, s5, v14
	s_or_b64 s[8:9], vcc, s[8:9]
	s_andn2_b64 exec, exec, s[8:9]
	s_cbranch_execz .LBB106_14
.LBB106_7:                              ; =>This Loop Header: Depth=1
                                        ;     Child Loop BB106_9 Depth 2
                                        ;       Child Loop BB106_10 Depth 3
                                        ;       Child Loop BB106_12 Depth 3
	v_ashrrev_i32_e32 v15, 31, v14
	v_lshlrev_b64 v[0:1], 2, v[14:15]
	v_add_co_u32_e32 v2, vcc, s16, v0
	v_addc_co_u32_e32 v3, vcc, v27, v1, vcc
	v_add_co_u32_e32 v0, vcc, s18, v0
	v_addc_co_u32_e32 v1, vcc, v28, v1, vcc
	global_load_dword v4, v[0:1], off
	global_load_dword v5, v[2:3], off
	s_waitcnt vmcnt(1)
	v_subrev_u32_e32 v29, s10, v4
	s_waitcnt vmcnt(0)
	v_add_u32_e32 v16, v5, v26
	v_cmp_lt_i32_e32 vcc, v16, v29
	s_and_saveexec_b64 s[12:13], vcc
	s_cbranch_execz .LBB106_6
; %bb.8:                                ;   in Loop: Header=BB106_7 Depth=1
	v_lshlrev_b64 v[0:1], 4, v[14:15]
	v_mov_b32_e32 v2, s25
	v_add_co_u32_e32 v0, vcc, s24, v0
	v_addc_co_u32_e32 v1, vcc, v2, v1, vcc
	global_load_dwordx4 v[0:3], v[0:1], off
	s_mov_b64 s[14:15], 0
	s_waitcnt vmcnt(0)
	v_mul_f64 v[18:19], v[2:3], -v[10:11]
	v_mul_f64 v[20:21], v[8:9], v[2:3]
	v_fmac_f64_e32 v[18:19], v[8:9], v[0:1]
	v_fmac_f64_e32 v[20:21], v[10:11], v[0:1]
.LBB106_9:                              ;   Parent Loop BB106_7 Depth=1
                                        ; =>  This Loop Header: Depth=2
                                        ;       Child Loop BB106_10 Depth 3
                                        ;       Child Loop BB106_12 Depth 3
	v_ashrrev_i32_e32 v17, 31, v16
	v_lshlrev_b64 v[0:1], 2, v[16:17]
	v_mov_b32_e32 v2, s21
	v_add_co_u32_e32 v0, vcc, s20, v0
	v_addc_co_u32_e32 v1, vcc, v2, v1, vcc
	global_load_dword v4, v[0:1], off
	v_lshlrev_b64 v[0:1], 4, v[16:17]
	v_mov_b32_e32 v2, s23
	v_add_co_u32_e32 v0, vcc, s22, v0
	v_addc_co_u32_e32 v1, vcc, v2, v1, vcc
	global_load_dwordx4 v[0:3], v[0:1], off
	v_mov_b32_e32 v6, s27
	s_mov_b64 s[28:29], 0
	s_waitcnt vmcnt(1)
	v_subrev_u32_e32 v4, s10, v4
	v_ashrrev_i32_e32 v5, 31, v4
	v_lshlrev_b64 v[4:5], 4, v[4:5]
	v_add_co_u32_e32 v22, vcc, s26, v4
	v_addc_co_u32_e32 v23, vcc, v6, v5, vcc
	global_load_dwordx2 v[6:7], v[22:23], off
	s_waitcnt vmcnt(1)
	v_xor_b32_e32 v4, 0x80000000, v3
	v_cndmask_b32_e64 v3, v3, v4, s[0:1]
	v_mul_f64 v[24:25], v[2:3], -v[20:21]
	v_fmac_f64_e32 v[24:25], v[18:19], v[0:1]
.LBB106_10:                             ;   Parent Loop BB106_7 Depth=1
                                        ;     Parent Loop BB106_9 Depth=2
                                        ; =>    This Inner Loop Header: Depth=3
	s_waitcnt vmcnt(0)
	v_add_f64 v[4:5], v[6:7], v[24:25]
	global_atomic_cmpswap_x2 v[4:5], v[22:23], v[4:7], off glc
	s_waitcnt vmcnt(0)
	v_cmp_eq_u64_e32 vcc, v[4:5], v[6:7]
	s_or_b64 s[28:29], vcc, s[28:29]
	v_pk_mov_b32 v[6:7], v[4:5], v[4:5] op_sel:[0,1]
	s_andn2_b64 exec, exec, s[28:29]
	s_cbranch_execnz .LBB106_10
; %bb.11:                               ;   in Loop: Header=BB106_9 Depth=2
	s_or_b64 exec, exec, s[28:29]
	global_load_dwordx2 v[4:5], v[22:23], off offset:8
	v_mul_f64 v[6:7], v[18:19], v[2:3]
	v_fmac_f64_e32 v[6:7], v[20:21], v[0:1]
	s_mov_b64 s[28:29], 0
.LBB106_12:                             ;   Parent Loop BB106_7 Depth=1
                                        ;     Parent Loop BB106_9 Depth=2
                                        ; =>    This Inner Loop Header: Depth=3
	s_waitcnt vmcnt(0)
	v_add_f64 v[2:3], v[4:5], v[6:7]
	global_atomic_cmpswap_x2 v[0:1], v[22:23], v[2:5], off offset:8 glc
	s_waitcnt vmcnt(0)
	v_cmp_eq_u64_e32 vcc, v[0:1], v[4:5]
	s_or_b64 s[28:29], vcc, s[28:29]
	v_pk_mov_b32 v[4:5], v[0:1], v[0:1] op_sel:[0,1]
	s_andn2_b64 exec, exec, s[28:29]
	s_cbranch_execnz .LBB106_12
; %bb.13:                               ;   in Loop: Header=BB106_9 Depth=2
	s_or_b64 exec, exec, s[28:29]
	v_add_u32_e32 v16, 8, v16
	v_cmp_ge_i32_e32 vcc, v16, v29
	s_or_b64 s[14:15], vcc, s[14:15]
	s_andn2_b64 exec, exec, s[14:15]
	s_cbranch_execnz .LBB106_9
	s_branch .LBB106_6
.LBB106_14:
	s_or_b64 exec, exec, s[6:7]
	s_mov_b64 s[6:7], 0
.LBB106_15:
	s_andn2_b64 vcc, exec, s[6:7]
	s_cbranch_vccnz .LBB106_27
; %bb.16:
	s_and_b64 exec, exec, s[2:3]
	s_cbranch_execz .LBB106_27
; %bb.17:
	v_subrev_u32_e32 v24, s10, v13
	s_mov_b64 s[2:3], 0
	v_mov_b32_e32 v25, s17
	v_mov_b32_e32 v26, s19
	s_branch .LBB106_19
.LBB106_18:                             ;   in Loop: Header=BB106_19 Depth=1
	s_or_b64 exec, exec, s[6:7]
	v_add_u32_e32 v12, s4, v12
	v_cmp_le_i32_e32 vcc, s5, v12
	s_or_b64 s[2:3], vcc, s[2:3]
	s_andn2_b64 exec, exec, s[2:3]
	s_cbranch_execz .LBB106_27
.LBB106_19:                             ; =>This Loop Header: Depth=1
                                        ;     Child Loop BB106_22 Depth 2
                                        ;       Child Loop BB106_24 Depth 3
                                        ;       Child Loop BB106_26 Depth 3
	v_ashrrev_i32_e32 v13, 31, v12
	v_lshlrev_b64 v[0:1], 2, v[12:13]
	v_add_co_u32_e32 v2, vcc, s16, v0
	v_addc_co_u32_e32 v3, vcc, v25, v1, vcc
	v_add_co_u32_e32 v0, vcc, s18, v0
	v_addc_co_u32_e32 v1, vcc, v26, v1, vcc
	global_load_dword v4, v[0:1], off
	global_load_dword v5, v[2:3], off
	s_waitcnt vmcnt(1)
	v_subrev_u32_e32 v27, s10, v4
	s_waitcnt vmcnt(0)
	v_add_u32_e32 v14, v5, v24
	v_cmp_lt_i32_e32 vcc, v14, v27
	s_and_saveexec_b64 s[6:7], vcc
	s_cbranch_execz .LBB106_18
; %bb.20:                               ;   in Loop: Header=BB106_19 Depth=1
	v_lshlrev_b64 v[0:1], 4, v[12:13]
	v_mov_b32_e32 v2, s25
	v_add_co_u32_e32 v0, vcc, s24, v0
	v_addc_co_u32_e32 v1, vcc, v2, v1, vcc
	global_load_dwordx4 v[0:3], v[0:1], off
	s_mov_b64 s[8:9], 0
	s_waitcnt vmcnt(0)
	v_mul_f64 v[16:17], v[2:3], -v[10:11]
	v_mul_f64 v[18:19], v[8:9], v[2:3]
	v_fmac_f64_e32 v[16:17], v[8:9], v[0:1]
	v_fmac_f64_e32 v[18:19], v[10:11], v[0:1]
	s_branch .LBB106_22
.LBB106_21:                             ;   in Loop: Header=BB106_22 Depth=2
	s_or_b64 exec, exec, s[12:13]
	v_add_u32_e32 v14, 8, v14
	v_cmp_ge_i32_e32 vcc, v14, v27
	s_or_b64 s[8:9], vcc, s[8:9]
	s_andn2_b64 exec, exec, s[8:9]
	s_cbranch_execz .LBB106_18
.LBB106_22:                             ;   Parent Loop BB106_19 Depth=1
                                        ; =>  This Loop Header: Depth=2
                                        ;       Child Loop BB106_24 Depth 3
                                        ;       Child Loop BB106_26 Depth 3
	v_ashrrev_i32_e32 v15, 31, v14
	v_lshlrev_b64 v[0:1], 2, v[14:15]
	v_mov_b32_e32 v2, s21
	v_add_co_u32_e32 v0, vcc, s20, v0
	v_addc_co_u32_e32 v1, vcc, v2, v1, vcc
	global_load_dword v0, v[0:1], off
	s_waitcnt vmcnt(0)
	v_subrev_u32_e32 v4, s10, v0
	v_cmp_ne_u32_e32 vcc, v4, v12
	s_and_saveexec_b64 s[12:13], vcc
	s_cbranch_execz .LBB106_21
; %bb.23:                               ;   in Loop: Header=BB106_22 Depth=2
	v_lshlrev_b64 v[0:1], 4, v[14:15]
	v_mov_b32_e32 v2, s23
	v_add_co_u32_e32 v0, vcc, s22, v0
	v_addc_co_u32_e32 v1, vcc, v2, v1, vcc
	global_load_dwordx4 v[0:3], v[0:1], off
	v_ashrrev_i32_e32 v5, 31, v4
	v_lshlrev_b64 v[4:5], 4, v[4:5]
	v_mov_b32_e32 v6, s27
	v_add_co_u32_e32 v20, vcc, s26, v4
	v_addc_co_u32_e32 v21, vcc, v6, v5, vcc
	global_load_dwordx2 v[6:7], v[20:21], off
	s_mov_b64 s[14:15], 0
	s_waitcnt vmcnt(1)
	v_xor_b32_e32 v4, 0x80000000, v3
	v_cndmask_b32_e64 v3, v3, v4, s[0:1]
	v_mul_f64 v[22:23], v[2:3], -v[18:19]
	v_fmac_f64_e32 v[22:23], v[16:17], v[0:1]
.LBB106_24:                             ;   Parent Loop BB106_19 Depth=1
                                        ;     Parent Loop BB106_22 Depth=2
                                        ; =>    This Inner Loop Header: Depth=3
	s_waitcnt vmcnt(0)
	v_add_f64 v[4:5], v[6:7], v[22:23]
	global_atomic_cmpswap_x2 v[4:5], v[20:21], v[4:7], off glc
	s_waitcnt vmcnt(0)
	v_cmp_eq_u64_e32 vcc, v[4:5], v[6:7]
	s_or_b64 s[14:15], vcc, s[14:15]
	v_pk_mov_b32 v[6:7], v[4:5], v[4:5] op_sel:[0,1]
	s_andn2_b64 exec, exec, s[14:15]
	s_cbranch_execnz .LBB106_24
; %bb.25:                               ;   in Loop: Header=BB106_22 Depth=2
	s_or_b64 exec, exec, s[14:15]
	global_load_dwordx2 v[4:5], v[20:21], off offset:8
	v_mul_f64 v[6:7], v[16:17], v[2:3]
	v_fmac_f64_e32 v[6:7], v[18:19], v[0:1]
	s_mov_b64 s[14:15], 0
.LBB106_26:                             ;   Parent Loop BB106_19 Depth=1
                                        ;     Parent Loop BB106_22 Depth=2
                                        ; =>    This Inner Loop Header: Depth=3
	s_waitcnt vmcnt(0)
	v_add_f64 v[2:3], v[4:5], v[6:7]
	global_atomic_cmpswap_x2 v[0:1], v[20:21], v[2:5], off offset:8 glc
	s_waitcnt vmcnt(0)
	v_cmp_eq_u64_e32 vcc, v[0:1], v[4:5]
	s_or_b64 s[14:15], vcc, s[14:15]
	v_pk_mov_b32 v[4:5], v[0:1], v[0:1] op_sel:[0,1]
	s_andn2_b64 exec, exec, s[14:15]
	s_cbranch_execnz .LBB106_26
	s_branch .LBB106_21
.LBB106_27:
	s_endpgm
	.section	.rodata,"a",@progbits
	.p2align	6, 0x0
	.amdhsa_kernel _ZN9rocsparseL21csrmvt_general_kernelILj256ELj8Eii21rocsparse_complex_numIdES2_S2_S2_EEvbbT2_NS_24const_host_device_scalarIT6_EEPKT1_S9_PKS3_PKT3_PKT4_PT5_21rocsparse_index_base_b
		.amdhsa_group_segment_fixed_size 2048
		.amdhsa_private_segment_fixed_size 0
		.amdhsa_kernarg_size 336
		.amdhsa_user_sgpr_count 8
		.amdhsa_user_sgpr_private_segment_buffer 1
		.amdhsa_user_sgpr_dispatch_ptr 1
		.amdhsa_user_sgpr_queue_ptr 0
		.amdhsa_user_sgpr_kernarg_segment_ptr 1
		.amdhsa_user_sgpr_dispatch_id 0
		.amdhsa_user_sgpr_flat_scratch_init 0
		.amdhsa_user_sgpr_kernarg_preload_length 0
		.amdhsa_user_sgpr_kernarg_preload_offset 0
		.amdhsa_user_sgpr_private_segment_size 0
		.amdhsa_uses_dynamic_stack 0
		.amdhsa_system_sgpr_private_segment_wavefront_offset 0
		.amdhsa_system_sgpr_workgroup_id_x 1
		.amdhsa_system_sgpr_workgroup_id_y 0
		.amdhsa_system_sgpr_workgroup_id_z 0
		.amdhsa_system_sgpr_workgroup_info 0
		.amdhsa_system_vgpr_workitem_id 2
		.amdhsa_next_free_vgpr 30
		.amdhsa_next_free_sgpr 30
		.amdhsa_accum_offset 32
		.amdhsa_reserve_vcc 1
		.amdhsa_reserve_flat_scratch 0
		.amdhsa_float_round_mode_32 0
		.amdhsa_float_round_mode_16_64 0
		.amdhsa_float_denorm_mode_32 3
		.amdhsa_float_denorm_mode_16_64 3
		.amdhsa_dx10_clamp 1
		.amdhsa_ieee_mode 1
		.amdhsa_fp16_overflow 0
		.amdhsa_tg_split 0
		.amdhsa_exception_fp_ieee_invalid_op 0
		.amdhsa_exception_fp_denorm_src 0
		.amdhsa_exception_fp_ieee_div_zero 0
		.amdhsa_exception_fp_ieee_overflow 0
		.amdhsa_exception_fp_ieee_underflow 0
		.amdhsa_exception_fp_ieee_inexact 0
		.amdhsa_exception_int_div_zero 0
	.end_amdhsa_kernel
	.section	.text._ZN9rocsparseL21csrmvt_general_kernelILj256ELj8Eii21rocsparse_complex_numIdES2_S2_S2_EEvbbT2_NS_24const_host_device_scalarIT6_EEPKT1_S9_PKS3_PKT3_PKT4_PT5_21rocsparse_index_base_b,"axG",@progbits,_ZN9rocsparseL21csrmvt_general_kernelILj256ELj8Eii21rocsparse_complex_numIdES2_S2_S2_EEvbbT2_NS_24const_host_device_scalarIT6_EEPKT1_S9_PKS3_PKT3_PKT4_PT5_21rocsparse_index_base_b,comdat
.Lfunc_end106:
	.size	_ZN9rocsparseL21csrmvt_general_kernelILj256ELj8Eii21rocsparse_complex_numIdES2_S2_S2_EEvbbT2_NS_24const_host_device_scalarIT6_EEPKT1_S9_PKS3_PKT3_PKT4_PT5_21rocsparse_index_base_b, .Lfunc_end106-_ZN9rocsparseL21csrmvt_general_kernelILj256ELj8Eii21rocsparse_complex_numIdES2_S2_S2_EEvbbT2_NS_24const_host_device_scalarIT6_EEPKT1_S9_PKS3_PKT3_PKT4_PT5_21rocsparse_index_base_b
                                        ; -- End function
	.section	.AMDGPU.csdata,"",@progbits
; Kernel info:
; codeLenInByte = 1268
; NumSgprs: 34
; NumVgprs: 30
; NumAgprs: 0
; TotalNumVgprs: 30
; ScratchSize: 0
; MemoryBound: 0
; FloatMode: 240
; IeeeMode: 1
; LDSByteSize: 2048 bytes/workgroup (compile time only)
; SGPRBlocks: 4
; VGPRBlocks: 3
; NumSGPRsForWavesPerEU: 34
; NumVGPRsForWavesPerEU: 30
; AccumOffset: 32
; Occupancy: 8
; WaveLimiterHint : 1
; COMPUTE_PGM_RSRC2:SCRATCH_EN: 0
; COMPUTE_PGM_RSRC2:USER_SGPR: 8
; COMPUTE_PGM_RSRC2:TRAP_HANDLER: 0
; COMPUTE_PGM_RSRC2:TGID_X_EN: 1
; COMPUTE_PGM_RSRC2:TGID_Y_EN: 0
; COMPUTE_PGM_RSRC2:TGID_Z_EN: 0
; COMPUTE_PGM_RSRC2:TIDIG_COMP_CNT: 2
; COMPUTE_PGM_RSRC3_GFX90A:ACCUM_OFFSET: 7
; COMPUTE_PGM_RSRC3_GFX90A:TG_SPLIT: 0
	.section	.text._ZN9rocsparseL21csrmvt_general_kernelILj256ELj16Eii21rocsparse_complex_numIdES2_S2_S2_EEvbbT2_NS_24const_host_device_scalarIT6_EEPKT1_S9_PKS3_PKT3_PKT4_PT5_21rocsparse_index_base_b,"axG",@progbits,_ZN9rocsparseL21csrmvt_general_kernelILj256ELj16Eii21rocsparse_complex_numIdES2_S2_S2_EEvbbT2_NS_24const_host_device_scalarIT6_EEPKT1_S9_PKS3_PKT3_PKT4_PT5_21rocsparse_index_base_b,comdat
	.globl	_ZN9rocsparseL21csrmvt_general_kernelILj256ELj16Eii21rocsparse_complex_numIdES2_S2_S2_EEvbbT2_NS_24const_host_device_scalarIT6_EEPKT1_S9_PKS3_PKT3_PKT4_PT5_21rocsparse_index_base_b ; -- Begin function _ZN9rocsparseL21csrmvt_general_kernelILj256ELj16Eii21rocsparse_complex_numIdES2_S2_S2_EEvbbT2_NS_24const_host_device_scalarIT6_EEPKT1_S9_PKS3_PKT3_PKT4_PT5_21rocsparse_index_base_b
	.p2align	8
	.type	_ZN9rocsparseL21csrmvt_general_kernelILj256ELj16Eii21rocsparse_complex_numIdES2_S2_S2_EEvbbT2_NS_24const_host_device_scalarIT6_EEPKT1_S9_PKS3_PKT3_PKT4_PT5_21rocsparse_index_base_b,@function
_ZN9rocsparseL21csrmvt_general_kernelILj256ELj16Eii21rocsparse_complex_numIdES2_S2_S2_EEvbbT2_NS_24const_host_device_scalarIT6_EEPKT1_S9_PKS3_PKT3_PKT4_PT5_21rocsparse_index_base_b: ; @_ZN9rocsparseL21csrmvt_general_kernelILj256ELj16Eii21rocsparse_complex_numIdES2_S2_S2_EEvbbT2_NS_24const_host_device_scalarIT6_EEPKT1_S9_PKS3_PKT3_PKT4_PT5_21rocsparse_index_base_b
; %bb.0:
	s_load_dwordx2 s[10:11], s[6:7], 0x48
	s_load_dwordx2 s[0:1], s[4:5], 0x4
	s_load_dwordx8 s[12:19], s[6:7], 0x8
	v_and_b32_e32 v1, 0x3ff, v0
	v_bfe_u32 v3, v0, 10, 10
	s_waitcnt lgkmcnt(0)
	s_and_b32 s2, 1, s11
	s_lshr_b32 s0, s0, 16
	s_mul_i32 s0, s0, s1
	v_mul_lo_u32 v2, s0, v1
	s_cmp_eq_u32 s2, 1
	v_mad_u32_u24 v2, v3, s1, v2
	v_bfe_u32 v0, v0, 20, 10
	v_add_lshl_u32 v0, v2, v0, 3
	v_pk_mov_b32 v[2:3], s[12:13], s[12:13] op_sel:[0,1]
	s_cselect_b64 vcc, -1, 0
	ds_write_b64 v0, v[2:3]
	s_mov_b64 s[0:1], src_shared_base
	v_cndmask_b32_e32 v2, v2, v0, vcc
	s_and_b64 vcc, vcc, exec
	s_cselect_b32 s0, s1, s13
	v_mov_b32_e32 v3, s0
	flat_load_dwordx2 v[8:9], v[2:3]
	v_pk_mov_b32 v[10:11], s[14:15], s[14:15] op_sel:[0,1]
	s_cbranch_vccnz .LBB107_2
; %bb.1:
	v_pk_mov_b32 v[2:3], s[12:13], s[12:13] op_sel:[0,1]
	flat_load_dwordx2 v[10:11], v[2:3] offset:8
.LBB107_2:
	s_waitcnt vmcnt(0) lgkmcnt(0)
	v_cmp_neq_f64_e32 vcc, 0, v[8:9]
	v_cmp_neq_f64_e64 s[0:1], 0, v[10:11]
	s_or_b64 s[0:1], vcc, s[0:1]
	s_and_saveexec_b64 s[2:3], s[0:1]
	s_cbranch_execz .LBB107_27
; %bb.3:
	s_load_dword s0, s[6:7], 0x0
	s_load_dwordx2 s[4:5], s[6:7], 0x0
	s_load_dword s2, s[6:7], 0x50
	s_load_dwordx8 s[20:27], s[6:7], 0x28
	v_lshl_or_b32 v0, s8, 8, v1
	s_waitcnt lgkmcnt(0)
	s_and_b32 s3, s0, 1
	s_bitcmp1_b32 s4, 8
	s_cselect_b64 s[0:1], -1, 0
	s_lshl_b32 s4, s2, 4
	v_lshrrev_b32_e32 v12, 4, v0
	s_cmp_eq_u32 s3, 0
	v_and_b32_e32 v13, 15, v1
	v_cmp_gt_i32_e64 s[2:3], s5, v12
	s_mov_b64 s[6:7], -1
	s_cbranch_scc0 .LBB107_15
; %bb.4:
	s_and_saveexec_b64 s[6:7], s[2:3]
	s_cbranch_execz .LBB107_14
; %bb.5:
	v_subrev_u32_e32 v26, s10, v13
	s_mov_b64 s[8:9], 0
	v_mov_b32_e32 v27, s17
	v_mov_b32_e32 v28, s19
	;; [unrolled: 1-line block ×3, first 2 shown]
	s_branch .LBB107_7
.LBB107_6:                              ;   in Loop: Header=BB107_7 Depth=1
	s_or_b64 exec, exec, s[12:13]
	v_add_u32_e32 v14, s4, v14
	v_cmp_le_i32_e32 vcc, s5, v14
	s_or_b64 s[8:9], vcc, s[8:9]
	s_andn2_b64 exec, exec, s[8:9]
	s_cbranch_execz .LBB107_14
.LBB107_7:                              ; =>This Loop Header: Depth=1
                                        ;     Child Loop BB107_9 Depth 2
                                        ;       Child Loop BB107_10 Depth 3
                                        ;       Child Loop BB107_12 Depth 3
	v_ashrrev_i32_e32 v15, 31, v14
	v_lshlrev_b64 v[0:1], 2, v[14:15]
	v_add_co_u32_e32 v2, vcc, s16, v0
	v_addc_co_u32_e32 v3, vcc, v27, v1, vcc
	v_add_co_u32_e32 v0, vcc, s18, v0
	v_addc_co_u32_e32 v1, vcc, v28, v1, vcc
	global_load_dword v4, v[0:1], off
	global_load_dword v5, v[2:3], off
	s_waitcnt vmcnt(1)
	v_subrev_u32_e32 v29, s10, v4
	s_waitcnt vmcnt(0)
	v_add_u32_e32 v16, v5, v26
	v_cmp_lt_i32_e32 vcc, v16, v29
	s_and_saveexec_b64 s[12:13], vcc
	s_cbranch_execz .LBB107_6
; %bb.8:                                ;   in Loop: Header=BB107_7 Depth=1
	v_lshlrev_b64 v[0:1], 4, v[14:15]
	v_mov_b32_e32 v2, s25
	v_add_co_u32_e32 v0, vcc, s24, v0
	v_addc_co_u32_e32 v1, vcc, v2, v1, vcc
	global_load_dwordx4 v[0:3], v[0:1], off
	s_mov_b64 s[14:15], 0
	s_waitcnt vmcnt(0)
	v_mul_f64 v[18:19], v[2:3], -v[10:11]
	v_mul_f64 v[20:21], v[8:9], v[2:3]
	v_fmac_f64_e32 v[18:19], v[8:9], v[0:1]
	v_fmac_f64_e32 v[20:21], v[10:11], v[0:1]
.LBB107_9:                              ;   Parent Loop BB107_7 Depth=1
                                        ; =>  This Loop Header: Depth=2
                                        ;       Child Loop BB107_10 Depth 3
                                        ;       Child Loop BB107_12 Depth 3
	v_ashrrev_i32_e32 v17, 31, v16
	v_lshlrev_b64 v[0:1], 2, v[16:17]
	v_mov_b32_e32 v2, s21
	v_add_co_u32_e32 v0, vcc, s20, v0
	v_addc_co_u32_e32 v1, vcc, v2, v1, vcc
	global_load_dword v4, v[0:1], off
	v_lshlrev_b64 v[0:1], 4, v[16:17]
	v_mov_b32_e32 v2, s23
	v_add_co_u32_e32 v0, vcc, s22, v0
	v_addc_co_u32_e32 v1, vcc, v2, v1, vcc
	global_load_dwordx4 v[0:3], v[0:1], off
	v_mov_b32_e32 v6, s27
	s_mov_b64 s[28:29], 0
	s_waitcnt vmcnt(1)
	v_subrev_u32_e32 v4, s10, v4
	v_ashrrev_i32_e32 v5, 31, v4
	v_lshlrev_b64 v[4:5], 4, v[4:5]
	v_add_co_u32_e32 v22, vcc, s26, v4
	v_addc_co_u32_e32 v23, vcc, v6, v5, vcc
	global_load_dwordx2 v[6:7], v[22:23], off
	s_waitcnt vmcnt(1)
	v_xor_b32_e32 v4, 0x80000000, v3
	v_cndmask_b32_e64 v3, v3, v4, s[0:1]
	v_mul_f64 v[24:25], v[2:3], -v[20:21]
	v_fmac_f64_e32 v[24:25], v[18:19], v[0:1]
.LBB107_10:                             ;   Parent Loop BB107_7 Depth=1
                                        ;     Parent Loop BB107_9 Depth=2
                                        ; =>    This Inner Loop Header: Depth=3
	s_waitcnt vmcnt(0)
	v_add_f64 v[4:5], v[6:7], v[24:25]
	global_atomic_cmpswap_x2 v[4:5], v[22:23], v[4:7], off glc
	s_waitcnt vmcnt(0)
	v_cmp_eq_u64_e32 vcc, v[4:5], v[6:7]
	s_or_b64 s[28:29], vcc, s[28:29]
	v_pk_mov_b32 v[6:7], v[4:5], v[4:5] op_sel:[0,1]
	s_andn2_b64 exec, exec, s[28:29]
	s_cbranch_execnz .LBB107_10
; %bb.11:                               ;   in Loop: Header=BB107_9 Depth=2
	s_or_b64 exec, exec, s[28:29]
	global_load_dwordx2 v[4:5], v[22:23], off offset:8
	v_mul_f64 v[6:7], v[18:19], v[2:3]
	v_fmac_f64_e32 v[6:7], v[20:21], v[0:1]
	s_mov_b64 s[28:29], 0
.LBB107_12:                             ;   Parent Loop BB107_7 Depth=1
                                        ;     Parent Loop BB107_9 Depth=2
                                        ; =>    This Inner Loop Header: Depth=3
	s_waitcnt vmcnt(0)
	v_add_f64 v[2:3], v[4:5], v[6:7]
	global_atomic_cmpswap_x2 v[0:1], v[22:23], v[2:5], off offset:8 glc
	s_waitcnt vmcnt(0)
	v_cmp_eq_u64_e32 vcc, v[0:1], v[4:5]
	s_or_b64 s[28:29], vcc, s[28:29]
	v_pk_mov_b32 v[4:5], v[0:1], v[0:1] op_sel:[0,1]
	s_andn2_b64 exec, exec, s[28:29]
	s_cbranch_execnz .LBB107_12
; %bb.13:                               ;   in Loop: Header=BB107_9 Depth=2
	s_or_b64 exec, exec, s[28:29]
	v_add_u32_e32 v16, 16, v16
	v_cmp_ge_i32_e32 vcc, v16, v29
	s_or_b64 s[14:15], vcc, s[14:15]
	s_andn2_b64 exec, exec, s[14:15]
	s_cbranch_execnz .LBB107_9
	s_branch .LBB107_6
.LBB107_14:
	s_or_b64 exec, exec, s[6:7]
	s_mov_b64 s[6:7], 0
.LBB107_15:
	s_andn2_b64 vcc, exec, s[6:7]
	s_cbranch_vccnz .LBB107_27
; %bb.16:
	s_and_b64 exec, exec, s[2:3]
	s_cbranch_execz .LBB107_27
; %bb.17:
	v_subrev_u32_e32 v24, s10, v13
	s_mov_b64 s[2:3], 0
	v_mov_b32_e32 v25, s17
	v_mov_b32_e32 v26, s19
	s_branch .LBB107_19
.LBB107_18:                             ;   in Loop: Header=BB107_19 Depth=1
	s_or_b64 exec, exec, s[6:7]
	v_add_u32_e32 v12, s4, v12
	v_cmp_le_i32_e32 vcc, s5, v12
	s_or_b64 s[2:3], vcc, s[2:3]
	s_andn2_b64 exec, exec, s[2:3]
	s_cbranch_execz .LBB107_27
.LBB107_19:                             ; =>This Loop Header: Depth=1
                                        ;     Child Loop BB107_22 Depth 2
                                        ;       Child Loop BB107_24 Depth 3
                                        ;       Child Loop BB107_26 Depth 3
	v_ashrrev_i32_e32 v13, 31, v12
	v_lshlrev_b64 v[0:1], 2, v[12:13]
	v_add_co_u32_e32 v2, vcc, s16, v0
	v_addc_co_u32_e32 v3, vcc, v25, v1, vcc
	v_add_co_u32_e32 v0, vcc, s18, v0
	v_addc_co_u32_e32 v1, vcc, v26, v1, vcc
	global_load_dword v4, v[0:1], off
	global_load_dword v5, v[2:3], off
	s_waitcnt vmcnt(1)
	v_subrev_u32_e32 v27, s10, v4
	s_waitcnt vmcnt(0)
	v_add_u32_e32 v14, v5, v24
	v_cmp_lt_i32_e32 vcc, v14, v27
	s_and_saveexec_b64 s[6:7], vcc
	s_cbranch_execz .LBB107_18
; %bb.20:                               ;   in Loop: Header=BB107_19 Depth=1
	v_lshlrev_b64 v[0:1], 4, v[12:13]
	v_mov_b32_e32 v2, s25
	v_add_co_u32_e32 v0, vcc, s24, v0
	v_addc_co_u32_e32 v1, vcc, v2, v1, vcc
	global_load_dwordx4 v[0:3], v[0:1], off
	s_mov_b64 s[8:9], 0
	s_waitcnt vmcnt(0)
	v_mul_f64 v[16:17], v[2:3], -v[10:11]
	v_mul_f64 v[18:19], v[8:9], v[2:3]
	v_fmac_f64_e32 v[16:17], v[8:9], v[0:1]
	v_fmac_f64_e32 v[18:19], v[10:11], v[0:1]
	s_branch .LBB107_22
.LBB107_21:                             ;   in Loop: Header=BB107_22 Depth=2
	s_or_b64 exec, exec, s[12:13]
	v_add_u32_e32 v14, 16, v14
	v_cmp_ge_i32_e32 vcc, v14, v27
	s_or_b64 s[8:9], vcc, s[8:9]
	s_andn2_b64 exec, exec, s[8:9]
	s_cbranch_execz .LBB107_18
.LBB107_22:                             ;   Parent Loop BB107_19 Depth=1
                                        ; =>  This Loop Header: Depth=2
                                        ;       Child Loop BB107_24 Depth 3
                                        ;       Child Loop BB107_26 Depth 3
	v_ashrrev_i32_e32 v15, 31, v14
	v_lshlrev_b64 v[0:1], 2, v[14:15]
	v_mov_b32_e32 v2, s21
	v_add_co_u32_e32 v0, vcc, s20, v0
	v_addc_co_u32_e32 v1, vcc, v2, v1, vcc
	global_load_dword v0, v[0:1], off
	s_waitcnt vmcnt(0)
	v_subrev_u32_e32 v4, s10, v0
	v_cmp_ne_u32_e32 vcc, v4, v12
	s_and_saveexec_b64 s[12:13], vcc
	s_cbranch_execz .LBB107_21
; %bb.23:                               ;   in Loop: Header=BB107_22 Depth=2
	v_lshlrev_b64 v[0:1], 4, v[14:15]
	v_mov_b32_e32 v2, s23
	v_add_co_u32_e32 v0, vcc, s22, v0
	v_addc_co_u32_e32 v1, vcc, v2, v1, vcc
	global_load_dwordx4 v[0:3], v[0:1], off
	v_ashrrev_i32_e32 v5, 31, v4
	v_lshlrev_b64 v[4:5], 4, v[4:5]
	v_mov_b32_e32 v6, s27
	v_add_co_u32_e32 v20, vcc, s26, v4
	v_addc_co_u32_e32 v21, vcc, v6, v5, vcc
	global_load_dwordx2 v[6:7], v[20:21], off
	s_mov_b64 s[14:15], 0
	s_waitcnt vmcnt(1)
	v_xor_b32_e32 v4, 0x80000000, v3
	v_cndmask_b32_e64 v3, v3, v4, s[0:1]
	v_mul_f64 v[22:23], v[2:3], -v[18:19]
	v_fmac_f64_e32 v[22:23], v[16:17], v[0:1]
.LBB107_24:                             ;   Parent Loop BB107_19 Depth=1
                                        ;     Parent Loop BB107_22 Depth=2
                                        ; =>    This Inner Loop Header: Depth=3
	s_waitcnt vmcnt(0)
	v_add_f64 v[4:5], v[6:7], v[22:23]
	global_atomic_cmpswap_x2 v[4:5], v[20:21], v[4:7], off glc
	s_waitcnt vmcnt(0)
	v_cmp_eq_u64_e32 vcc, v[4:5], v[6:7]
	s_or_b64 s[14:15], vcc, s[14:15]
	v_pk_mov_b32 v[6:7], v[4:5], v[4:5] op_sel:[0,1]
	s_andn2_b64 exec, exec, s[14:15]
	s_cbranch_execnz .LBB107_24
; %bb.25:                               ;   in Loop: Header=BB107_22 Depth=2
	s_or_b64 exec, exec, s[14:15]
	global_load_dwordx2 v[4:5], v[20:21], off offset:8
	v_mul_f64 v[6:7], v[16:17], v[2:3]
	v_fmac_f64_e32 v[6:7], v[18:19], v[0:1]
	s_mov_b64 s[14:15], 0
.LBB107_26:                             ;   Parent Loop BB107_19 Depth=1
                                        ;     Parent Loop BB107_22 Depth=2
                                        ; =>    This Inner Loop Header: Depth=3
	s_waitcnt vmcnt(0)
	v_add_f64 v[2:3], v[4:5], v[6:7]
	global_atomic_cmpswap_x2 v[0:1], v[20:21], v[2:5], off offset:8 glc
	s_waitcnt vmcnt(0)
	v_cmp_eq_u64_e32 vcc, v[0:1], v[4:5]
	s_or_b64 s[14:15], vcc, s[14:15]
	v_pk_mov_b32 v[4:5], v[0:1], v[0:1] op_sel:[0,1]
	s_andn2_b64 exec, exec, s[14:15]
	s_cbranch_execnz .LBB107_26
	s_branch .LBB107_21
.LBB107_27:
	s_endpgm
	.section	.rodata,"a",@progbits
	.p2align	6, 0x0
	.amdhsa_kernel _ZN9rocsparseL21csrmvt_general_kernelILj256ELj16Eii21rocsparse_complex_numIdES2_S2_S2_EEvbbT2_NS_24const_host_device_scalarIT6_EEPKT1_S9_PKS3_PKT3_PKT4_PT5_21rocsparse_index_base_b
		.amdhsa_group_segment_fixed_size 2048
		.amdhsa_private_segment_fixed_size 0
		.amdhsa_kernarg_size 336
		.amdhsa_user_sgpr_count 8
		.amdhsa_user_sgpr_private_segment_buffer 1
		.amdhsa_user_sgpr_dispatch_ptr 1
		.amdhsa_user_sgpr_queue_ptr 0
		.amdhsa_user_sgpr_kernarg_segment_ptr 1
		.amdhsa_user_sgpr_dispatch_id 0
		.amdhsa_user_sgpr_flat_scratch_init 0
		.amdhsa_user_sgpr_kernarg_preload_length 0
		.amdhsa_user_sgpr_kernarg_preload_offset 0
		.amdhsa_user_sgpr_private_segment_size 0
		.amdhsa_uses_dynamic_stack 0
		.amdhsa_system_sgpr_private_segment_wavefront_offset 0
		.amdhsa_system_sgpr_workgroup_id_x 1
		.amdhsa_system_sgpr_workgroup_id_y 0
		.amdhsa_system_sgpr_workgroup_id_z 0
		.amdhsa_system_sgpr_workgroup_info 0
		.amdhsa_system_vgpr_workitem_id 2
		.amdhsa_next_free_vgpr 30
		.amdhsa_next_free_sgpr 30
		.amdhsa_accum_offset 32
		.amdhsa_reserve_vcc 1
		.amdhsa_reserve_flat_scratch 0
		.amdhsa_float_round_mode_32 0
		.amdhsa_float_round_mode_16_64 0
		.amdhsa_float_denorm_mode_32 3
		.amdhsa_float_denorm_mode_16_64 3
		.amdhsa_dx10_clamp 1
		.amdhsa_ieee_mode 1
		.amdhsa_fp16_overflow 0
		.amdhsa_tg_split 0
		.amdhsa_exception_fp_ieee_invalid_op 0
		.amdhsa_exception_fp_denorm_src 0
		.amdhsa_exception_fp_ieee_div_zero 0
		.amdhsa_exception_fp_ieee_overflow 0
		.amdhsa_exception_fp_ieee_underflow 0
		.amdhsa_exception_fp_ieee_inexact 0
		.amdhsa_exception_int_div_zero 0
	.end_amdhsa_kernel
	.section	.text._ZN9rocsparseL21csrmvt_general_kernelILj256ELj16Eii21rocsparse_complex_numIdES2_S2_S2_EEvbbT2_NS_24const_host_device_scalarIT6_EEPKT1_S9_PKS3_PKT3_PKT4_PT5_21rocsparse_index_base_b,"axG",@progbits,_ZN9rocsparseL21csrmvt_general_kernelILj256ELj16Eii21rocsparse_complex_numIdES2_S2_S2_EEvbbT2_NS_24const_host_device_scalarIT6_EEPKT1_S9_PKS3_PKT3_PKT4_PT5_21rocsparse_index_base_b,comdat
.Lfunc_end107:
	.size	_ZN9rocsparseL21csrmvt_general_kernelILj256ELj16Eii21rocsparse_complex_numIdES2_S2_S2_EEvbbT2_NS_24const_host_device_scalarIT6_EEPKT1_S9_PKS3_PKT3_PKT4_PT5_21rocsparse_index_base_b, .Lfunc_end107-_ZN9rocsparseL21csrmvt_general_kernelILj256ELj16Eii21rocsparse_complex_numIdES2_S2_S2_EEvbbT2_NS_24const_host_device_scalarIT6_EEPKT1_S9_PKS3_PKT3_PKT4_PT5_21rocsparse_index_base_b
                                        ; -- End function
	.section	.AMDGPU.csdata,"",@progbits
; Kernel info:
; codeLenInByte = 1268
; NumSgprs: 34
; NumVgprs: 30
; NumAgprs: 0
; TotalNumVgprs: 30
; ScratchSize: 0
; MemoryBound: 0
; FloatMode: 240
; IeeeMode: 1
; LDSByteSize: 2048 bytes/workgroup (compile time only)
; SGPRBlocks: 4
; VGPRBlocks: 3
; NumSGPRsForWavesPerEU: 34
; NumVGPRsForWavesPerEU: 30
; AccumOffset: 32
; Occupancy: 8
; WaveLimiterHint : 1
; COMPUTE_PGM_RSRC2:SCRATCH_EN: 0
; COMPUTE_PGM_RSRC2:USER_SGPR: 8
; COMPUTE_PGM_RSRC2:TRAP_HANDLER: 0
; COMPUTE_PGM_RSRC2:TGID_X_EN: 1
; COMPUTE_PGM_RSRC2:TGID_Y_EN: 0
; COMPUTE_PGM_RSRC2:TGID_Z_EN: 0
; COMPUTE_PGM_RSRC2:TIDIG_COMP_CNT: 2
; COMPUTE_PGM_RSRC3_GFX90A:ACCUM_OFFSET: 7
; COMPUTE_PGM_RSRC3_GFX90A:TG_SPLIT: 0
	.section	.text._ZN9rocsparseL21csrmvt_general_kernelILj256ELj32Eii21rocsparse_complex_numIdES2_S2_S2_EEvbbT2_NS_24const_host_device_scalarIT6_EEPKT1_S9_PKS3_PKT3_PKT4_PT5_21rocsparse_index_base_b,"axG",@progbits,_ZN9rocsparseL21csrmvt_general_kernelILj256ELj32Eii21rocsparse_complex_numIdES2_S2_S2_EEvbbT2_NS_24const_host_device_scalarIT6_EEPKT1_S9_PKS3_PKT3_PKT4_PT5_21rocsparse_index_base_b,comdat
	.globl	_ZN9rocsparseL21csrmvt_general_kernelILj256ELj32Eii21rocsparse_complex_numIdES2_S2_S2_EEvbbT2_NS_24const_host_device_scalarIT6_EEPKT1_S9_PKS3_PKT3_PKT4_PT5_21rocsparse_index_base_b ; -- Begin function _ZN9rocsparseL21csrmvt_general_kernelILj256ELj32Eii21rocsparse_complex_numIdES2_S2_S2_EEvbbT2_NS_24const_host_device_scalarIT6_EEPKT1_S9_PKS3_PKT3_PKT4_PT5_21rocsparse_index_base_b
	.p2align	8
	.type	_ZN9rocsparseL21csrmvt_general_kernelILj256ELj32Eii21rocsparse_complex_numIdES2_S2_S2_EEvbbT2_NS_24const_host_device_scalarIT6_EEPKT1_S9_PKS3_PKT3_PKT4_PT5_21rocsparse_index_base_b,@function
_ZN9rocsparseL21csrmvt_general_kernelILj256ELj32Eii21rocsparse_complex_numIdES2_S2_S2_EEvbbT2_NS_24const_host_device_scalarIT6_EEPKT1_S9_PKS3_PKT3_PKT4_PT5_21rocsparse_index_base_b: ; @_ZN9rocsparseL21csrmvt_general_kernelILj256ELj32Eii21rocsparse_complex_numIdES2_S2_S2_EEvbbT2_NS_24const_host_device_scalarIT6_EEPKT1_S9_PKS3_PKT3_PKT4_PT5_21rocsparse_index_base_b
; %bb.0:
	s_load_dwordx2 s[10:11], s[6:7], 0x48
	s_load_dwordx2 s[0:1], s[4:5], 0x4
	s_load_dwordx8 s[12:19], s[6:7], 0x8
	v_and_b32_e32 v1, 0x3ff, v0
	v_bfe_u32 v3, v0, 10, 10
	s_waitcnt lgkmcnt(0)
	s_and_b32 s2, 1, s11
	s_lshr_b32 s0, s0, 16
	s_mul_i32 s0, s0, s1
	v_mul_lo_u32 v2, s0, v1
	s_cmp_eq_u32 s2, 1
	v_mad_u32_u24 v2, v3, s1, v2
	v_bfe_u32 v0, v0, 20, 10
	v_add_lshl_u32 v0, v2, v0, 3
	v_pk_mov_b32 v[2:3], s[12:13], s[12:13] op_sel:[0,1]
	s_cselect_b64 vcc, -1, 0
	ds_write_b64 v0, v[2:3]
	s_mov_b64 s[0:1], src_shared_base
	v_cndmask_b32_e32 v2, v2, v0, vcc
	s_and_b64 vcc, vcc, exec
	s_cselect_b32 s0, s1, s13
	v_mov_b32_e32 v3, s0
	flat_load_dwordx2 v[8:9], v[2:3]
	v_pk_mov_b32 v[10:11], s[14:15], s[14:15] op_sel:[0,1]
	s_cbranch_vccnz .LBB108_2
; %bb.1:
	v_pk_mov_b32 v[2:3], s[12:13], s[12:13] op_sel:[0,1]
	flat_load_dwordx2 v[10:11], v[2:3] offset:8
.LBB108_2:
	s_waitcnt vmcnt(0) lgkmcnt(0)
	v_cmp_neq_f64_e32 vcc, 0, v[8:9]
	v_cmp_neq_f64_e64 s[0:1], 0, v[10:11]
	s_or_b64 s[0:1], vcc, s[0:1]
	s_and_saveexec_b64 s[2:3], s[0:1]
	s_cbranch_execz .LBB108_27
; %bb.3:
	s_load_dword s0, s[6:7], 0x0
	s_load_dwordx2 s[4:5], s[6:7], 0x0
	s_load_dword s2, s[6:7], 0x50
	s_load_dwordx8 s[20:27], s[6:7], 0x28
	v_lshl_or_b32 v0, s8, 8, v1
	s_waitcnt lgkmcnt(0)
	s_and_b32 s3, s0, 1
	s_bitcmp1_b32 s4, 8
	s_cselect_b64 s[0:1], -1, 0
	s_lshl_b32 s4, s2, 3
	v_lshrrev_b32_e32 v12, 5, v0
	s_cmp_eq_u32 s3, 0
	v_and_b32_e32 v13, 31, v1
	v_cmp_gt_i32_e64 s[2:3], s5, v12
	s_mov_b64 s[6:7], -1
	s_cbranch_scc0 .LBB108_15
; %bb.4:
	s_and_saveexec_b64 s[6:7], s[2:3]
	s_cbranch_execz .LBB108_14
; %bb.5:
	v_subrev_u32_e32 v26, s10, v13
	s_mov_b64 s[8:9], 0
	v_mov_b32_e32 v27, s17
	v_mov_b32_e32 v28, s19
	;; [unrolled: 1-line block ×3, first 2 shown]
	s_branch .LBB108_7
.LBB108_6:                              ;   in Loop: Header=BB108_7 Depth=1
	s_or_b64 exec, exec, s[12:13]
	v_add_u32_e32 v14, s4, v14
	v_cmp_le_i32_e32 vcc, s5, v14
	s_or_b64 s[8:9], vcc, s[8:9]
	s_andn2_b64 exec, exec, s[8:9]
	s_cbranch_execz .LBB108_14
.LBB108_7:                              ; =>This Loop Header: Depth=1
                                        ;     Child Loop BB108_9 Depth 2
                                        ;       Child Loop BB108_10 Depth 3
                                        ;       Child Loop BB108_12 Depth 3
	v_ashrrev_i32_e32 v15, 31, v14
	v_lshlrev_b64 v[0:1], 2, v[14:15]
	v_add_co_u32_e32 v2, vcc, s16, v0
	v_addc_co_u32_e32 v3, vcc, v27, v1, vcc
	v_add_co_u32_e32 v0, vcc, s18, v0
	v_addc_co_u32_e32 v1, vcc, v28, v1, vcc
	global_load_dword v4, v[0:1], off
	global_load_dword v5, v[2:3], off
	s_waitcnt vmcnt(1)
	v_subrev_u32_e32 v29, s10, v4
	s_waitcnt vmcnt(0)
	v_add_u32_e32 v16, v5, v26
	v_cmp_lt_i32_e32 vcc, v16, v29
	s_and_saveexec_b64 s[12:13], vcc
	s_cbranch_execz .LBB108_6
; %bb.8:                                ;   in Loop: Header=BB108_7 Depth=1
	v_lshlrev_b64 v[0:1], 4, v[14:15]
	v_mov_b32_e32 v2, s25
	v_add_co_u32_e32 v0, vcc, s24, v0
	v_addc_co_u32_e32 v1, vcc, v2, v1, vcc
	global_load_dwordx4 v[0:3], v[0:1], off
	s_mov_b64 s[14:15], 0
	s_waitcnt vmcnt(0)
	v_mul_f64 v[18:19], v[2:3], -v[10:11]
	v_mul_f64 v[20:21], v[8:9], v[2:3]
	v_fmac_f64_e32 v[18:19], v[8:9], v[0:1]
	v_fmac_f64_e32 v[20:21], v[10:11], v[0:1]
.LBB108_9:                              ;   Parent Loop BB108_7 Depth=1
                                        ; =>  This Loop Header: Depth=2
                                        ;       Child Loop BB108_10 Depth 3
                                        ;       Child Loop BB108_12 Depth 3
	v_ashrrev_i32_e32 v17, 31, v16
	v_lshlrev_b64 v[0:1], 2, v[16:17]
	v_mov_b32_e32 v2, s21
	v_add_co_u32_e32 v0, vcc, s20, v0
	v_addc_co_u32_e32 v1, vcc, v2, v1, vcc
	global_load_dword v4, v[0:1], off
	v_lshlrev_b64 v[0:1], 4, v[16:17]
	v_mov_b32_e32 v2, s23
	v_add_co_u32_e32 v0, vcc, s22, v0
	v_addc_co_u32_e32 v1, vcc, v2, v1, vcc
	global_load_dwordx4 v[0:3], v[0:1], off
	v_mov_b32_e32 v6, s27
	s_mov_b64 s[28:29], 0
	s_waitcnt vmcnt(1)
	v_subrev_u32_e32 v4, s10, v4
	v_ashrrev_i32_e32 v5, 31, v4
	v_lshlrev_b64 v[4:5], 4, v[4:5]
	v_add_co_u32_e32 v22, vcc, s26, v4
	v_addc_co_u32_e32 v23, vcc, v6, v5, vcc
	global_load_dwordx2 v[6:7], v[22:23], off
	s_waitcnt vmcnt(1)
	v_xor_b32_e32 v4, 0x80000000, v3
	v_cndmask_b32_e64 v3, v3, v4, s[0:1]
	v_mul_f64 v[24:25], v[2:3], -v[20:21]
	v_fmac_f64_e32 v[24:25], v[18:19], v[0:1]
.LBB108_10:                             ;   Parent Loop BB108_7 Depth=1
                                        ;     Parent Loop BB108_9 Depth=2
                                        ; =>    This Inner Loop Header: Depth=3
	s_waitcnt vmcnt(0)
	v_add_f64 v[4:5], v[6:7], v[24:25]
	global_atomic_cmpswap_x2 v[4:5], v[22:23], v[4:7], off glc
	s_waitcnt vmcnt(0)
	v_cmp_eq_u64_e32 vcc, v[4:5], v[6:7]
	s_or_b64 s[28:29], vcc, s[28:29]
	v_pk_mov_b32 v[6:7], v[4:5], v[4:5] op_sel:[0,1]
	s_andn2_b64 exec, exec, s[28:29]
	s_cbranch_execnz .LBB108_10
; %bb.11:                               ;   in Loop: Header=BB108_9 Depth=2
	s_or_b64 exec, exec, s[28:29]
	global_load_dwordx2 v[4:5], v[22:23], off offset:8
	v_mul_f64 v[6:7], v[18:19], v[2:3]
	v_fmac_f64_e32 v[6:7], v[20:21], v[0:1]
	s_mov_b64 s[28:29], 0
.LBB108_12:                             ;   Parent Loop BB108_7 Depth=1
                                        ;     Parent Loop BB108_9 Depth=2
                                        ; =>    This Inner Loop Header: Depth=3
	s_waitcnt vmcnt(0)
	v_add_f64 v[2:3], v[4:5], v[6:7]
	global_atomic_cmpswap_x2 v[0:1], v[22:23], v[2:5], off offset:8 glc
	s_waitcnt vmcnt(0)
	v_cmp_eq_u64_e32 vcc, v[0:1], v[4:5]
	s_or_b64 s[28:29], vcc, s[28:29]
	v_pk_mov_b32 v[4:5], v[0:1], v[0:1] op_sel:[0,1]
	s_andn2_b64 exec, exec, s[28:29]
	s_cbranch_execnz .LBB108_12
; %bb.13:                               ;   in Loop: Header=BB108_9 Depth=2
	s_or_b64 exec, exec, s[28:29]
	v_add_u32_e32 v16, 32, v16
	v_cmp_ge_i32_e32 vcc, v16, v29
	s_or_b64 s[14:15], vcc, s[14:15]
	s_andn2_b64 exec, exec, s[14:15]
	s_cbranch_execnz .LBB108_9
	s_branch .LBB108_6
.LBB108_14:
	s_or_b64 exec, exec, s[6:7]
	s_mov_b64 s[6:7], 0
.LBB108_15:
	s_andn2_b64 vcc, exec, s[6:7]
	s_cbranch_vccnz .LBB108_27
; %bb.16:
	s_and_b64 exec, exec, s[2:3]
	s_cbranch_execz .LBB108_27
; %bb.17:
	v_subrev_u32_e32 v24, s10, v13
	s_mov_b64 s[2:3], 0
	v_mov_b32_e32 v25, s17
	v_mov_b32_e32 v26, s19
	s_branch .LBB108_19
.LBB108_18:                             ;   in Loop: Header=BB108_19 Depth=1
	s_or_b64 exec, exec, s[6:7]
	v_add_u32_e32 v12, s4, v12
	v_cmp_le_i32_e32 vcc, s5, v12
	s_or_b64 s[2:3], vcc, s[2:3]
	s_andn2_b64 exec, exec, s[2:3]
	s_cbranch_execz .LBB108_27
.LBB108_19:                             ; =>This Loop Header: Depth=1
                                        ;     Child Loop BB108_22 Depth 2
                                        ;       Child Loop BB108_24 Depth 3
                                        ;       Child Loop BB108_26 Depth 3
	v_ashrrev_i32_e32 v13, 31, v12
	v_lshlrev_b64 v[0:1], 2, v[12:13]
	v_add_co_u32_e32 v2, vcc, s16, v0
	v_addc_co_u32_e32 v3, vcc, v25, v1, vcc
	v_add_co_u32_e32 v0, vcc, s18, v0
	v_addc_co_u32_e32 v1, vcc, v26, v1, vcc
	global_load_dword v4, v[0:1], off
	global_load_dword v5, v[2:3], off
	s_waitcnt vmcnt(1)
	v_subrev_u32_e32 v27, s10, v4
	s_waitcnt vmcnt(0)
	v_add_u32_e32 v14, v5, v24
	v_cmp_lt_i32_e32 vcc, v14, v27
	s_and_saveexec_b64 s[6:7], vcc
	s_cbranch_execz .LBB108_18
; %bb.20:                               ;   in Loop: Header=BB108_19 Depth=1
	v_lshlrev_b64 v[0:1], 4, v[12:13]
	v_mov_b32_e32 v2, s25
	v_add_co_u32_e32 v0, vcc, s24, v0
	v_addc_co_u32_e32 v1, vcc, v2, v1, vcc
	global_load_dwordx4 v[0:3], v[0:1], off
	s_mov_b64 s[8:9], 0
	s_waitcnt vmcnt(0)
	v_mul_f64 v[16:17], v[2:3], -v[10:11]
	v_mul_f64 v[18:19], v[8:9], v[2:3]
	v_fmac_f64_e32 v[16:17], v[8:9], v[0:1]
	v_fmac_f64_e32 v[18:19], v[10:11], v[0:1]
	s_branch .LBB108_22
.LBB108_21:                             ;   in Loop: Header=BB108_22 Depth=2
	s_or_b64 exec, exec, s[12:13]
	v_add_u32_e32 v14, 32, v14
	v_cmp_ge_i32_e32 vcc, v14, v27
	s_or_b64 s[8:9], vcc, s[8:9]
	s_andn2_b64 exec, exec, s[8:9]
	s_cbranch_execz .LBB108_18
.LBB108_22:                             ;   Parent Loop BB108_19 Depth=1
                                        ; =>  This Loop Header: Depth=2
                                        ;       Child Loop BB108_24 Depth 3
                                        ;       Child Loop BB108_26 Depth 3
	v_ashrrev_i32_e32 v15, 31, v14
	v_lshlrev_b64 v[0:1], 2, v[14:15]
	v_mov_b32_e32 v2, s21
	v_add_co_u32_e32 v0, vcc, s20, v0
	v_addc_co_u32_e32 v1, vcc, v2, v1, vcc
	global_load_dword v0, v[0:1], off
	s_waitcnt vmcnt(0)
	v_subrev_u32_e32 v4, s10, v0
	v_cmp_ne_u32_e32 vcc, v4, v12
	s_and_saveexec_b64 s[12:13], vcc
	s_cbranch_execz .LBB108_21
; %bb.23:                               ;   in Loop: Header=BB108_22 Depth=2
	v_lshlrev_b64 v[0:1], 4, v[14:15]
	v_mov_b32_e32 v2, s23
	v_add_co_u32_e32 v0, vcc, s22, v0
	v_addc_co_u32_e32 v1, vcc, v2, v1, vcc
	global_load_dwordx4 v[0:3], v[0:1], off
	v_ashrrev_i32_e32 v5, 31, v4
	v_lshlrev_b64 v[4:5], 4, v[4:5]
	v_mov_b32_e32 v6, s27
	v_add_co_u32_e32 v20, vcc, s26, v4
	v_addc_co_u32_e32 v21, vcc, v6, v5, vcc
	global_load_dwordx2 v[6:7], v[20:21], off
	s_mov_b64 s[14:15], 0
	s_waitcnt vmcnt(1)
	v_xor_b32_e32 v4, 0x80000000, v3
	v_cndmask_b32_e64 v3, v3, v4, s[0:1]
	v_mul_f64 v[22:23], v[2:3], -v[18:19]
	v_fmac_f64_e32 v[22:23], v[16:17], v[0:1]
.LBB108_24:                             ;   Parent Loop BB108_19 Depth=1
                                        ;     Parent Loop BB108_22 Depth=2
                                        ; =>    This Inner Loop Header: Depth=3
	s_waitcnt vmcnt(0)
	v_add_f64 v[4:5], v[6:7], v[22:23]
	global_atomic_cmpswap_x2 v[4:5], v[20:21], v[4:7], off glc
	s_waitcnt vmcnt(0)
	v_cmp_eq_u64_e32 vcc, v[4:5], v[6:7]
	s_or_b64 s[14:15], vcc, s[14:15]
	v_pk_mov_b32 v[6:7], v[4:5], v[4:5] op_sel:[0,1]
	s_andn2_b64 exec, exec, s[14:15]
	s_cbranch_execnz .LBB108_24
; %bb.25:                               ;   in Loop: Header=BB108_22 Depth=2
	s_or_b64 exec, exec, s[14:15]
	global_load_dwordx2 v[4:5], v[20:21], off offset:8
	v_mul_f64 v[6:7], v[16:17], v[2:3]
	v_fmac_f64_e32 v[6:7], v[18:19], v[0:1]
	s_mov_b64 s[14:15], 0
.LBB108_26:                             ;   Parent Loop BB108_19 Depth=1
                                        ;     Parent Loop BB108_22 Depth=2
                                        ; =>    This Inner Loop Header: Depth=3
	s_waitcnt vmcnt(0)
	v_add_f64 v[2:3], v[4:5], v[6:7]
	global_atomic_cmpswap_x2 v[0:1], v[20:21], v[2:5], off offset:8 glc
	s_waitcnt vmcnt(0)
	v_cmp_eq_u64_e32 vcc, v[0:1], v[4:5]
	s_or_b64 s[14:15], vcc, s[14:15]
	v_pk_mov_b32 v[4:5], v[0:1], v[0:1] op_sel:[0,1]
	s_andn2_b64 exec, exec, s[14:15]
	s_cbranch_execnz .LBB108_26
	s_branch .LBB108_21
.LBB108_27:
	s_endpgm
	.section	.rodata,"a",@progbits
	.p2align	6, 0x0
	.amdhsa_kernel _ZN9rocsparseL21csrmvt_general_kernelILj256ELj32Eii21rocsparse_complex_numIdES2_S2_S2_EEvbbT2_NS_24const_host_device_scalarIT6_EEPKT1_S9_PKS3_PKT3_PKT4_PT5_21rocsparse_index_base_b
		.amdhsa_group_segment_fixed_size 2048
		.amdhsa_private_segment_fixed_size 0
		.amdhsa_kernarg_size 336
		.amdhsa_user_sgpr_count 8
		.amdhsa_user_sgpr_private_segment_buffer 1
		.amdhsa_user_sgpr_dispatch_ptr 1
		.amdhsa_user_sgpr_queue_ptr 0
		.amdhsa_user_sgpr_kernarg_segment_ptr 1
		.amdhsa_user_sgpr_dispatch_id 0
		.amdhsa_user_sgpr_flat_scratch_init 0
		.amdhsa_user_sgpr_kernarg_preload_length 0
		.amdhsa_user_sgpr_kernarg_preload_offset 0
		.amdhsa_user_sgpr_private_segment_size 0
		.amdhsa_uses_dynamic_stack 0
		.amdhsa_system_sgpr_private_segment_wavefront_offset 0
		.amdhsa_system_sgpr_workgroup_id_x 1
		.amdhsa_system_sgpr_workgroup_id_y 0
		.amdhsa_system_sgpr_workgroup_id_z 0
		.amdhsa_system_sgpr_workgroup_info 0
		.amdhsa_system_vgpr_workitem_id 2
		.amdhsa_next_free_vgpr 30
		.amdhsa_next_free_sgpr 30
		.amdhsa_accum_offset 32
		.amdhsa_reserve_vcc 1
		.amdhsa_reserve_flat_scratch 0
		.amdhsa_float_round_mode_32 0
		.amdhsa_float_round_mode_16_64 0
		.amdhsa_float_denorm_mode_32 3
		.amdhsa_float_denorm_mode_16_64 3
		.amdhsa_dx10_clamp 1
		.amdhsa_ieee_mode 1
		.amdhsa_fp16_overflow 0
		.amdhsa_tg_split 0
		.amdhsa_exception_fp_ieee_invalid_op 0
		.amdhsa_exception_fp_denorm_src 0
		.amdhsa_exception_fp_ieee_div_zero 0
		.amdhsa_exception_fp_ieee_overflow 0
		.amdhsa_exception_fp_ieee_underflow 0
		.amdhsa_exception_fp_ieee_inexact 0
		.amdhsa_exception_int_div_zero 0
	.end_amdhsa_kernel
	.section	.text._ZN9rocsparseL21csrmvt_general_kernelILj256ELj32Eii21rocsparse_complex_numIdES2_S2_S2_EEvbbT2_NS_24const_host_device_scalarIT6_EEPKT1_S9_PKS3_PKT3_PKT4_PT5_21rocsparse_index_base_b,"axG",@progbits,_ZN9rocsparseL21csrmvt_general_kernelILj256ELj32Eii21rocsparse_complex_numIdES2_S2_S2_EEvbbT2_NS_24const_host_device_scalarIT6_EEPKT1_S9_PKS3_PKT3_PKT4_PT5_21rocsparse_index_base_b,comdat
.Lfunc_end108:
	.size	_ZN9rocsparseL21csrmvt_general_kernelILj256ELj32Eii21rocsparse_complex_numIdES2_S2_S2_EEvbbT2_NS_24const_host_device_scalarIT6_EEPKT1_S9_PKS3_PKT3_PKT4_PT5_21rocsparse_index_base_b, .Lfunc_end108-_ZN9rocsparseL21csrmvt_general_kernelILj256ELj32Eii21rocsparse_complex_numIdES2_S2_S2_EEvbbT2_NS_24const_host_device_scalarIT6_EEPKT1_S9_PKS3_PKT3_PKT4_PT5_21rocsparse_index_base_b
                                        ; -- End function
	.section	.AMDGPU.csdata,"",@progbits
; Kernel info:
; codeLenInByte = 1268
; NumSgprs: 34
; NumVgprs: 30
; NumAgprs: 0
; TotalNumVgprs: 30
; ScratchSize: 0
; MemoryBound: 0
; FloatMode: 240
; IeeeMode: 1
; LDSByteSize: 2048 bytes/workgroup (compile time only)
; SGPRBlocks: 4
; VGPRBlocks: 3
; NumSGPRsForWavesPerEU: 34
; NumVGPRsForWavesPerEU: 30
; AccumOffset: 32
; Occupancy: 8
; WaveLimiterHint : 1
; COMPUTE_PGM_RSRC2:SCRATCH_EN: 0
; COMPUTE_PGM_RSRC2:USER_SGPR: 8
; COMPUTE_PGM_RSRC2:TRAP_HANDLER: 0
; COMPUTE_PGM_RSRC2:TGID_X_EN: 1
; COMPUTE_PGM_RSRC2:TGID_Y_EN: 0
; COMPUTE_PGM_RSRC2:TGID_Z_EN: 0
; COMPUTE_PGM_RSRC2:TIDIG_COMP_CNT: 2
; COMPUTE_PGM_RSRC3_GFX90A:ACCUM_OFFSET: 7
; COMPUTE_PGM_RSRC3_GFX90A:TG_SPLIT: 0
	.section	.text._ZN9rocsparseL21csrmvt_general_kernelILj256ELj64Eii21rocsparse_complex_numIdES2_S2_S2_EEvbbT2_NS_24const_host_device_scalarIT6_EEPKT1_S9_PKS3_PKT3_PKT4_PT5_21rocsparse_index_base_b,"axG",@progbits,_ZN9rocsparseL21csrmvt_general_kernelILj256ELj64Eii21rocsparse_complex_numIdES2_S2_S2_EEvbbT2_NS_24const_host_device_scalarIT6_EEPKT1_S9_PKS3_PKT3_PKT4_PT5_21rocsparse_index_base_b,comdat
	.globl	_ZN9rocsparseL21csrmvt_general_kernelILj256ELj64Eii21rocsparse_complex_numIdES2_S2_S2_EEvbbT2_NS_24const_host_device_scalarIT6_EEPKT1_S9_PKS3_PKT3_PKT4_PT5_21rocsparse_index_base_b ; -- Begin function _ZN9rocsparseL21csrmvt_general_kernelILj256ELj64Eii21rocsparse_complex_numIdES2_S2_S2_EEvbbT2_NS_24const_host_device_scalarIT6_EEPKT1_S9_PKS3_PKT3_PKT4_PT5_21rocsparse_index_base_b
	.p2align	8
	.type	_ZN9rocsparseL21csrmvt_general_kernelILj256ELj64Eii21rocsparse_complex_numIdES2_S2_S2_EEvbbT2_NS_24const_host_device_scalarIT6_EEPKT1_S9_PKS3_PKT3_PKT4_PT5_21rocsparse_index_base_b,@function
_ZN9rocsparseL21csrmvt_general_kernelILj256ELj64Eii21rocsparse_complex_numIdES2_S2_S2_EEvbbT2_NS_24const_host_device_scalarIT6_EEPKT1_S9_PKS3_PKT3_PKT4_PT5_21rocsparse_index_base_b: ; @_ZN9rocsparseL21csrmvt_general_kernelILj256ELj64Eii21rocsparse_complex_numIdES2_S2_S2_EEvbbT2_NS_24const_host_device_scalarIT6_EEPKT1_S9_PKS3_PKT3_PKT4_PT5_21rocsparse_index_base_b
; %bb.0:
	s_load_dwordx2 s[10:11], s[6:7], 0x48
	s_load_dwordx2 s[0:1], s[4:5], 0x4
	s_load_dwordx8 s[12:19], s[6:7], 0x8
	v_and_b32_e32 v1, 0x3ff, v0
	v_bfe_u32 v3, v0, 10, 10
	s_waitcnt lgkmcnt(0)
	s_and_b32 s2, 1, s11
	s_lshr_b32 s0, s0, 16
	s_mul_i32 s0, s0, s1
	v_mul_lo_u32 v2, s0, v1
	s_cmp_eq_u32 s2, 1
	v_mad_u32_u24 v2, v3, s1, v2
	v_bfe_u32 v0, v0, 20, 10
	v_add_lshl_u32 v0, v2, v0, 3
	v_pk_mov_b32 v[2:3], s[12:13], s[12:13] op_sel:[0,1]
	s_cselect_b64 vcc, -1, 0
	ds_write_b64 v0, v[2:3]
	s_mov_b64 s[0:1], src_shared_base
	v_cndmask_b32_e32 v2, v2, v0, vcc
	s_and_b64 vcc, vcc, exec
	s_cselect_b32 s0, s1, s13
	v_mov_b32_e32 v3, s0
	flat_load_dwordx2 v[8:9], v[2:3]
	v_pk_mov_b32 v[10:11], s[14:15], s[14:15] op_sel:[0,1]
	s_cbranch_vccnz .LBB109_2
; %bb.1:
	v_pk_mov_b32 v[2:3], s[12:13], s[12:13] op_sel:[0,1]
	flat_load_dwordx2 v[10:11], v[2:3] offset:8
.LBB109_2:
	s_waitcnt vmcnt(0) lgkmcnt(0)
	v_cmp_neq_f64_e32 vcc, 0, v[8:9]
	v_cmp_neq_f64_e64 s[0:1], 0, v[10:11]
	s_or_b64 s[0:1], vcc, s[0:1]
	s_and_saveexec_b64 s[2:3], s[0:1]
	s_cbranch_execz .LBB109_27
; %bb.3:
	s_load_dword s0, s[6:7], 0x0
	s_load_dwordx2 s[4:5], s[6:7], 0x0
	s_load_dword s2, s[6:7], 0x50
	s_load_dwordx8 s[20:27], s[6:7], 0x28
	v_lshl_or_b32 v0, s8, 8, v1
	s_waitcnt lgkmcnt(0)
	s_and_b32 s3, s0, 1
	s_bitcmp1_b32 s4, 8
	s_cselect_b64 s[0:1], -1, 0
	s_lshl_b32 s4, s2, 2
	v_lshrrev_b32_e32 v12, 6, v0
	s_cmp_eq_u32 s3, 0
	v_and_b32_e32 v13, 63, v1
	v_cmp_gt_i32_e64 s[2:3], s5, v12
	s_mov_b64 s[6:7], -1
	s_cbranch_scc0 .LBB109_15
; %bb.4:
	s_and_saveexec_b64 s[6:7], s[2:3]
	s_cbranch_execz .LBB109_14
; %bb.5:
	v_subrev_u32_e32 v26, s10, v13
	s_mov_b64 s[8:9], 0
	v_mov_b32_e32 v27, s17
	v_mov_b32_e32 v28, s19
	;; [unrolled: 1-line block ×3, first 2 shown]
	s_branch .LBB109_7
.LBB109_6:                              ;   in Loop: Header=BB109_7 Depth=1
	s_or_b64 exec, exec, s[12:13]
	v_add_u32_e32 v14, s4, v14
	v_cmp_le_i32_e32 vcc, s5, v14
	s_or_b64 s[8:9], vcc, s[8:9]
	s_andn2_b64 exec, exec, s[8:9]
	s_cbranch_execz .LBB109_14
.LBB109_7:                              ; =>This Loop Header: Depth=1
                                        ;     Child Loop BB109_9 Depth 2
                                        ;       Child Loop BB109_10 Depth 3
                                        ;       Child Loop BB109_12 Depth 3
	v_ashrrev_i32_e32 v15, 31, v14
	v_lshlrev_b64 v[0:1], 2, v[14:15]
	v_add_co_u32_e32 v2, vcc, s16, v0
	v_addc_co_u32_e32 v3, vcc, v27, v1, vcc
	v_add_co_u32_e32 v0, vcc, s18, v0
	v_addc_co_u32_e32 v1, vcc, v28, v1, vcc
	global_load_dword v4, v[0:1], off
	global_load_dword v5, v[2:3], off
	s_waitcnt vmcnt(1)
	v_subrev_u32_e32 v29, s10, v4
	s_waitcnt vmcnt(0)
	v_add_u32_e32 v16, v5, v26
	v_cmp_lt_i32_e32 vcc, v16, v29
	s_and_saveexec_b64 s[12:13], vcc
	s_cbranch_execz .LBB109_6
; %bb.8:                                ;   in Loop: Header=BB109_7 Depth=1
	v_lshlrev_b64 v[0:1], 4, v[14:15]
	v_mov_b32_e32 v2, s25
	v_add_co_u32_e32 v0, vcc, s24, v0
	v_addc_co_u32_e32 v1, vcc, v2, v1, vcc
	global_load_dwordx4 v[0:3], v[0:1], off
	s_mov_b64 s[14:15], 0
	s_waitcnt vmcnt(0)
	v_mul_f64 v[18:19], v[2:3], -v[10:11]
	v_mul_f64 v[20:21], v[8:9], v[2:3]
	v_fmac_f64_e32 v[18:19], v[8:9], v[0:1]
	v_fmac_f64_e32 v[20:21], v[10:11], v[0:1]
.LBB109_9:                              ;   Parent Loop BB109_7 Depth=1
                                        ; =>  This Loop Header: Depth=2
                                        ;       Child Loop BB109_10 Depth 3
                                        ;       Child Loop BB109_12 Depth 3
	v_ashrrev_i32_e32 v17, 31, v16
	v_lshlrev_b64 v[0:1], 2, v[16:17]
	v_mov_b32_e32 v2, s21
	v_add_co_u32_e32 v0, vcc, s20, v0
	v_addc_co_u32_e32 v1, vcc, v2, v1, vcc
	global_load_dword v4, v[0:1], off
	v_lshlrev_b64 v[0:1], 4, v[16:17]
	v_mov_b32_e32 v2, s23
	v_add_co_u32_e32 v0, vcc, s22, v0
	v_addc_co_u32_e32 v1, vcc, v2, v1, vcc
	global_load_dwordx4 v[0:3], v[0:1], off
	v_mov_b32_e32 v6, s27
	s_mov_b64 s[28:29], 0
	s_waitcnt vmcnt(1)
	v_subrev_u32_e32 v4, s10, v4
	v_ashrrev_i32_e32 v5, 31, v4
	v_lshlrev_b64 v[4:5], 4, v[4:5]
	v_add_co_u32_e32 v22, vcc, s26, v4
	v_addc_co_u32_e32 v23, vcc, v6, v5, vcc
	global_load_dwordx2 v[6:7], v[22:23], off
	s_waitcnt vmcnt(1)
	v_xor_b32_e32 v4, 0x80000000, v3
	v_cndmask_b32_e64 v3, v3, v4, s[0:1]
	v_mul_f64 v[24:25], v[2:3], -v[20:21]
	v_fmac_f64_e32 v[24:25], v[18:19], v[0:1]
.LBB109_10:                             ;   Parent Loop BB109_7 Depth=1
                                        ;     Parent Loop BB109_9 Depth=2
                                        ; =>    This Inner Loop Header: Depth=3
	s_waitcnt vmcnt(0)
	v_add_f64 v[4:5], v[6:7], v[24:25]
	global_atomic_cmpswap_x2 v[4:5], v[22:23], v[4:7], off glc
	s_waitcnt vmcnt(0)
	v_cmp_eq_u64_e32 vcc, v[4:5], v[6:7]
	s_or_b64 s[28:29], vcc, s[28:29]
	v_pk_mov_b32 v[6:7], v[4:5], v[4:5] op_sel:[0,1]
	s_andn2_b64 exec, exec, s[28:29]
	s_cbranch_execnz .LBB109_10
; %bb.11:                               ;   in Loop: Header=BB109_9 Depth=2
	s_or_b64 exec, exec, s[28:29]
	global_load_dwordx2 v[4:5], v[22:23], off offset:8
	v_mul_f64 v[6:7], v[18:19], v[2:3]
	v_fmac_f64_e32 v[6:7], v[20:21], v[0:1]
	s_mov_b64 s[28:29], 0
.LBB109_12:                             ;   Parent Loop BB109_7 Depth=1
                                        ;     Parent Loop BB109_9 Depth=2
                                        ; =>    This Inner Loop Header: Depth=3
	s_waitcnt vmcnt(0)
	v_add_f64 v[2:3], v[4:5], v[6:7]
	global_atomic_cmpswap_x2 v[0:1], v[22:23], v[2:5], off offset:8 glc
	s_waitcnt vmcnt(0)
	v_cmp_eq_u64_e32 vcc, v[0:1], v[4:5]
	s_or_b64 s[28:29], vcc, s[28:29]
	v_pk_mov_b32 v[4:5], v[0:1], v[0:1] op_sel:[0,1]
	s_andn2_b64 exec, exec, s[28:29]
	s_cbranch_execnz .LBB109_12
; %bb.13:                               ;   in Loop: Header=BB109_9 Depth=2
	s_or_b64 exec, exec, s[28:29]
	v_add_u32_e32 v16, 64, v16
	v_cmp_ge_i32_e32 vcc, v16, v29
	s_or_b64 s[14:15], vcc, s[14:15]
	s_andn2_b64 exec, exec, s[14:15]
	s_cbranch_execnz .LBB109_9
	s_branch .LBB109_6
.LBB109_14:
	s_or_b64 exec, exec, s[6:7]
	s_mov_b64 s[6:7], 0
.LBB109_15:
	s_andn2_b64 vcc, exec, s[6:7]
	s_cbranch_vccnz .LBB109_27
; %bb.16:
	s_and_b64 exec, exec, s[2:3]
	s_cbranch_execz .LBB109_27
; %bb.17:
	v_subrev_u32_e32 v24, s10, v13
	s_mov_b64 s[2:3], 0
	v_mov_b32_e32 v25, s17
	v_mov_b32_e32 v26, s19
	s_branch .LBB109_19
.LBB109_18:                             ;   in Loop: Header=BB109_19 Depth=1
	s_or_b64 exec, exec, s[6:7]
	v_add_u32_e32 v12, s4, v12
	v_cmp_le_i32_e32 vcc, s5, v12
	s_or_b64 s[2:3], vcc, s[2:3]
	s_andn2_b64 exec, exec, s[2:3]
	s_cbranch_execz .LBB109_27
.LBB109_19:                             ; =>This Loop Header: Depth=1
                                        ;     Child Loop BB109_22 Depth 2
                                        ;       Child Loop BB109_24 Depth 3
                                        ;       Child Loop BB109_26 Depth 3
	v_ashrrev_i32_e32 v13, 31, v12
	v_lshlrev_b64 v[0:1], 2, v[12:13]
	v_add_co_u32_e32 v2, vcc, s16, v0
	v_addc_co_u32_e32 v3, vcc, v25, v1, vcc
	v_add_co_u32_e32 v0, vcc, s18, v0
	v_addc_co_u32_e32 v1, vcc, v26, v1, vcc
	global_load_dword v4, v[0:1], off
	global_load_dword v5, v[2:3], off
	s_waitcnt vmcnt(1)
	v_subrev_u32_e32 v27, s10, v4
	s_waitcnt vmcnt(0)
	v_add_u32_e32 v14, v5, v24
	v_cmp_lt_i32_e32 vcc, v14, v27
	s_and_saveexec_b64 s[6:7], vcc
	s_cbranch_execz .LBB109_18
; %bb.20:                               ;   in Loop: Header=BB109_19 Depth=1
	v_lshlrev_b64 v[0:1], 4, v[12:13]
	v_mov_b32_e32 v2, s25
	v_add_co_u32_e32 v0, vcc, s24, v0
	v_addc_co_u32_e32 v1, vcc, v2, v1, vcc
	global_load_dwordx4 v[0:3], v[0:1], off
	s_mov_b64 s[8:9], 0
	s_waitcnt vmcnt(0)
	v_mul_f64 v[16:17], v[2:3], -v[10:11]
	v_mul_f64 v[18:19], v[8:9], v[2:3]
	v_fmac_f64_e32 v[16:17], v[8:9], v[0:1]
	v_fmac_f64_e32 v[18:19], v[10:11], v[0:1]
	s_branch .LBB109_22
.LBB109_21:                             ;   in Loop: Header=BB109_22 Depth=2
	s_or_b64 exec, exec, s[12:13]
	v_add_u32_e32 v14, 64, v14
	v_cmp_ge_i32_e32 vcc, v14, v27
	s_or_b64 s[8:9], vcc, s[8:9]
	s_andn2_b64 exec, exec, s[8:9]
	s_cbranch_execz .LBB109_18
.LBB109_22:                             ;   Parent Loop BB109_19 Depth=1
                                        ; =>  This Loop Header: Depth=2
                                        ;       Child Loop BB109_24 Depth 3
                                        ;       Child Loop BB109_26 Depth 3
	v_ashrrev_i32_e32 v15, 31, v14
	v_lshlrev_b64 v[0:1], 2, v[14:15]
	v_mov_b32_e32 v2, s21
	v_add_co_u32_e32 v0, vcc, s20, v0
	v_addc_co_u32_e32 v1, vcc, v2, v1, vcc
	global_load_dword v0, v[0:1], off
	s_waitcnt vmcnt(0)
	v_subrev_u32_e32 v4, s10, v0
	v_cmp_ne_u32_e32 vcc, v4, v12
	s_and_saveexec_b64 s[12:13], vcc
	s_cbranch_execz .LBB109_21
; %bb.23:                               ;   in Loop: Header=BB109_22 Depth=2
	v_lshlrev_b64 v[0:1], 4, v[14:15]
	v_mov_b32_e32 v2, s23
	v_add_co_u32_e32 v0, vcc, s22, v0
	v_addc_co_u32_e32 v1, vcc, v2, v1, vcc
	global_load_dwordx4 v[0:3], v[0:1], off
	v_ashrrev_i32_e32 v5, 31, v4
	v_lshlrev_b64 v[4:5], 4, v[4:5]
	v_mov_b32_e32 v6, s27
	v_add_co_u32_e32 v20, vcc, s26, v4
	v_addc_co_u32_e32 v21, vcc, v6, v5, vcc
	global_load_dwordx2 v[6:7], v[20:21], off
	s_mov_b64 s[14:15], 0
	s_waitcnt vmcnt(1)
	v_xor_b32_e32 v4, 0x80000000, v3
	v_cndmask_b32_e64 v3, v3, v4, s[0:1]
	v_mul_f64 v[22:23], v[2:3], -v[18:19]
	v_fmac_f64_e32 v[22:23], v[16:17], v[0:1]
.LBB109_24:                             ;   Parent Loop BB109_19 Depth=1
                                        ;     Parent Loop BB109_22 Depth=2
                                        ; =>    This Inner Loop Header: Depth=3
	s_waitcnt vmcnt(0)
	v_add_f64 v[4:5], v[6:7], v[22:23]
	global_atomic_cmpswap_x2 v[4:5], v[20:21], v[4:7], off glc
	s_waitcnt vmcnt(0)
	v_cmp_eq_u64_e32 vcc, v[4:5], v[6:7]
	s_or_b64 s[14:15], vcc, s[14:15]
	v_pk_mov_b32 v[6:7], v[4:5], v[4:5] op_sel:[0,1]
	s_andn2_b64 exec, exec, s[14:15]
	s_cbranch_execnz .LBB109_24
; %bb.25:                               ;   in Loop: Header=BB109_22 Depth=2
	s_or_b64 exec, exec, s[14:15]
	global_load_dwordx2 v[4:5], v[20:21], off offset:8
	v_mul_f64 v[6:7], v[16:17], v[2:3]
	v_fmac_f64_e32 v[6:7], v[18:19], v[0:1]
	s_mov_b64 s[14:15], 0
.LBB109_26:                             ;   Parent Loop BB109_19 Depth=1
                                        ;     Parent Loop BB109_22 Depth=2
                                        ; =>    This Inner Loop Header: Depth=3
	s_waitcnt vmcnt(0)
	v_add_f64 v[2:3], v[4:5], v[6:7]
	global_atomic_cmpswap_x2 v[0:1], v[20:21], v[2:5], off offset:8 glc
	s_waitcnt vmcnt(0)
	v_cmp_eq_u64_e32 vcc, v[0:1], v[4:5]
	s_or_b64 s[14:15], vcc, s[14:15]
	v_pk_mov_b32 v[4:5], v[0:1], v[0:1] op_sel:[0,1]
	s_andn2_b64 exec, exec, s[14:15]
	s_cbranch_execnz .LBB109_26
	s_branch .LBB109_21
.LBB109_27:
	s_endpgm
	.section	.rodata,"a",@progbits
	.p2align	6, 0x0
	.amdhsa_kernel _ZN9rocsparseL21csrmvt_general_kernelILj256ELj64Eii21rocsparse_complex_numIdES2_S2_S2_EEvbbT2_NS_24const_host_device_scalarIT6_EEPKT1_S9_PKS3_PKT3_PKT4_PT5_21rocsparse_index_base_b
		.amdhsa_group_segment_fixed_size 2048
		.amdhsa_private_segment_fixed_size 0
		.amdhsa_kernarg_size 336
		.amdhsa_user_sgpr_count 8
		.amdhsa_user_sgpr_private_segment_buffer 1
		.amdhsa_user_sgpr_dispatch_ptr 1
		.amdhsa_user_sgpr_queue_ptr 0
		.amdhsa_user_sgpr_kernarg_segment_ptr 1
		.amdhsa_user_sgpr_dispatch_id 0
		.amdhsa_user_sgpr_flat_scratch_init 0
		.amdhsa_user_sgpr_kernarg_preload_length 0
		.amdhsa_user_sgpr_kernarg_preload_offset 0
		.amdhsa_user_sgpr_private_segment_size 0
		.amdhsa_uses_dynamic_stack 0
		.amdhsa_system_sgpr_private_segment_wavefront_offset 0
		.amdhsa_system_sgpr_workgroup_id_x 1
		.amdhsa_system_sgpr_workgroup_id_y 0
		.amdhsa_system_sgpr_workgroup_id_z 0
		.amdhsa_system_sgpr_workgroup_info 0
		.amdhsa_system_vgpr_workitem_id 2
		.amdhsa_next_free_vgpr 30
		.amdhsa_next_free_sgpr 30
		.amdhsa_accum_offset 32
		.amdhsa_reserve_vcc 1
		.amdhsa_reserve_flat_scratch 0
		.amdhsa_float_round_mode_32 0
		.amdhsa_float_round_mode_16_64 0
		.amdhsa_float_denorm_mode_32 3
		.amdhsa_float_denorm_mode_16_64 3
		.amdhsa_dx10_clamp 1
		.amdhsa_ieee_mode 1
		.amdhsa_fp16_overflow 0
		.amdhsa_tg_split 0
		.amdhsa_exception_fp_ieee_invalid_op 0
		.amdhsa_exception_fp_denorm_src 0
		.amdhsa_exception_fp_ieee_div_zero 0
		.amdhsa_exception_fp_ieee_overflow 0
		.amdhsa_exception_fp_ieee_underflow 0
		.amdhsa_exception_fp_ieee_inexact 0
		.amdhsa_exception_int_div_zero 0
	.end_amdhsa_kernel
	.section	.text._ZN9rocsparseL21csrmvt_general_kernelILj256ELj64Eii21rocsparse_complex_numIdES2_S2_S2_EEvbbT2_NS_24const_host_device_scalarIT6_EEPKT1_S9_PKS3_PKT3_PKT4_PT5_21rocsparse_index_base_b,"axG",@progbits,_ZN9rocsparseL21csrmvt_general_kernelILj256ELj64Eii21rocsparse_complex_numIdES2_S2_S2_EEvbbT2_NS_24const_host_device_scalarIT6_EEPKT1_S9_PKS3_PKT3_PKT4_PT5_21rocsparse_index_base_b,comdat
.Lfunc_end109:
	.size	_ZN9rocsparseL21csrmvt_general_kernelILj256ELj64Eii21rocsparse_complex_numIdES2_S2_S2_EEvbbT2_NS_24const_host_device_scalarIT6_EEPKT1_S9_PKS3_PKT3_PKT4_PT5_21rocsparse_index_base_b, .Lfunc_end109-_ZN9rocsparseL21csrmvt_general_kernelILj256ELj64Eii21rocsparse_complex_numIdES2_S2_S2_EEvbbT2_NS_24const_host_device_scalarIT6_EEPKT1_S9_PKS3_PKT3_PKT4_PT5_21rocsparse_index_base_b
                                        ; -- End function
	.section	.AMDGPU.csdata,"",@progbits
; Kernel info:
; codeLenInByte = 1268
; NumSgprs: 34
; NumVgprs: 30
; NumAgprs: 0
; TotalNumVgprs: 30
; ScratchSize: 0
; MemoryBound: 0
; FloatMode: 240
; IeeeMode: 1
; LDSByteSize: 2048 bytes/workgroup (compile time only)
; SGPRBlocks: 4
; VGPRBlocks: 3
; NumSGPRsForWavesPerEU: 34
; NumVGPRsForWavesPerEU: 30
; AccumOffset: 32
; Occupancy: 8
; WaveLimiterHint : 1
; COMPUTE_PGM_RSRC2:SCRATCH_EN: 0
; COMPUTE_PGM_RSRC2:USER_SGPR: 8
; COMPUTE_PGM_RSRC2:TRAP_HANDLER: 0
; COMPUTE_PGM_RSRC2:TGID_X_EN: 1
; COMPUTE_PGM_RSRC2:TGID_Y_EN: 0
; COMPUTE_PGM_RSRC2:TGID_Z_EN: 0
; COMPUTE_PGM_RSRC2:TIDIG_COMP_CNT: 2
; COMPUTE_PGM_RSRC3_GFX90A:ACCUM_OFFSET: 7
; COMPUTE_PGM_RSRC3_GFX90A:TG_SPLIT: 0
	.section	.text._ZN9rocsparseL21csrmvn_general_kernelILj256ELj2Eli21rocsparse_complex_numIdES2_S2_S2_EEvbT2_NS_24const_host_device_scalarIT6_EEPKT1_S9_PKS3_PKT3_PKT4_S6_PT5_21rocsparse_index_base_b,"axG",@progbits,_ZN9rocsparseL21csrmvn_general_kernelILj256ELj2Eli21rocsparse_complex_numIdES2_S2_S2_EEvbT2_NS_24const_host_device_scalarIT6_EEPKT1_S9_PKS3_PKT3_PKT4_S6_PT5_21rocsparse_index_base_b,comdat
	.globl	_ZN9rocsparseL21csrmvn_general_kernelILj256ELj2Eli21rocsparse_complex_numIdES2_S2_S2_EEvbT2_NS_24const_host_device_scalarIT6_EEPKT1_S9_PKS3_PKT3_PKT4_S6_PT5_21rocsparse_index_base_b ; -- Begin function _ZN9rocsparseL21csrmvn_general_kernelILj256ELj2Eli21rocsparse_complex_numIdES2_S2_S2_EEvbT2_NS_24const_host_device_scalarIT6_EEPKT1_S9_PKS3_PKT3_PKT4_S6_PT5_21rocsparse_index_base_b
	.p2align	8
	.type	_ZN9rocsparseL21csrmvn_general_kernelILj256ELj2Eli21rocsparse_complex_numIdES2_S2_S2_EEvbT2_NS_24const_host_device_scalarIT6_EEPKT1_S9_PKS3_PKT3_PKT4_S6_PT5_21rocsparse_index_base_b,@function
_ZN9rocsparseL21csrmvn_general_kernelILj256ELj2Eli21rocsparse_complex_numIdES2_S2_S2_EEvbT2_NS_24const_host_device_scalarIT6_EEPKT1_S9_PKS3_PKT3_PKT4_S6_PT5_21rocsparse_index_base_b: ; @_ZN9rocsparseL21csrmvn_general_kernelILj256ELj2Eli21rocsparse_complex_numIdES2_S2_S2_EEvbT2_NS_24const_host_device_scalarIT6_EEPKT1_S9_PKS3_PKT3_PKT4_S6_PT5_21rocsparse_index_base_b
; %bb.0:
	s_load_dwordx2 s[24:25], s[6:7], 0x58
	s_load_dwordx8 s[12:19], s[6:7], 0x8
	s_load_dwordx4 s[20:23], s[6:7], 0x40
	s_mov_b64 s[2:3], src_shared_base
	s_load_dwordx2 s[4:5], s[4:5], 0x4
	s_waitcnt lgkmcnt(0)
	s_bitcmp1_b32 s25, 0
	s_cselect_b64 s[0:1], -1, 0
	s_and_b64 vcc, s[0:1], exec
	s_cselect_b32 s2, s3, s13
	s_lshr_b32 s4, s4, 16
	v_and_b32_e32 v1, 0x3ff, v0
	s_mul_i32 s4, s4, s5
	v_mul_lo_u32 v2, s4, v1
	v_bfe_u32 v3, v0, 10, 10
	v_mad_u32_u24 v2, v3, s5, v2
	v_bfe_u32 v0, v0, 20, 10
	v_add_lshl_u32 v0, v2, v0, 3
	v_mov_b32_e32 v6, s12
	v_add_u32_e32 v7, 0x800, v0
	v_pk_mov_b32 v[2:3], s[12:13], s[12:13] op_sel:[0,1]
	v_pk_mov_b32 v[4:5], s[20:21], s[20:21] op_sel:[0,1]
	ds_write2st64_b64 v0, v[4:5], v[2:3] offset1:4
	v_cndmask_b32_e64 v2, v6, v7, s[0:1]
	v_mov_b32_e32 v3, s2
	flat_load_dwordx2 v[4:5], v[2:3]
	s_xor_b64 s[4:5], s[0:1], -1
	v_pk_mov_b32 v[6:7], s[14:15], s[14:15] op_sel:[0,1]
	s_cbranch_vccnz .LBB110_2
; %bb.1:
	v_pk_mov_b32 v[2:3], s[12:13], s[12:13] op_sel:[0,1]
	flat_load_dwordx2 v[6:7], v[2:3] offset:8
.LBB110_2:
	s_and_b64 s[10:11], s[0:1], exec
	s_cselect_b32 s2, s3, s21
	v_mov_b32_e32 v2, s20
	v_cndmask_b32_e64 v2, v2, v0, s[0:1]
	v_mov_b32_e32 v3, s2
	flat_load_dwordx2 v[8:9], v[2:3]
	s_andn2_b64 vcc, exec, s[4:5]
	v_pk_mov_b32 v[10:11], s[22:23], s[22:23] op_sel:[0,1]
	s_cbranch_vccnz .LBB110_4
; %bb.3:
	v_pk_mov_b32 v[2:3], s[20:21], s[20:21] op_sel:[0,1]
	flat_load_dwordx2 v[10:11], v[2:3] offset:8
.LBB110_4:
	s_waitcnt vmcnt(0) lgkmcnt(0)
	v_cmp_eq_f64_e32 vcc, 0, v[4:5]
	v_cmp_eq_f64_e64 s[0:1], 0, v[6:7]
	s_and_b64 s[4:5], vcc, s[0:1]
	s_mov_b64 s[0:1], -1
	s_and_saveexec_b64 s[2:3], s[4:5]
; %bb.5:
	v_cmp_neq_f64_e32 vcc, 1.0, v[8:9]
	v_cmp_neq_f64_e64 s[0:1], 0, v[10:11]
	s_or_b64 s[0:1], vcc, s[0:1]
	s_orn2_b64 s[0:1], s[0:1], exec
; %bb.6:
	s_or_b64 exec, exec, s[2:3]
	s_and_saveexec_b64 s[2:3], s[0:1]
	s_cbranch_execz .LBB110_18
; %bb.7:
	s_load_dwordx2 s[12:13], s[6:7], 0x0
	v_lshl_or_b32 v0, s8, 8, v1
	v_lshrrev_b32_e32 v12, 1, v0
	s_waitcnt lgkmcnt(0)
	v_cmp_gt_i32_e32 vcc, s13, v12
	s_and_b64 exec, exec, vcc
	s_cbranch_execz .LBB110_18
; %bb.8:
	s_load_dword s0, s[6:7], 0x60
	s_load_dwordx2 s[14:15], s[6:7], 0x50
	s_load_dwordx4 s[8:11], s[6:7], 0x28
	s_load_dwordx2 s[2:3], s[6:7], 0x38
	v_and_b32_e32 v0, 1, v1
	s_waitcnt lgkmcnt(0)
	s_lshl_b32 s22, s0, 7
	v_subrev_co_u32_e64 v22, s[0:1], s24, v0
	s_bitcmp1_b32 s12, 0
	v_subb_co_u32_e64 v23, s[0:1], 0, 0, s[0:1]
	s_cselect_b64 vcc, -1, 0
	s_ashr_i32 s1, s24, 31
	s_mov_b32 s0, s24
	s_lshl_b64 s[0:1], s[0:1], 4
	s_sub_u32 s12, s2, s0
	s_subb_u32 s21, s3, s1
	v_cmp_neq_f64_e64 s[2:3], 0, v[8:9]
	v_cmp_neq_f64_e64 s[4:5], 0, v[10:11]
	s_or_b64 s[4:5], s[2:3], s[4:5]
	s_mov_b32 s20, 0
	s_add_u32 s23, s10, 8
	v_cmp_eq_u32_e64 s[0:1], 1, v0
	s_mov_b64 s[6:7], 0
	s_addc_u32 s25, s11, 0
	v_mov_b32_e32 v24, s17
	v_mov_b32_e32 v25, s19
	;; [unrolled: 1-line block ×4, first 2 shown]
	s_branch .LBB110_11
.LBB110_9:                              ;   in Loop: Header=BB110_11 Depth=1
	s_or_b64 exec, exec, s[2:3]
	global_store_dwordx4 v[14:15], v[0:3], off
.LBB110_10:                             ;   in Loop: Header=BB110_11 Depth=1
	s_or_b64 exec, exec, s[10:11]
	v_add_u32_e32 v12, s22, v12
	v_cmp_le_i32_e64 s[2:3], s13, v12
	s_or_b64 s[6:7], s[2:3], s[6:7]
	s_andn2_b64 exec, exec, s[6:7]
	s_cbranch_execz .LBB110_18
.LBB110_11:                             ; =>This Loop Header: Depth=1
                                        ;     Child Loop BB110_13 Depth 2
	v_ashrrev_i32_e32 v13, 31, v12
	v_lshlrev_b64 v[0:1], 3, v[12:13]
	v_add_co_u32_e64 v2, s[2:3], s18, v0
	v_addc_co_u32_e64 v3, s[2:3], v25, v1, s[2:3]
	global_load_dwordx2 v[14:15], v[2:3], off
	v_add_co_u32_e64 v0, s[2:3], s16, v0
	v_addc_co_u32_e64 v1, s[2:3], v24, v1, s[2:3]
	global_load_dwordx2 v[16:17], v[0:1], off
	v_pk_mov_b32 v[2:3], 0, 0
	s_waitcnt vmcnt(1)
	v_subrev_co_u32_e64 v0, s[2:3], s24, v14
	v_subb_co_u32_e64 v1, s[2:3], v15, v26, s[2:3]
	s_waitcnt vmcnt(0)
	v_add_co_u32_e64 v14, s[2:3], v16, v22
	v_addc_co_u32_e64 v15, s[2:3], v17, v23, s[2:3]
	v_cmp_lt_i64_e64 s[2:3], v[14:15], v[0:1]
	v_pk_mov_b32 v[16:17], v[2:3], v[2:3] op_sel:[0,1]
	s_and_saveexec_b64 s[10:11], s[2:3]
	s_cbranch_execz .LBB110_15
; %bb.12:                               ;   in Loop: Header=BB110_11 Depth=1
	v_lshlrev_b64 v[2:3], 4, v[14:15]
	v_mov_b32_e32 v16, s25
	v_add_co_u32_e64 v18, s[2:3], s23, v2
	v_addc_co_u32_e64 v19, s[2:3], v16, v3, s[2:3]
	v_lshlrev_b64 v[2:3], 2, v[14:15]
	v_mov_b32_e32 v16, s9
	v_add_co_u32_e64 v20, s[2:3], s8, v2
	v_addc_co_u32_e64 v21, s[2:3], v16, v3, s[2:3]
	v_pk_mov_b32 v[2:3], 0, 0
	s_mov_b64 s[20:21], 0
	v_pk_mov_b32 v[16:17], v[2:3], v[2:3] op_sel:[0,1]
.LBB110_13:                             ;   Parent Loop BB110_11 Depth=1
                                        ; =>  This Inner Loop Header: Depth=2
	global_load_dword v32, v[20:21], off
	global_load_dwordx4 v[28:31], v[18:19], off offset:-8
	s_waitcnt vmcnt(1)
	v_ashrrev_i32_e32 v33, 31, v32
	v_lshlrev_b64 v[32:33], 4, v[32:33]
	v_add_co_u32_e64 v32, s[2:3], s12, v32
	v_addc_co_u32_e64 v33, s[2:3], v27, v33, s[2:3]
	global_load_dwordx4 v[32:35], v[32:33], off
	v_add_co_u32_e64 v14, s[2:3], 2, v14
	v_addc_co_u32_e64 v15, s[2:3], 0, v15, s[2:3]
	v_add_co_u32_e64 v18, s[2:3], 32, v18
	s_waitcnt vmcnt(1)
	v_xor_b32_e32 v36, 0x80000000, v31
	v_addc_co_u32_e64 v19, s[2:3], 0, v19, s[2:3]
	v_cndmask_b32_e32 v31, v31, v36, vcc
	v_add_co_u32_e64 v20, s[2:3], 8, v20
	v_mul_f64 v[36:37], v[30:31], -v[6:7]
	v_mul_f64 v[30:31], v[4:5], v[30:31]
	v_addc_co_u32_e64 v21, s[2:3], 0, v21, s[2:3]
	v_fmac_f64_e32 v[36:37], v[4:5], v[28:29]
	v_fmac_f64_e32 v[30:31], v[6:7], v[28:29]
	v_cmp_ge_i64_e64 s[2:3], v[14:15], v[0:1]
	s_or_b64 s[20:21], s[2:3], s[20:21]
	s_waitcnt vmcnt(0)
	v_fmac_f64_e32 v[16:17], v[36:37], v[32:33]
	v_fmac_f64_e32 v[2:3], v[30:31], v[32:33]
	v_fma_f64 v[16:17], -v[30:31], v[34:35], v[16:17]
	v_fmac_f64_e32 v[2:3], v[36:37], v[34:35]
	s_andn2_b64 exec, exec, s[20:21]
	s_cbranch_execnz .LBB110_13
; %bb.14:                               ;   in Loop: Header=BB110_11 Depth=1
	s_or_b64 exec, exec, s[20:21]
.LBB110_15:                             ;   in Loop: Header=BB110_11 Depth=1
	s_or_b64 exec, exec, s[10:11]
	v_mov_b32_dpp v0, v16 row_shr:1 row_mask:0xf bank_mask:0xf
	v_mov_b32_dpp v1, v17 row_shr:1 row_mask:0xf bank_mask:0xf
	v_mov_b32_dpp v14, v2 row_shr:1 row_mask:0xf bank_mask:0xf
	v_mov_b32_dpp v15, v3 row_shr:1 row_mask:0xf bank_mask:0xf
	s_and_saveexec_b64 s[10:11], s[0:1]
	s_cbranch_execz .LBB110_10
; %bb.16:                               ;   in Loop: Header=BB110_11 Depth=1
	v_add_f64 v[2:3], v[2:3], v[14:15]
	v_lshlrev_b64 v[14:15], 4, v[12:13]
	v_mov_b32_e32 v13, s15
	v_add_co_u32_e64 v14, s[2:3], s14, v14
	v_add_f64 v[0:1], v[16:17], v[0:1]
	v_addc_co_u32_e64 v15, s[2:3], v13, v15, s[2:3]
	s_and_saveexec_b64 s[2:3], s[4:5]
	s_cbranch_execz .LBB110_9
; %bb.17:                               ;   in Loop: Header=BB110_11 Depth=1
	global_load_dwordx4 v[16:19], v[14:15], off
	s_waitcnt vmcnt(0)
	v_fmac_f64_e32 v[0:1], v[8:9], v[16:17]
	v_fmac_f64_e32 v[2:3], v[10:11], v[16:17]
	v_fma_f64 v[0:1], -v[10:11], v[18:19], v[0:1]
	v_fmac_f64_e32 v[2:3], v[8:9], v[18:19]
	s_branch .LBB110_9
.LBB110_18:
	s_endpgm
	.section	.rodata,"a",@progbits
	.p2align	6, 0x0
	.amdhsa_kernel _ZN9rocsparseL21csrmvn_general_kernelILj256ELj2Eli21rocsparse_complex_numIdES2_S2_S2_EEvbT2_NS_24const_host_device_scalarIT6_EEPKT1_S9_PKS3_PKT3_PKT4_S6_PT5_21rocsparse_index_base_b
		.amdhsa_group_segment_fixed_size 4096
		.amdhsa_private_segment_fixed_size 0
		.amdhsa_kernarg_size 352
		.amdhsa_user_sgpr_count 8
		.amdhsa_user_sgpr_private_segment_buffer 1
		.amdhsa_user_sgpr_dispatch_ptr 1
		.amdhsa_user_sgpr_queue_ptr 0
		.amdhsa_user_sgpr_kernarg_segment_ptr 1
		.amdhsa_user_sgpr_dispatch_id 0
		.amdhsa_user_sgpr_flat_scratch_init 0
		.amdhsa_user_sgpr_kernarg_preload_length 0
		.amdhsa_user_sgpr_kernarg_preload_offset 0
		.amdhsa_user_sgpr_private_segment_size 0
		.amdhsa_uses_dynamic_stack 0
		.amdhsa_system_sgpr_private_segment_wavefront_offset 0
		.amdhsa_system_sgpr_workgroup_id_x 1
		.amdhsa_system_sgpr_workgroup_id_y 0
		.amdhsa_system_sgpr_workgroup_id_z 0
		.amdhsa_system_sgpr_workgroup_info 0
		.amdhsa_system_vgpr_workitem_id 2
		.amdhsa_next_free_vgpr 38
		.amdhsa_next_free_sgpr 26
		.amdhsa_accum_offset 40
		.amdhsa_reserve_vcc 1
		.amdhsa_reserve_flat_scratch 0
		.amdhsa_float_round_mode_32 0
		.amdhsa_float_round_mode_16_64 0
		.amdhsa_float_denorm_mode_32 3
		.amdhsa_float_denorm_mode_16_64 3
		.amdhsa_dx10_clamp 1
		.amdhsa_ieee_mode 1
		.amdhsa_fp16_overflow 0
		.amdhsa_tg_split 0
		.amdhsa_exception_fp_ieee_invalid_op 0
		.amdhsa_exception_fp_denorm_src 0
		.amdhsa_exception_fp_ieee_div_zero 0
		.amdhsa_exception_fp_ieee_overflow 0
		.amdhsa_exception_fp_ieee_underflow 0
		.amdhsa_exception_fp_ieee_inexact 0
		.amdhsa_exception_int_div_zero 0
	.end_amdhsa_kernel
	.section	.text._ZN9rocsparseL21csrmvn_general_kernelILj256ELj2Eli21rocsparse_complex_numIdES2_S2_S2_EEvbT2_NS_24const_host_device_scalarIT6_EEPKT1_S9_PKS3_PKT3_PKT4_S6_PT5_21rocsparse_index_base_b,"axG",@progbits,_ZN9rocsparseL21csrmvn_general_kernelILj256ELj2Eli21rocsparse_complex_numIdES2_S2_S2_EEvbT2_NS_24const_host_device_scalarIT6_EEPKT1_S9_PKS3_PKT3_PKT4_S6_PT5_21rocsparse_index_base_b,comdat
.Lfunc_end110:
	.size	_ZN9rocsparseL21csrmvn_general_kernelILj256ELj2Eli21rocsparse_complex_numIdES2_S2_S2_EEvbT2_NS_24const_host_device_scalarIT6_EEPKT1_S9_PKS3_PKT3_PKT4_S6_PT5_21rocsparse_index_base_b, .Lfunc_end110-_ZN9rocsparseL21csrmvn_general_kernelILj256ELj2Eli21rocsparse_complex_numIdES2_S2_S2_EEvbT2_NS_24const_host_device_scalarIT6_EEPKT1_S9_PKS3_PKT3_PKT4_S6_PT5_21rocsparse_index_base_b
                                        ; -- End function
	.section	.AMDGPU.csdata,"",@progbits
; Kernel info:
; codeLenInByte = 1088
; NumSgprs: 30
; NumVgprs: 38
; NumAgprs: 0
; TotalNumVgprs: 38
; ScratchSize: 0
; MemoryBound: 0
; FloatMode: 240
; IeeeMode: 1
; LDSByteSize: 4096 bytes/workgroup (compile time only)
; SGPRBlocks: 3
; VGPRBlocks: 4
; NumSGPRsForWavesPerEU: 30
; NumVGPRsForWavesPerEU: 38
; AccumOffset: 40
; Occupancy: 8
; WaveLimiterHint : 1
; COMPUTE_PGM_RSRC2:SCRATCH_EN: 0
; COMPUTE_PGM_RSRC2:USER_SGPR: 8
; COMPUTE_PGM_RSRC2:TRAP_HANDLER: 0
; COMPUTE_PGM_RSRC2:TGID_X_EN: 1
; COMPUTE_PGM_RSRC2:TGID_Y_EN: 0
; COMPUTE_PGM_RSRC2:TGID_Z_EN: 0
; COMPUTE_PGM_RSRC2:TIDIG_COMP_CNT: 2
; COMPUTE_PGM_RSRC3_GFX90A:ACCUM_OFFSET: 9
; COMPUTE_PGM_RSRC3_GFX90A:TG_SPLIT: 0
	.section	.text._ZN9rocsparseL21csrmvn_general_kernelILj256ELj4Eli21rocsparse_complex_numIdES2_S2_S2_EEvbT2_NS_24const_host_device_scalarIT6_EEPKT1_S9_PKS3_PKT3_PKT4_S6_PT5_21rocsparse_index_base_b,"axG",@progbits,_ZN9rocsparseL21csrmvn_general_kernelILj256ELj4Eli21rocsparse_complex_numIdES2_S2_S2_EEvbT2_NS_24const_host_device_scalarIT6_EEPKT1_S9_PKS3_PKT3_PKT4_S6_PT5_21rocsparse_index_base_b,comdat
	.globl	_ZN9rocsparseL21csrmvn_general_kernelILj256ELj4Eli21rocsparse_complex_numIdES2_S2_S2_EEvbT2_NS_24const_host_device_scalarIT6_EEPKT1_S9_PKS3_PKT3_PKT4_S6_PT5_21rocsparse_index_base_b ; -- Begin function _ZN9rocsparseL21csrmvn_general_kernelILj256ELj4Eli21rocsparse_complex_numIdES2_S2_S2_EEvbT2_NS_24const_host_device_scalarIT6_EEPKT1_S9_PKS3_PKT3_PKT4_S6_PT5_21rocsparse_index_base_b
	.p2align	8
	.type	_ZN9rocsparseL21csrmvn_general_kernelILj256ELj4Eli21rocsparse_complex_numIdES2_S2_S2_EEvbT2_NS_24const_host_device_scalarIT6_EEPKT1_S9_PKS3_PKT3_PKT4_S6_PT5_21rocsparse_index_base_b,@function
_ZN9rocsparseL21csrmvn_general_kernelILj256ELj4Eli21rocsparse_complex_numIdES2_S2_S2_EEvbT2_NS_24const_host_device_scalarIT6_EEPKT1_S9_PKS3_PKT3_PKT4_S6_PT5_21rocsparse_index_base_b: ; @_ZN9rocsparseL21csrmvn_general_kernelILj256ELj4Eli21rocsparse_complex_numIdES2_S2_S2_EEvbT2_NS_24const_host_device_scalarIT6_EEPKT1_S9_PKS3_PKT3_PKT4_S6_PT5_21rocsparse_index_base_b
; %bb.0:
	s_load_dwordx2 s[24:25], s[6:7], 0x58
	s_load_dwordx8 s[12:19], s[6:7], 0x8
	s_load_dwordx4 s[20:23], s[6:7], 0x40
	s_mov_b64 s[2:3], src_shared_base
	s_load_dwordx2 s[4:5], s[4:5], 0x4
	s_waitcnt lgkmcnt(0)
	s_bitcmp1_b32 s25, 0
	s_cselect_b64 s[0:1], -1, 0
	s_and_b64 vcc, s[0:1], exec
	s_cselect_b32 s2, s3, s13
	s_lshr_b32 s4, s4, 16
	v_and_b32_e32 v1, 0x3ff, v0
	s_mul_i32 s4, s4, s5
	v_mul_lo_u32 v2, s4, v1
	v_bfe_u32 v3, v0, 10, 10
	v_mad_u32_u24 v2, v3, s5, v2
	v_bfe_u32 v0, v0, 20, 10
	v_add_lshl_u32 v0, v2, v0, 3
	v_mov_b32_e32 v6, s12
	v_add_u32_e32 v7, 0x800, v0
	v_pk_mov_b32 v[2:3], s[12:13], s[12:13] op_sel:[0,1]
	v_pk_mov_b32 v[4:5], s[20:21], s[20:21] op_sel:[0,1]
	ds_write2st64_b64 v0, v[4:5], v[2:3] offset1:4
	v_cndmask_b32_e64 v2, v6, v7, s[0:1]
	v_mov_b32_e32 v3, s2
	flat_load_dwordx2 v[4:5], v[2:3]
	s_xor_b64 s[4:5], s[0:1], -1
	v_pk_mov_b32 v[6:7], s[14:15], s[14:15] op_sel:[0,1]
	s_cbranch_vccnz .LBB111_2
; %bb.1:
	v_pk_mov_b32 v[2:3], s[12:13], s[12:13] op_sel:[0,1]
	flat_load_dwordx2 v[6:7], v[2:3] offset:8
.LBB111_2:
	s_and_b64 s[10:11], s[0:1], exec
	s_cselect_b32 s2, s3, s21
	v_mov_b32_e32 v2, s20
	v_cndmask_b32_e64 v2, v2, v0, s[0:1]
	v_mov_b32_e32 v3, s2
	flat_load_dwordx2 v[8:9], v[2:3]
	s_andn2_b64 vcc, exec, s[4:5]
	v_pk_mov_b32 v[10:11], s[22:23], s[22:23] op_sel:[0,1]
	s_cbranch_vccnz .LBB111_4
; %bb.3:
	v_pk_mov_b32 v[2:3], s[20:21], s[20:21] op_sel:[0,1]
	flat_load_dwordx2 v[10:11], v[2:3] offset:8
.LBB111_4:
	s_waitcnt vmcnt(0) lgkmcnt(0)
	v_cmp_eq_f64_e32 vcc, 0, v[4:5]
	v_cmp_eq_f64_e64 s[0:1], 0, v[6:7]
	s_and_b64 s[4:5], vcc, s[0:1]
	s_mov_b64 s[0:1], -1
	s_and_saveexec_b64 s[2:3], s[4:5]
; %bb.5:
	v_cmp_neq_f64_e32 vcc, 1.0, v[8:9]
	v_cmp_neq_f64_e64 s[0:1], 0, v[10:11]
	s_or_b64 s[0:1], vcc, s[0:1]
	s_orn2_b64 s[0:1], s[0:1], exec
; %bb.6:
	s_or_b64 exec, exec, s[2:3]
	s_and_saveexec_b64 s[2:3], s[0:1]
	s_cbranch_execz .LBB111_18
; %bb.7:
	s_load_dwordx2 s[12:13], s[6:7], 0x0
	v_lshl_or_b32 v0, s8, 8, v1
	v_lshrrev_b32_e32 v12, 2, v0
	s_waitcnt lgkmcnt(0)
	v_cmp_gt_i32_e32 vcc, s13, v12
	s_and_b64 exec, exec, vcc
	s_cbranch_execz .LBB111_18
; %bb.8:
	s_load_dword s0, s[6:7], 0x60
	s_load_dwordx2 s[14:15], s[6:7], 0x50
	s_load_dwordx4 s[8:11], s[6:7], 0x28
	s_load_dwordx2 s[2:3], s[6:7], 0x38
	v_and_b32_e32 v0, 3, v1
	s_waitcnt lgkmcnt(0)
	s_lshl_b32 s22, s0, 6
	v_subrev_co_u32_e64 v22, s[0:1], s24, v0
	s_bitcmp1_b32 s12, 0
	v_subb_co_u32_e64 v23, s[0:1], 0, 0, s[0:1]
	s_cselect_b64 vcc, -1, 0
	s_ashr_i32 s1, s24, 31
	s_mov_b32 s0, s24
	s_lshl_b64 s[0:1], s[0:1], 4
	s_sub_u32 s12, s2, s0
	s_subb_u32 s21, s3, s1
	v_cmp_neq_f64_e64 s[2:3], 0, v[8:9]
	v_cmp_neq_f64_e64 s[4:5], 0, v[10:11]
	s_or_b64 s[4:5], s[2:3], s[4:5]
	s_mov_b32 s20, 0
	s_add_u32 s23, s10, 8
	v_cmp_eq_u32_e64 s[0:1], 3, v0
	s_mov_b64 s[6:7], 0
	s_addc_u32 s25, s11, 0
	v_mov_b32_e32 v24, s17
	v_mov_b32_e32 v25, s19
	;; [unrolled: 1-line block ×4, first 2 shown]
	s_branch .LBB111_11
.LBB111_9:                              ;   in Loop: Header=BB111_11 Depth=1
	s_or_b64 exec, exec, s[2:3]
	global_store_dwordx4 v[14:15], v[0:3], off
.LBB111_10:                             ;   in Loop: Header=BB111_11 Depth=1
	s_or_b64 exec, exec, s[10:11]
	v_add_u32_e32 v12, s22, v12
	v_cmp_le_i32_e64 s[2:3], s13, v12
	s_or_b64 s[6:7], s[2:3], s[6:7]
	s_andn2_b64 exec, exec, s[6:7]
	s_cbranch_execz .LBB111_18
.LBB111_11:                             ; =>This Loop Header: Depth=1
                                        ;     Child Loop BB111_13 Depth 2
	v_ashrrev_i32_e32 v13, 31, v12
	v_lshlrev_b64 v[0:1], 3, v[12:13]
	v_add_co_u32_e64 v2, s[2:3], s18, v0
	v_addc_co_u32_e64 v3, s[2:3], v25, v1, s[2:3]
	global_load_dwordx2 v[2:3], v[2:3], off
	v_add_co_u32_e64 v0, s[2:3], s16, v0
	v_addc_co_u32_e64 v1, s[2:3], v24, v1, s[2:3]
	global_load_dwordx2 v[14:15], v[0:1], off
	v_pk_mov_b32 v[0:1], 0, 0
	v_pk_mov_b32 v[16:17], v[0:1], v[0:1] op_sel:[0,1]
	s_waitcnt vmcnt(1)
	v_subrev_co_u32_e64 v2, s[2:3], s24, v2
	v_subb_co_u32_e64 v3, s[2:3], v3, v26, s[2:3]
	s_waitcnt vmcnt(0)
	v_add_co_u32_e64 v14, s[2:3], v14, v22
	v_addc_co_u32_e64 v15, s[2:3], v15, v23, s[2:3]
	v_cmp_lt_i64_e64 s[2:3], v[14:15], v[2:3]
	s_and_saveexec_b64 s[10:11], s[2:3]
	s_cbranch_execz .LBB111_15
; %bb.12:                               ;   in Loop: Header=BB111_11 Depth=1
	v_lshlrev_b64 v[0:1], 4, v[14:15]
	v_mov_b32_e32 v16, s25
	v_add_co_u32_e64 v18, s[2:3], s23, v0
	v_addc_co_u32_e64 v19, s[2:3], v16, v1, s[2:3]
	v_lshlrev_b64 v[0:1], 2, v[14:15]
	v_mov_b32_e32 v16, s9
	v_add_co_u32_e64 v20, s[2:3], s8, v0
	v_addc_co_u32_e64 v21, s[2:3], v16, v1, s[2:3]
	v_pk_mov_b32 v[0:1], 0, 0
	s_mov_b64 s[20:21], 0
	v_pk_mov_b32 v[16:17], v[0:1], v[0:1] op_sel:[0,1]
.LBB111_13:                             ;   Parent Loop BB111_11 Depth=1
                                        ; =>  This Inner Loop Header: Depth=2
	global_load_dword v32, v[20:21], off
	global_load_dwordx4 v[28:31], v[18:19], off offset:-8
	s_waitcnt vmcnt(1)
	v_ashrrev_i32_e32 v33, 31, v32
	v_lshlrev_b64 v[32:33], 4, v[32:33]
	v_add_co_u32_e64 v32, s[2:3], s12, v32
	v_addc_co_u32_e64 v33, s[2:3], v27, v33, s[2:3]
	global_load_dwordx4 v[32:35], v[32:33], off
	v_add_co_u32_e64 v14, s[2:3], 4, v14
	v_addc_co_u32_e64 v15, s[2:3], 0, v15, s[2:3]
	v_add_co_u32_e64 v18, s[2:3], 64, v18
	s_waitcnt vmcnt(1)
	v_xor_b32_e32 v36, 0x80000000, v31
	v_addc_co_u32_e64 v19, s[2:3], 0, v19, s[2:3]
	v_cndmask_b32_e32 v31, v31, v36, vcc
	v_add_co_u32_e64 v20, s[2:3], 16, v20
	v_mul_f64 v[36:37], v[30:31], -v[6:7]
	v_mul_f64 v[30:31], v[4:5], v[30:31]
	v_addc_co_u32_e64 v21, s[2:3], 0, v21, s[2:3]
	v_fmac_f64_e32 v[36:37], v[4:5], v[28:29]
	v_fmac_f64_e32 v[30:31], v[6:7], v[28:29]
	v_cmp_ge_i64_e64 s[2:3], v[14:15], v[2:3]
	s_or_b64 s[20:21], s[2:3], s[20:21]
	s_waitcnt vmcnt(0)
	v_fmac_f64_e32 v[16:17], v[36:37], v[32:33]
	v_fmac_f64_e32 v[0:1], v[30:31], v[32:33]
	v_fma_f64 v[16:17], -v[30:31], v[34:35], v[16:17]
	v_fmac_f64_e32 v[0:1], v[36:37], v[34:35]
	s_andn2_b64 exec, exec, s[20:21]
	s_cbranch_execnz .LBB111_13
; %bb.14:                               ;   in Loop: Header=BB111_11 Depth=1
	s_or_b64 exec, exec, s[20:21]
.LBB111_15:                             ;   in Loop: Header=BB111_11 Depth=1
	s_or_b64 exec, exec, s[10:11]
	v_mov_b32_dpp v2, v16 row_shr:1 row_mask:0xf bank_mask:0xf
	v_mov_b32_dpp v3, v17 row_shr:1 row_mask:0xf bank_mask:0xf
	v_add_f64 v[2:3], v[16:17], v[2:3]
	v_mov_b32_dpp v16, v0 row_shr:1 row_mask:0xf bank_mask:0xf
	v_mov_b32_dpp v17, v1 row_shr:1 row_mask:0xf bank_mask:0xf
	v_add_f64 v[16:17], v[0:1], v[16:17]
	v_mov_b32_dpp v14, v2 row_shr:2 row_mask:0xf bank_mask:0xf
	v_mov_b32_dpp v15, v3 row_shr:2 row_mask:0xf bank_mask:0xf
	;; [unrolled: 1-line block ×4, first 2 shown]
	s_and_saveexec_b64 s[10:11], s[0:1]
	s_cbranch_execz .LBB111_10
; %bb.16:                               ;   in Loop: Header=BB111_11 Depth=1
	v_add_f64 v[0:1], v[2:3], v[14:15]
	v_lshlrev_b64 v[14:15], 4, v[12:13]
	v_mov_b32_e32 v13, s15
	v_add_co_u32_e64 v14, s[2:3], s14, v14
	v_add_f64 v[2:3], v[16:17], v[18:19]
	v_addc_co_u32_e64 v15, s[2:3], v13, v15, s[2:3]
	s_and_saveexec_b64 s[2:3], s[4:5]
	s_cbranch_execz .LBB111_9
; %bb.17:                               ;   in Loop: Header=BB111_11 Depth=1
	global_load_dwordx4 v[16:19], v[14:15], off
	s_waitcnt vmcnt(0)
	v_fmac_f64_e32 v[0:1], v[8:9], v[16:17]
	v_fmac_f64_e32 v[2:3], v[10:11], v[16:17]
	v_fma_f64 v[0:1], -v[10:11], v[18:19], v[0:1]
	v_fmac_f64_e32 v[2:3], v[8:9], v[18:19]
	s_branch .LBB111_9
.LBB111_18:
	s_endpgm
	.section	.rodata,"a",@progbits
	.p2align	6, 0x0
	.amdhsa_kernel _ZN9rocsparseL21csrmvn_general_kernelILj256ELj4Eli21rocsparse_complex_numIdES2_S2_S2_EEvbT2_NS_24const_host_device_scalarIT6_EEPKT1_S9_PKS3_PKT3_PKT4_S6_PT5_21rocsparse_index_base_b
		.amdhsa_group_segment_fixed_size 4096
		.amdhsa_private_segment_fixed_size 0
		.amdhsa_kernarg_size 352
		.amdhsa_user_sgpr_count 8
		.amdhsa_user_sgpr_private_segment_buffer 1
		.amdhsa_user_sgpr_dispatch_ptr 1
		.amdhsa_user_sgpr_queue_ptr 0
		.amdhsa_user_sgpr_kernarg_segment_ptr 1
		.amdhsa_user_sgpr_dispatch_id 0
		.amdhsa_user_sgpr_flat_scratch_init 0
		.amdhsa_user_sgpr_kernarg_preload_length 0
		.amdhsa_user_sgpr_kernarg_preload_offset 0
		.amdhsa_user_sgpr_private_segment_size 0
		.amdhsa_uses_dynamic_stack 0
		.amdhsa_system_sgpr_private_segment_wavefront_offset 0
		.amdhsa_system_sgpr_workgroup_id_x 1
		.amdhsa_system_sgpr_workgroup_id_y 0
		.amdhsa_system_sgpr_workgroup_id_z 0
		.amdhsa_system_sgpr_workgroup_info 0
		.amdhsa_system_vgpr_workitem_id 2
		.amdhsa_next_free_vgpr 38
		.amdhsa_next_free_sgpr 26
		.amdhsa_accum_offset 40
		.amdhsa_reserve_vcc 1
		.amdhsa_reserve_flat_scratch 0
		.amdhsa_float_round_mode_32 0
		.amdhsa_float_round_mode_16_64 0
		.amdhsa_float_denorm_mode_32 3
		.amdhsa_float_denorm_mode_16_64 3
		.amdhsa_dx10_clamp 1
		.amdhsa_ieee_mode 1
		.amdhsa_fp16_overflow 0
		.amdhsa_tg_split 0
		.amdhsa_exception_fp_ieee_invalid_op 0
		.amdhsa_exception_fp_denorm_src 0
		.amdhsa_exception_fp_ieee_div_zero 0
		.amdhsa_exception_fp_ieee_overflow 0
		.amdhsa_exception_fp_ieee_underflow 0
		.amdhsa_exception_fp_ieee_inexact 0
		.amdhsa_exception_int_div_zero 0
	.end_amdhsa_kernel
	.section	.text._ZN9rocsparseL21csrmvn_general_kernelILj256ELj4Eli21rocsparse_complex_numIdES2_S2_S2_EEvbT2_NS_24const_host_device_scalarIT6_EEPKT1_S9_PKS3_PKT3_PKT4_S6_PT5_21rocsparse_index_base_b,"axG",@progbits,_ZN9rocsparseL21csrmvn_general_kernelILj256ELj4Eli21rocsparse_complex_numIdES2_S2_S2_EEvbT2_NS_24const_host_device_scalarIT6_EEPKT1_S9_PKS3_PKT3_PKT4_S6_PT5_21rocsparse_index_base_b,comdat
.Lfunc_end111:
	.size	_ZN9rocsparseL21csrmvn_general_kernelILj256ELj4Eli21rocsparse_complex_numIdES2_S2_S2_EEvbT2_NS_24const_host_device_scalarIT6_EEPKT1_S9_PKS3_PKT3_PKT4_S6_PT5_21rocsparse_index_base_b, .Lfunc_end111-_ZN9rocsparseL21csrmvn_general_kernelILj256ELj4Eli21rocsparse_complex_numIdES2_S2_S2_EEvbT2_NS_24const_host_device_scalarIT6_EEPKT1_S9_PKS3_PKT3_PKT4_S6_PT5_21rocsparse_index_base_b
                                        ; -- End function
	.section	.AMDGPU.csdata,"",@progbits
; Kernel info:
; codeLenInByte = 1136
; NumSgprs: 30
; NumVgprs: 38
; NumAgprs: 0
; TotalNumVgprs: 38
; ScratchSize: 0
; MemoryBound: 0
; FloatMode: 240
; IeeeMode: 1
; LDSByteSize: 4096 bytes/workgroup (compile time only)
; SGPRBlocks: 3
; VGPRBlocks: 4
; NumSGPRsForWavesPerEU: 30
; NumVGPRsForWavesPerEU: 38
; AccumOffset: 40
; Occupancy: 8
; WaveLimiterHint : 1
; COMPUTE_PGM_RSRC2:SCRATCH_EN: 0
; COMPUTE_PGM_RSRC2:USER_SGPR: 8
; COMPUTE_PGM_RSRC2:TRAP_HANDLER: 0
; COMPUTE_PGM_RSRC2:TGID_X_EN: 1
; COMPUTE_PGM_RSRC2:TGID_Y_EN: 0
; COMPUTE_PGM_RSRC2:TGID_Z_EN: 0
; COMPUTE_PGM_RSRC2:TIDIG_COMP_CNT: 2
; COMPUTE_PGM_RSRC3_GFX90A:ACCUM_OFFSET: 9
; COMPUTE_PGM_RSRC3_GFX90A:TG_SPLIT: 0
	.section	.text._ZN9rocsparseL21csrmvn_general_kernelILj256ELj8Eli21rocsparse_complex_numIdES2_S2_S2_EEvbT2_NS_24const_host_device_scalarIT6_EEPKT1_S9_PKS3_PKT3_PKT4_S6_PT5_21rocsparse_index_base_b,"axG",@progbits,_ZN9rocsparseL21csrmvn_general_kernelILj256ELj8Eli21rocsparse_complex_numIdES2_S2_S2_EEvbT2_NS_24const_host_device_scalarIT6_EEPKT1_S9_PKS3_PKT3_PKT4_S6_PT5_21rocsparse_index_base_b,comdat
	.globl	_ZN9rocsparseL21csrmvn_general_kernelILj256ELj8Eli21rocsparse_complex_numIdES2_S2_S2_EEvbT2_NS_24const_host_device_scalarIT6_EEPKT1_S9_PKS3_PKT3_PKT4_S6_PT5_21rocsparse_index_base_b ; -- Begin function _ZN9rocsparseL21csrmvn_general_kernelILj256ELj8Eli21rocsparse_complex_numIdES2_S2_S2_EEvbT2_NS_24const_host_device_scalarIT6_EEPKT1_S9_PKS3_PKT3_PKT4_S6_PT5_21rocsparse_index_base_b
	.p2align	8
	.type	_ZN9rocsparseL21csrmvn_general_kernelILj256ELj8Eli21rocsparse_complex_numIdES2_S2_S2_EEvbT2_NS_24const_host_device_scalarIT6_EEPKT1_S9_PKS3_PKT3_PKT4_S6_PT5_21rocsparse_index_base_b,@function
_ZN9rocsparseL21csrmvn_general_kernelILj256ELj8Eli21rocsparse_complex_numIdES2_S2_S2_EEvbT2_NS_24const_host_device_scalarIT6_EEPKT1_S9_PKS3_PKT3_PKT4_S6_PT5_21rocsparse_index_base_b: ; @_ZN9rocsparseL21csrmvn_general_kernelILj256ELj8Eli21rocsparse_complex_numIdES2_S2_S2_EEvbT2_NS_24const_host_device_scalarIT6_EEPKT1_S9_PKS3_PKT3_PKT4_S6_PT5_21rocsparse_index_base_b
; %bb.0:
	s_load_dwordx2 s[24:25], s[6:7], 0x58
	s_load_dwordx8 s[12:19], s[6:7], 0x8
	s_load_dwordx4 s[20:23], s[6:7], 0x40
	s_mov_b64 s[2:3], src_shared_base
	s_load_dwordx2 s[4:5], s[4:5], 0x4
	s_waitcnt lgkmcnt(0)
	s_bitcmp1_b32 s25, 0
	s_cselect_b64 s[0:1], -1, 0
	s_and_b64 vcc, s[0:1], exec
	s_cselect_b32 s2, s3, s13
	s_lshr_b32 s4, s4, 16
	v_and_b32_e32 v1, 0x3ff, v0
	s_mul_i32 s4, s4, s5
	v_mul_lo_u32 v2, s4, v1
	v_bfe_u32 v3, v0, 10, 10
	v_mad_u32_u24 v2, v3, s5, v2
	v_bfe_u32 v0, v0, 20, 10
	v_add_lshl_u32 v0, v2, v0, 3
	v_mov_b32_e32 v6, s12
	v_add_u32_e32 v7, 0x800, v0
	v_pk_mov_b32 v[2:3], s[12:13], s[12:13] op_sel:[0,1]
	v_pk_mov_b32 v[4:5], s[20:21], s[20:21] op_sel:[0,1]
	ds_write2st64_b64 v0, v[4:5], v[2:3] offset1:4
	v_cndmask_b32_e64 v2, v6, v7, s[0:1]
	v_mov_b32_e32 v3, s2
	flat_load_dwordx2 v[4:5], v[2:3]
	s_xor_b64 s[4:5], s[0:1], -1
	v_pk_mov_b32 v[6:7], s[14:15], s[14:15] op_sel:[0,1]
	s_cbranch_vccnz .LBB112_2
; %bb.1:
	v_pk_mov_b32 v[2:3], s[12:13], s[12:13] op_sel:[0,1]
	flat_load_dwordx2 v[6:7], v[2:3] offset:8
.LBB112_2:
	s_and_b64 s[10:11], s[0:1], exec
	s_cselect_b32 s2, s3, s21
	v_mov_b32_e32 v2, s20
	v_cndmask_b32_e64 v2, v2, v0, s[0:1]
	v_mov_b32_e32 v3, s2
	flat_load_dwordx2 v[8:9], v[2:3]
	s_andn2_b64 vcc, exec, s[4:5]
	v_pk_mov_b32 v[10:11], s[22:23], s[22:23] op_sel:[0,1]
	s_cbranch_vccnz .LBB112_4
; %bb.3:
	v_pk_mov_b32 v[2:3], s[20:21], s[20:21] op_sel:[0,1]
	flat_load_dwordx2 v[10:11], v[2:3] offset:8
.LBB112_4:
	s_waitcnt vmcnt(0) lgkmcnt(0)
	v_cmp_eq_f64_e32 vcc, 0, v[4:5]
	v_cmp_eq_f64_e64 s[0:1], 0, v[6:7]
	s_and_b64 s[4:5], vcc, s[0:1]
	s_mov_b64 s[0:1], -1
	s_and_saveexec_b64 s[2:3], s[4:5]
; %bb.5:
	v_cmp_neq_f64_e32 vcc, 1.0, v[8:9]
	v_cmp_neq_f64_e64 s[0:1], 0, v[10:11]
	s_or_b64 s[0:1], vcc, s[0:1]
	s_orn2_b64 s[0:1], s[0:1], exec
; %bb.6:
	s_or_b64 exec, exec, s[2:3]
	s_and_saveexec_b64 s[2:3], s[0:1]
	s_cbranch_execz .LBB112_18
; %bb.7:
	s_load_dwordx2 s[12:13], s[6:7], 0x0
	v_lshl_or_b32 v0, s8, 8, v1
	v_lshrrev_b32_e32 v12, 3, v0
	s_waitcnt lgkmcnt(0)
	v_cmp_gt_i32_e32 vcc, s13, v12
	s_and_b64 exec, exec, vcc
	s_cbranch_execz .LBB112_18
; %bb.8:
	s_load_dword s0, s[6:7], 0x60
	s_load_dwordx2 s[14:15], s[6:7], 0x50
	s_load_dwordx4 s[8:11], s[6:7], 0x28
	s_load_dwordx2 s[2:3], s[6:7], 0x38
	v_and_b32_e32 v0, 7, v1
	s_waitcnt lgkmcnt(0)
	s_lshl_b32 s25, s0, 5
	v_subrev_co_u32_e32 v22, vcc, s24, v0
	s_bitcmp1_b32 s12, 0
	v_subb_co_u32_e64 v23, s[4:5], 0, 0, vcc
	s_cselect_b64 s[0:1], -1, 0
	s_ashr_i32 s5, s24, 31
	s_mov_b32 s4, s24
	s_lshl_b64 s[4:5], s[4:5], 4
	s_sub_u32 s12, s2, s4
	s_subb_u32 s23, s3, s5
	v_cmp_neq_f64_e32 vcc, 0, v[8:9]
	v_cmp_neq_f64_e64 s[4:5], 0, v[10:11]
	s_or_b64 s[20:21], vcc, s[4:5]
	s_mov_b32 s22, 0
	s_add_u32 s26, s10, 8
	v_cmp_eq_u32_e64 s[2:3], 7, v0
	s_mov_b64 s[6:7], 0
	s_addc_u32 s27, s11, 0
	v_mov_b32_e32 v24, s17
	v_mov_b32_e32 v25, s19
	;; [unrolled: 1-line block ×4, first 2 shown]
	s_branch .LBB112_11
.LBB112_9:                              ;   in Loop: Header=BB112_11 Depth=1
	s_or_b64 exec, exec, s[10:11]
	global_store_dwordx4 v[14:15], v[0:3], off
.LBB112_10:                             ;   in Loop: Header=BB112_11 Depth=1
	s_or_b64 exec, exec, s[4:5]
	v_add_u32_e32 v12, s25, v12
	v_cmp_le_i32_e32 vcc, s13, v12
	s_or_b64 s[6:7], vcc, s[6:7]
	s_andn2_b64 exec, exec, s[6:7]
	s_cbranch_execz .LBB112_18
.LBB112_11:                             ; =>This Loop Header: Depth=1
                                        ;     Child Loop BB112_13 Depth 2
	v_ashrrev_i32_e32 v13, 31, v12
	v_lshlrev_b64 v[0:1], 3, v[12:13]
	v_add_co_u32_e32 v2, vcc, s18, v0
	v_addc_co_u32_e32 v3, vcc, v25, v1, vcc
	global_load_dwordx2 v[2:3], v[2:3], off
	v_add_co_u32_e32 v0, vcc, s16, v0
	v_addc_co_u32_e32 v1, vcc, v24, v1, vcc
	global_load_dwordx2 v[14:15], v[0:1], off
	v_pk_mov_b32 v[0:1], 0, 0
	v_pk_mov_b32 v[16:17], v[0:1], v[0:1] op_sel:[0,1]
	s_waitcnt vmcnt(1)
	v_subrev_co_u32_e32 v2, vcc, s24, v2
	v_subb_co_u32_e32 v3, vcc, v3, v26, vcc
	s_waitcnt vmcnt(0)
	v_add_co_u32_e32 v14, vcc, v14, v22
	v_addc_co_u32_e32 v15, vcc, v15, v23, vcc
	v_cmp_lt_i64_e32 vcc, v[14:15], v[2:3]
	s_and_saveexec_b64 s[10:11], vcc
	s_cbranch_execz .LBB112_15
; %bb.12:                               ;   in Loop: Header=BB112_11 Depth=1
	v_lshlrev_b64 v[0:1], 4, v[14:15]
	v_mov_b32_e32 v16, s27
	v_add_co_u32_e32 v18, vcc, s26, v0
	v_addc_co_u32_e32 v19, vcc, v16, v1, vcc
	v_lshlrev_b64 v[0:1], 2, v[14:15]
	v_mov_b32_e32 v16, s9
	v_add_co_u32_e32 v20, vcc, s8, v0
	v_addc_co_u32_e32 v21, vcc, v16, v1, vcc
	v_pk_mov_b32 v[0:1], 0, 0
	s_mov_b64 s[22:23], 0
	v_pk_mov_b32 v[16:17], v[0:1], v[0:1] op_sel:[0,1]
.LBB112_13:                             ;   Parent Loop BB112_11 Depth=1
                                        ; =>  This Inner Loop Header: Depth=2
	global_load_dword v32, v[20:21], off
	global_load_dwordx4 v[28:31], v[18:19], off offset:-8
	v_add_co_u32_e64 v20, s[4:5], 32, v20
	v_addc_co_u32_e64 v21, s[4:5], 0, v21, s[4:5]
	s_waitcnt vmcnt(1)
	v_ashrrev_i32_e32 v33, 31, v32
	v_lshlrev_b64 v[32:33], 4, v[32:33]
	v_add_co_u32_e32 v32, vcc, s12, v32
	v_addc_co_u32_e32 v33, vcc, v27, v33, vcc
	global_load_dwordx4 v[32:35], v[32:33], off
	v_add_co_u32_e32 v14, vcc, 8, v14
	s_waitcnt vmcnt(1)
	v_xor_b32_e32 v36, 0x80000000, v31
	v_addc_co_u32_e32 v15, vcc, 0, v15, vcc
	v_cndmask_b32_e64 v31, v31, v36, s[0:1]
	v_add_co_u32_e32 v18, vcc, 0x80, v18
	v_mul_f64 v[36:37], v[30:31], -v[6:7]
	v_mul_f64 v[30:31], v[4:5], v[30:31]
	v_addc_co_u32_e32 v19, vcc, 0, v19, vcc
	v_fmac_f64_e32 v[36:37], v[4:5], v[28:29]
	v_fmac_f64_e32 v[30:31], v[6:7], v[28:29]
	v_cmp_ge_i64_e32 vcc, v[14:15], v[2:3]
	s_or_b64 s[22:23], vcc, s[22:23]
	s_waitcnt vmcnt(0)
	v_fmac_f64_e32 v[16:17], v[36:37], v[32:33]
	v_fmac_f64_e32 v[0:1], v[30:31], v[32:33]
	v_fma_f64 v[16:17], -v[30:31], v[34:35], v[16:17]
	v_fmac_f64_e32 v[0:1], v[36:37], v[34:35]
	s_andn2_b64 exec, exec, s[22:23]
	s_cbranch_execnz .LBB112_13
; %bb.14:                               ;   in Loop: Header=BB112_11 Depth=1
	s_or_b64 exec, exec, s[22:23]
.LBB112_15:                             ;   in Loop: Header=BB112_11 Depth=1
	s_or_b64 exec, exec, s[10:11]
	v_mov_b32_dpp v2, v16 row_shr:1 row_mask:0xf bank_mask:0xf
	v_mov_b32_dpp v3, v17 row_shr:1 row_mask:0xf bank_mask:0xf
	v_add_f64 v[2:3], v[16:17], v[2:3]
	v_mov_b32_dpp v16, v0 row_shr:1 row_mask:0xf bank_mask:0xf
	v_mov_b32_dpp v17, v1 row_shr:1 row_mask:0xf bank_mask:0xf
	v_add_f64 v[0:1], v[0:1], v[16:17]
	v_mov_b32_dpp v14, v2 row_shr:2 row_mask:0xf bank_mask:0xf
	v_mov_b32_dpp v15, v3 row_shr:2 row_mask:0xf bank_mask:0xf
	;; [unrolled: 1-line block ×4, first 2 shown]
	v_add_f64 v[2:3], v[2:3], v[14:15]
	v_add_f64 v[16:17], v[0:1], v[16:17]
	s_nop 0
	v_mov_b32_dpp v14, v2 row_shr:4 row_mask:0xf bank_mask:0xe
	v_mov_b32_dpp v15, v3 row_shr:4 row_mask:0xf bank_mask:0xe
	;; [unrolled: 1-line block ×4, first 2 shown]
	s_and_saveexec_b64 s[4:5], s[2:3]
	s_cbranch_execz .LBB112_10
; %bb.16:                               ;   in Loop: Header=BB112_11 Depth=1
	v_add_f64 v[0:1], v[2:3], v[14:15]
	v_lshlrev_b64 v[14:15], 4, v[12:13]
	v_mov_b32_e32 v13, s15
	v_add_co_u32_e32 v14, vcc, s14, v14
	v_add_f64 v[2:3], v[16:17], v[18:19]
	v_addc_co_u32_e32 v15, vcc, v13, v15, vcc
	s_and_saveexec_b64 s[10:11], s[20:21]
	s_cbranch_execz .LBB112_9
; %bb.17:                               ;   in Loop: Header=BB112_11 Depth=1
	global_load_dwordx4 v[16:19], v[14:15], off
	s_waitcnt vmcnt(0)
	v_fmac_f64_e32 v[0:1], v[8:9], v[16:17]
	v_fmac_f64_e32 v[2:3], v[10:11], v[16:17]
	v_fma_f64 v[0:1], -v[10:11], v[18:19], v[0:1]
	v_fmac_f64_e32 v[2:3], v[8:9], v[18:19]
	s_branch .LBB112_9
.LBB112_18:
	s_endpgm
	.section	.rodata,"a",@progbits
	.p2align	6, 0x0
	.amdhsa_kernel _ZN9rocsparseL21csrmvn_general_kernelILj256ELj8Eli21rocsparse_complex_numIdES2_S2_S2_EEvbT2_NS_24const_host_device_scalarIT6_EEPKT1_S9_PKS3_PKT3_PKT4_S6_PT5_21rocsparse_index_base_b
		.amdhsa_group_segment_fixed_size 4096
		.amdhsa_private_segment_fixed_size 0
		.amdhsa_kernarg_size 352
		.amdhsa_user_sgpr_count 8
		.amdhsa_user_sgpr_private_segment_buffer 1
		.amdhsa_user_sgpr_dispatch_ptr 1
		.amdhsa_user_sgpr_queue_ptr 0
		.amdhsa_user_sgpr_kernarg_segment_ptr 1
		.amdhsa_user_sgpr_dispatch_id 0
		.amdhsa_user_sgpr_flat_scratch_init 0
		.amdhsa_user_sgpr_kernarg_preload_length 0
		.amdhsa_user_sgpr_kernarg_preload_offset 0
		.amdhsa_user_sgpr_private_segment_size 0
		.amdhsa_uses_dynamic_stack 0
		.amdhsa_system_sgpr_private_segment_wavefront_offset 0
		.amdhsa_system_sgpr_workgroup_id_x 1
		.amdhsa_system_sgpr_workgroup_id_y 0
		.amdhsa_system_sgpr_workgroup_id_z 0
		.amdhsa_system_sgpr_workgroup_info 0
		.amdhsa_system_vgpr_workitem_id 2
		.amdhsa_next_free_vgpr 38
		.amdhsa_next_free_sgpr 28
		.amdhsa_accum_offset 40
		.amdhsa_reserve_vcc 1
		.amdhsa_reserve_flat_scratch 0
		.amdhsa_float_round_mode_32 0
		.amdhsa_float_round_mode_16_64 0
		.amdhsa_float_denorm_mode_32 3
		.amdhsa_float_denorm_mode_16_64 3
		.amdhsa_dx10_clamp 1
		.amdhsa_ieee_mode 1
		.amdhsa_fp16_overflow 0
		.amdhsa_tg_split 0
		.amdhsa_exception_fp_ieee_invalid_op 0
		.amdhsa_exception_fp_denorm_src 0
		.amdhsa_exception_fp_ieee_div_zero 0
		.amdhsa_exception_fp_ieee_overflow 0
		.amdhsa_exception_fp_ieee_underflow 0
		.amdhsa_exception_fp_ieee_inexact 0
		.amdhsa_exception_int_div_zero 0
	.end_amdhsa_kernel
	.section	.text._ZN9rocsparseL21csrmvn_general_kernelILj256ELj8Eli21rocsparse_complex_numIdES2_S2_S2_EEvbT2_NS_24const_host_device_scalarIT6_EEPKT1_S9_PKS3_PKT3_PKT4_S6_PT5_21rocsparse_index_base_b,"axG",@progbits,_ZN9rocsparseL21csrmvn_general_kernelILj256ELj8Eli21rocsparse_complex_numIdES2_S2_S2_EEvbT2_NS_24const_host_device_scalarIT6_EEPKT1_S9_PKS3_PKT3_PKT4_S6_PT5_21rocsparse_index_base_b,comdat
.Lfunc_end112:
	.size	_ZN9rocsparseL21csrmvn_general_kernelILj256ELj8Eli21rocsparse_complex_numIdES2_S2_S2_EEvbT2_NS_24const_host_device_scalarIT6_EEPKT1_S9_PKS3_PKT3_PKT4_S6_PT5_21rocsparse_index_base_b, .Lfunc_end112-_ZN9rocsparseL21csrmvn_general_kernelILj256ELj8Eli21rocsparse_complex_numIdES2_S2_S2_EEvbT2_NS_24const_host_device_scalarIT6_EEPKT1_S9_PKS3_PKT3_PKT4_S6_PT5_21rocsparse_index_base_b
                                        ; -- End function
	.section	.AMDGPU.csdata,"",@progbits
; Kernel info:
; codeLenInByte = 1096
; NumSgprs: 32
; NumVgprs: 38
; NumAgprs: 0
; TotalNumVgprs: 38
; ScratchSize: 0
; MemoryBound: 0
; FloatMode: 240
; IeeeMode: 1
; LDSByteSize: 4096 bytes/workgroup (compile time only)
; SGPRBlocks: 3
; VGPRBlocks: 4
; NumSGPRsForWavesPerEU: 32
; NumVGPRsForWavesPerEU: 38
; AccumOffset: 40
; Occupancy: 8
; WaveLimiterHint : 1
; COMPUTE_PGM_RSRC2:SCRATCH_EN: 0
; COMPUTE_PGM_RSRC2:USER_SGPR: 8
; COMPUTE_PGM_RSRC2:TRAP_HANDLER: 0
; COMPUTE_PGM_RSRC2:TGID_X_EN: 1
; COMPUTE_PGM_RSRC2:TGID_Y_EN: 0
; COMPUTE_PGM_RSRC2:TGID_Z_EN: 0
; COMPUTE_PGM_RSRC2:TIDIG_COMP_CNT: 2
; COMPUTE_PGM_RSRC3_GFX90A:ACCUM_OFFSET: 9
; COMPUTE_PGM_RSRC3_GFX90A:TG_SPLIT: 0
	.section	.text._ZN9rocsparseL21csrmvn_general_kernelILj256ELj16Eli21rocsparse_complex_numIdES2_S2_S2_EEvbT2_NS_24const_host_device_scalarIT6_EEPKT1_S9_PKS3_PKT3_PKT4_S6_PT5_21rocsparse_index_base_b,"axG",@progbits,_ZN9rocsparseL21csrmvn_general_kernelILj256ELj16Eli21rocsparse_complex_numIdES2_S2_S2_EEvbT2_NS_24const_host_device_scalarIT6_EEPKT1_S9_PKS3_PKT3_PKT4_S6_PT5_21rocsparse_index_base_b,comdat
	.globl	_ZN9rocsparseL21csrmvn_general_kernelILj256ELj16Eli21rocsparse_complex_numIdES2_S2_S2_EEvbT2_NS_24const_host_device_scalarIT6_EEPKT1_S9_PKS3_PKT3_PKT4_S6_PT5_21rocsparse_index_base_b ; -- Begin function _ZN9rocsparseL21csrmvn_general_kernelILj256ELj16Eli21rocsparse_complex_numIdES2_S2_S2_EEvbT2_NS_24const_host_device_scalarIT6_EEPKT1_S9_PKS3_PKT3_PKT4_S6_PT5_21rocsparse_index_base_b
	.p2align	8
	.type	_ZN9rocsparseL21csrmvn_general_kernelILj256ELj16Eli21rocsparse_complex_numIdES2_S2_S2_EEvbT2_NS_24const_host_device_scalarIT6_EEPKT1_S9_PKS3_PKT3_PKT4_S6_PT5_21rocsparse_index_base_b,@function
_ZN9rocsparseL21csrmvn_general_kernelILj256ELj16Eli21rocsparse_complex_numIdES2_S2_S2_EEvbT2_NS_24const_host_device_scalarIT6_EEPKT1_S9_PKS3_PKT3_PKT4_S6_PT5_21rocsparse_index_base_b: ; @_ZN9rocsparseL21csrmvn_general_kernelILj256ELj16Eli21rocsparse_complex_numIdES2_S2_S2_EEvbT2_NS_24const_host_device_scalarIT6_EEPKT1_S9_PKS3_PKT3_PKT4_S6_PT5_21rocsparse_index_base_b
; %bb.0:
	s_load_dwordx2 s[24:25], s[6:7], 0x58
	s_load_dwordx8 s[12:19], s[6:7], 0x8
	s_load_dwordx4 s[20:23], s[6:7], 0x40
	s_mov_b64 s[2:3], src_shared_base
	s_load_dwordx2 s[4:5], s[4:5], 0x4
	s_waitcnt lgkmcnt(0)
	s_bitcmp1_b32 s25, 0
	s_cselect_b64 s[0:1], -1, 0
	s_and_b64 vcc, s[0:1], exec
	s_cselect_b32 s2, s3, s13
	s_lshr_b32 s4, s4, 16
	v_and_b32_e32 v1, 0x3ff, v0
	s_mul_i32 s4, s4, s5
	v_mul_lo_u32 v2, s4, v1
	v_bfe_u32 v3, v0, 10, 10
	v_mad_u32_u24 v2, v3, s5, v2
	v_bfe_u32 v0, v0, 20, 10
	v_add_lshl_u32 v0, v2, v0, 3
	v_mov_b32_e32 v6, s12
	v_add_u32_e32 v7, 0x800, v0
	v_pk_mov_b32 v[2:3], s[12:13], s[12:13] op_sel:[0,1]
	v_pk_mov_b32 v[4:5], s[20:21], s[20:21] op_sel:[0,1]
	ds_write2st64_b64 v0, v[4:5], v[2:3] offset1:4
	v_cndmask_b32_e64 v2, v6, v7, s[0:1]
	v_mov_b32_e32 v3, s2
	flat_load_dwordx2 v[4:5], v[2:3]
	s_xor_b64 s[4:5], s[0:1], -1
	v_pk_mov_b32 v[6:7], s[14:15], s[14:15] op_sel:[0,1]
	s_cbranch_vccnz .LBB113_2
; %bb.1:
	v_pk_mov_b32 v[2:3], s[12:13], s[12:13] op_sel:[0,1]
	flat_load_dwordx2 v[6:7], v[2:3] offset:8
.LBB113_2:
	s_and_b64 s[10:11], s[0:1], exec
	s_cselect_b32 s2, s3, s21
	v_mov_b32_e32 v2, s20
	v_cndmask_b32_e64 v2, v2, v0, s[0:1]
	v_mov_b32_e32 v3, s2
	flat_load_dwordx2 v[8:9], v[2:3]
	s_andn2_b64 vcc, exec, s[4:5]
	v_pk_mov_b32 v[10:11], s[22:23], s[22:23] op_sel:[0,1]
	s_cbranch_vccnz .LBB113_4
; %bb.3:
	v_pk_mov_b32 v[2:3], s[20:21], s[20:21] op_sel:[0,1]
	flat_load_dwordx2 v[10:11], v[2:3] offset:8
.LBB113_4:
	s_waitcnt vmcnt(0) lgkmcnt(0)
	v_cmp_eq_f64_e32 vcc, 0, v[4:5]
	v_cmp_eq_f64_e64 s[0:1], 0, v[6:7]
	s_and_b64 s[4:5], vcc, s[0:1]
	s_mov_b64 s[0:1], -1
	s_and_saveexec_b64 s[2:3], s[4:5]
; %bb.5:
	v_cmp_neq_f64_e32 vcc, 1.0, v[8:9]
	v_cmp_neq_f64_e64 s[0:1], 0, v[10:11]
	s_or_b64 s[0:1], vcc, s[0:1]
	s_orn2_b64 s[0:1], s[0:1], exec
; %bb.6:
	s_or_b64 exec, exec, s[2:3]
	s_and_saveexec_b64 s[2:3], s[0:1]
	s_cbranch_execz .LBB113_18
; %bb.7:
	s_load_dwordx2 s[12:13], s[6:7], 0x0
	v_lshl_or_b32 v0, s8, 8, v1
	v_lshrrev_b32_e32 v12, 4, v0
	s_waitcnt lgkmcnt(0)
	v_cmp_gt_i32_e32 vcc, s13, v12
	s_and_b64 exec, exec, vcc
	s_cbranch_execz .LBB113_18
; %bb.8:
	s_load_dword s0, s[6:7], 0x60
	s_load_dwordx2 s[14:15], s[6:7], 0x50
	s_load_dwordx4 s[8:11], s[6:7], 0x28
	s_load_dwordx2 s[2:3], s[6:7], 0x38
	v_and_b32_e32 v0, 15, v1
	s_waitcnt lgkmcnt(0)
	s_lshl_b32 s25, s0, 4
	v_subrev_co_u32_e32 v22, vcc, s24, v0
	s_bitcmp1_b32 s12, 0
	v_subb_co_u32_e64 v23, s[4:5], 0, 0, vcc
	s_cselect_b64 s[0:1], -1, 0
	s_ashr_i32 s5, s24, 31
	s_mov_b32 s4, s24
	s_lshl_b64 s[4:5], s[4:5], 4
	s_sub_u32 s12, s2, s4
	s_subb_u32 s23, s3, s5
	v_cmp_neq_f64_e32 vcc, 0, v[8:9]
	v_cmp_neq_f64_e64 s[4:5], 0, v[10:11]
	s_or_b64 s[20:21], vcc, s[4:5]
	s_mov_b32 s22, 0
	s_add_u32 s26, s10, 8
	v_cmp_eq_u32_e64 s[2:3], 15, v0
	s_mov_b64 s[6:7], 0
	s_addc_u32 s27, s11, 0
	v_mov_b32_e32 v24, s17
	v_mov_b32_e32 v25, s19
	;; [unrolled: 1-line block ×4, first 2 shown]
	s_branch .LBB113_11
.LBB113_9:                              ;   in Loop: Header=BB113_11 Depth=1
	s_or_b64 exec, exec, s[10:11]
	global_store_dwordx4 v[14:15], v[0:3], off
.LBB113_10:                             ;   in Loop: Header=BB113_11 Depth=1
	s_or_b64 exec, exec, s[4:5]
	v_add_u32_e32 v12, s25, v12
	v_cmp_le_i32_e32 vcc, s13, v12
	s_or_b64 s[6:7], vcc, s[6:7]
	s_andn2_b64 exec, exec, s[6:7]
	s_cbranch_execz .LBB113_18
.LBB113_11:                             ; =>This Loop Header: Depth=1
                                        ;     Child Loop BB113_13 Depth 2
	v_ashrrev_i32_e32 v13, 31, v12
	v_lshlrev_b64 v[0:1], 3, v[12:13]
	v_add_co_u32_e32 v2, vcc, s18, v0
	v_addc_co_u32_e32 v3, vcc, v25, v1, vcc
	global_load_dwordx2 v[2:3], v[2:3], off
	v_add_co_u32_e32 v0, vcc, s16, v0
	v_addc_co_u32_e32 v1, vcc, v24, v1, vcc
	global_load_dwordx2 v[14:15], v[0:1], off
	v_pk_mov_b32 v[0:1], 0, 0
	v_pk_mov_b32 v[16:17], v[0:1], v[0:1] op_sel:[0,1]
	s_waitcnt vmcnt(1)
	v_subrev_co_u32_e32 v2, vcc, s24, v2
	v_subb_co_u32_e32 v3, vcc, v3, v26, vcc
	s_waitcnt vmcnt(0)
	v_add_co_u32_e32 v14, vcc, v14, v22
	v_addc_co_u32_e32 v15, vcc, v15, v23, vcc
	v_cmp_lt_i64_e32 vcc, v[14:15], v[2:3]
	s_and_saveexec_b64 s[10:11], vcc
	s_cbranch_execz .LBB113_15
; %bb.12:                               ;   in Loop: Header=BB113_11 Depth=1
	v_lshlrev_b64 v[0:1], 4, v[14:15]
	v_mov_b32_e32 v16, s27
	v_add_co_u32_e32 v18, vcc, s26, v0
	v_addc_co_u32_e32 v19, vcc, v16, v1, vcc
	v_lshlrev_b64 v[0:1], 2, v[14:15]
	v_mov_b32_e32 v16, s9
	v_add_co_u32_e32 v20, vcc, s8, v0
	v_addc_co_u32_e32 v21, vcc, v16, v1, vcc
	v_pk_mov_b32 v[0:1], 0, 0
	s_mov_b64 s[22:23], 0
	v_pk_mov_b32 v[16:17], v[0:1], v[0:1] op_sel:[0,1]
.LBB113_13:                             ;   Parent Loop BB113_11 Depth=1
                                        ; =>  This Inner Loop Header: Depth=2
	global_load_dword v32, v[20:21], off
	global_load_dwordx4 v[28:31], v[18:19], off offset:-8
	v_add_co_u32_e64 v20, s[4:5], 64, v20
	v_addc_co_u32_e64 v21, s[4:5], 0, v21, s[4:5]
	s_waitcnt vmcnt(1)
	v_ashrrev_i32_e32 v33, 31, v32
	v_lshlrev_b64 v[32:33], 4, v[32:33]
	v_add_co_u32_e32 v32, vcc, s12, v32
	v_addc_co_u32_e32 v33, vcc, v27, v33, vcc
	global_load_dwordx4 v[32:35], v[32:33], off
	v_add_co_u32_e32 v14, vcc, 16, v14
	s_waitcnt vmcnt(1)
	v_xor_b32_e32 v36, 0x80000000, v31
	v_addc_co_u32_e32 v15, vcc, 0, v15, vcc
	v_cndmask_b32_e64 v31, v31, v36, s[0:1]
	v_add_co_u32_e32 v18, vcc, 0x100, v18
	v_mul_f64 v[36:37], v[30:31], -v[6:7]
	v_mul_f64 v[30:31], v[4:5], v[30:31]
	v_addc_co_u32_e32 v19, vcc, 0, v19, vcc
	v_fmac_f64_e32 v[36:37], v[4:5], v[28:29]
	v_fmac_f64_e32 v[30:31], v[6:7], v[28:29]
	v_cmp_ge_i64_e32 vcc, v[14:15], v[2:3]
	s_or_b64 s[22:23], vcc, s[22:23]
	s_waitcnt vmcnt(0)
	v_fmac_f64_e32 v[16:17], v[36:37], v[32:33]
	v_fmac_f64_e32 v[0:1], v[30:31], v[32:33]
	v_fma_f64 v[16:17], -v[30:31], v[34:35], v[16:17]
	v_fmac_f64_e32 v[0:1], v[36:37], v[34:35]
	s_andn2_b64 exec, exec, s[22:23]
	s_cbranch_execnz .LBB113_13
; %bb.14:                               ;   in Loop: Header=BB113_11 Depth=1
	s_or_b64 exec, exec, s[22:23]
.LBB113_15:                             ;   in Loop: Header=BB113_11 Depth=1
	s_or_b64 exec, exec, s[10:11]
	v_mov_b32_dpp v2, v16 row_shr:1 row_mask:0xf bank_mask:0xf
	v_mov_b32_dpp v3, v17 row_shr:1 row_mask:0xf bank_mask:0xf
	v_add_f64 v[2:3], v[16:17], v[2:3]
	v_mov_b32_dpp v16, v0 row_shr:1 row_mask:0xf bank_mask:0xf
	v_mov_b32_dpp v17, v1 row_shr:1 row_mask:0xf bank_mask:0xf
	v_add_f64 v[0:1], v[0:1], v[16:17]
	v_mov_b32_dpp v14, v2 row_shr:2 row_mask:0xf bank_mask:0xf
	v_mov_b32_dpp v15, v3 row_shr:2 row_mask:0xf bank_mask:0xf
	;; [unrolled: 1-line block ×4, first 2 shown]
	v_add_f64 v[2:3], v[2:3], v[14:15]
	v_add_f64 v[0:1], v[0:1], v[16:17]
	s_nop 0
	v_mov_b32_dpp v14, v2 row_shr:4 row_mask:0xf bank_mask:0xe
	v_mov_b32_dpp v15, v3 row_shr:4 row_mask:0xf bank_mask:0xe
	;; [unrolled: 1-line block ×4, first 2 shown]
	v_add_f64 v[2:3], v[2:3], v[14:15]
	v_add_f64 v[16:17], v[0:1], v[16:17]
	s_nop 0
	v_mov_b32_dpp v14, v2 row_shr:8 row_mask:0xf bank_mask:0xc
	v_mov_b32_dpp v15, v3 row_shr:8 row_mask:0xf bank_mask:0xc
	;; [unrolled: 1-line block ×4, first 2 shown]
	s_and_saveexec_b64 s[4:5], s[2:3]
	s_cbranch_execz .LBB113_10
; %bb.16:                               ;   in Loop: Header=BB113_11 Depth=1
	v_add_f64 v[0:1], v[2:3], v[14:15]
	v_lshlrev_b64 v[14:15], 4, v[12:13]
	v_mov_b32_e32 v13, s15
	v_add_co_u32_e32 v14, vcc, s14, v14
	v_add_f64 v[2:3], v[16:17], v[18:19]
	v_addc_co_u32_e32 v15, vcc, v13, v15, vcc
	s_and_saveexec_b64 s[10:11], s[20:21]
	s_cbranch_execz .LBB113_9
; %bb.17:                               ;   in Loop: Header=BB113_11 Depth=1
	global_load_dwordx4 v[16:19], v[14:15], off
	s_waitcnt vmcnt(0)
	v_fmac_f64_e32 v[0:1], v[8:9], v[16:17]
	v_fmac_f64_e32 v[2:3], v[10:11], v[16:17]
	v_fma_f64 v[0:1], -v[10:11], v[18:19], v[0:1]
	v_fmac_f64_e32 v[2:3], v[8:9], v[18:19]
	s_branch .LBB113_9
.LBB113_18:
	s_endpgm
	.section	.rodata,"a",@progbits
	.p2align	6, 0x0
	.amdhsa_kernel _ZN9rocsparseL21csrmvn_general_kernelILj256ELj16Eli21rocsparse_complex_numIdES2_S2_S2_EEvbT2_NS_24const_host_device_scalarIT6_EEPKT1_S9_PKS3_PKT3_PKT4_S6_PT5_21rocsparse_index_base_b
		.amdhsa_group_segment_fixed_size 4096
		.amdhsa_private_segment_fixed_size 0
		.amdhsa_kernarg_size 352
		.amdhsa_user_sgpr_count 8
		.amdhsa_user_sgpr_private_segment_buffer 1
		.amdhsa_user_sgpr_dispatch_ptr 1
		.amdhsa_user_sgpr_queue_ptr 0
		.amdhsa_user_sgpr_kernarg_segment_ptr 1
		.amdhsa_user_sgpr_dispatch_id 0
		.amdhsa_user_sgpr_flat_scratch_init 0
		.amdhsa_user_sgpr_kernarg_preload_length 0
		.amdhsa_user_sgpr_kernarg_preload_offset 0
		.amdhsa_user_sgpr_private_segment_size 0
		.amdhsa_uses_dynamic_stack 0
		.amdhsa_system_sgpr_private_segment_wavefront_offset 0
		.amdhsa_system_sgpr_workgroup_id_x 1
		.amdhsa_system_sgpr_workgroup_id_y 0
		.amdhsa_system_sgpr_workgroup_id_z 0
		.amdhsa_system_sgpr_workgroup_info 0
		.amdhsa_system_vgpr_workitem_id 2
		.amdhsa_next_free_vgpr 38
		.amdhsa_next_free_sgpr 28
		.amdhsa_accum_offset 40
		.amdhsa_reserve_vcc 1
		.amdhsa_reserve_flat_scratch 0
		.amdhsa_float_round_mode_32 0
		.amdhsa_float_round_mode_16_64 0
		.amdhsa_float_denorm_mode_32 3
		.amdhsa_float_denorm_mode_16_64 3
		.amdhsa_dx10_clamp 1
		.amdhsa_ieee_mode 1
		.amdhsa_fp16_overflow 0
		.amdhsa_tg_split 0
		.amdhsa_exception_fp_ieee_invalid_op 0
		.amdhsa_exception_fp_denorm_src 0
		.amdhsa_exception_fp_ieee_div_zero 0
		.amdhsa_exception_fp_ieee_overflow 0
		.amdhsa_exception_fp_ieee_underflow 0
		.amdhsa_exception_fp_ieee_inexact 0
		.amdhsa_exception_int_div_zero 0
	.end_amdhsa_kernel
	.section	.text._ZN9rocsparseL21csrmvn_general_kernelILj256ELj16Eli21rocsparse_complex_numIdES2_S2_S2_EEvbT2_NS_24const_host_device_scalarIT6_EEPKT1_S9_PKS3_PKT3_PKT4_S6_PT5_21rocsparse_index_base_b,"axG",@progbits,_ZN9rocsparseL21csrmvn_general_kernelILj256ELj16Eli21rocsparse_complex_numIdES2_S2_S2_EEvbT2_NS_24const_host_device_scalarIT6_EEPKT1_S9_PKS3_PKT3_PKT4_S6_PT5_21rocsparse_index_base_b,comdat
.Lfunc_end113:
	.size	_ZN9rocsparseL21csrmvn_general_kernelILj256ELj16Eli21rocsparse_complex_numIdES2_S2_S2_EEvbT2_NS_24const_host_device_scalarIT6_EEPKT1_S9_PKS3_PKT3_PKT4_S6_PT5_21rocsparse_index_base_b, .Lfunc_end113-_ZN9rocsparseL21csrmvn_general_kernelILj256ELj16Eli21rocsparse_complex_numIdES2_S2_S2_EEvbT2_NS_24const_host_device_scalarIT6_EEPKT1_S9_PKS3_PKT3_PKT4_S6_PT5_21rocsparse_index_base_b
                                        ; -- End function
	.section	.AMDGPU.csdata,"",@progbits
; Kernel info:
; codeLenInByte = 1148
; NumSgprs: 32
; NumVgprs: 38
; NumAgprs: 0
; TotalNumVgprs: 38
; ScratchSize: 0
; MemoryBound: 0
; FloatMode: 240
; IeeeMode: 1
; LDSByteSize: 4096 bytes/workgroup (compile time only)
; SGPRBlocks: 3
; VGPRBlocks: 4
; NumSGPRsForWavesPerEU: 32
; NumVGPRsForWavesPerEU: 38
; AccumOffset: 40
; Occupancy: 8
; WaveLimiterHint : 1
; COMPUTE_PGM_RSRC2:SCRATCH_EN: 0
; COMPUTE_PGM_RSRC2:USER_SGPR: 8
; COMPUTE_PGM_RSRC2:TRAP_HANDLER: 0
; COMPUTE_PGM_RSRC2:TGID_X_EN: 1
; COMPUTE_PGM_RSRC2:TGID_Y_EN: 0
; COMPUTE_PGM_RSRC2:TGID_Z_EN: 0
; COMPUTE_PGM_RSRC2:TIDIG_COMP_CNT: 2
; COMPUTE_PGM_RSRC3_GFX90A:ACCUM_OFFSET: 9
; COMPUTE_PGM_RSRC3_GFX90A:TG_SPLIT: 0
	.section	.text._ZN9rocsparseL21csrmvn_general_kernelILj256ELj32Eli21rocsparse_complex_numIdES2_S2_S2_EEvbT2_NS_24const_host_device_scalarIT6_EEPKT1_S9_PKS3_PKT3_PKT4_S6_PT5_21rocsparse_index_base_b,"axG",@progbits,_ZN9rocsparseL21csrmvn_general_kernelILj256ELj32Eli21rocsparse_complex_numIdES2_S2_S2_EEvbT2_NS_24const_host_device_scalarIT6_EEPKT1_S9_PKS3_PKT3_PKT4_S6_PT5_21rocsparse_index_base_b,comdat
	.globl	_ZN9rocsparseL21csrmvn_general_kernelILj256ELj32Eli21rocsparse_complex_numIdES2_S2_S2_EEvbT2_NS_24const_host_device_scalarIT6_EEPKT1_S9_PKS3_PKT3_PKT4_S6_PT5_21rocsparse_index_base_b ; -- Begin function _ZN9rocsparseL21csrmvn_general_kernelILj256ELj32Eli21rocsparse_complex_numIdES2_S2_S2_EEvbT2_NS_24const_host_device_scalarIT6_EEPKT1_S9_PKS3_PKT3_PKT4_S6_PT5_21rocsparse_index_base_b
	.p2align	8
	.type	_ZN9rocsparseL21csrmvn_general_kernelILj256ELj32Eli21rocsparse_complex_numIdES2_S2_S2_EEvbT2_NS_24const_host_device_scalarIT6_EEPKT1_S9_PKS3_PKT3_PKT4_S6_PT5_21rocsparse_index_base_b,@function
_ZN9rocsparseL21csrmvn_general_kernelILj256ELj32Eli21rocsparse_complex_numIdES2_S2_S2_EEvbT2_NS_24const_host_device_scalarIT6_EEPKT1_S9_PKS3_PKT3_PKT4_S6_PT5_21rocsparse_index_base_b: ; @_ZN9rocsparseL21csrmvn_general_kernelILj256ELj32Eli21rocsparse_complex_numIdES2_S2_S2_EEvbT2_NS_24const_host_device_scalarIT6_EEPKT1_S9_PKS3_PKT3_PKT4_S6_PT5_21rocsparse_index_base_b
; %bb.0:
	s_load_dwordx2 s[24:25], s[6:7], 0x58
	s_load_dwordx8 s[12:19], s[6:7], 0x8
	s_load_dwordx4 s[20:23], s[6:7], 0x40
	s_mov_b64 s[2:3], src_shared_base
	s_load_dwordx2 s[4:5], s[4:5], 0x4
	s_waitcnt lgkmcnt(0)
	s_bitcmp1_b32 s25, 0
	s_cselect_b64 s[0:1], -1, 0
	s_and_b64 vcc, s[0:1], exec
	s_cselect_b32 s2, s3, s13
	s_lshr_b32 s4, s4, 16
	v_and_b32_e32 v1, 0x3ff, v0
	s_mul_i32 s4, s4, s5
	v_mul_lo_u32 v2, s4, v1
	v_bfe_u32 v3, v0, 10, 10
	v_mad_u32_u24 v2, v3, s5, v2
	v_bfe_u32 v0, v0, 20, 10
	v_add_lshl_u32 v0, v2, v0, 3
	v_mov_b32_e32 v6, s12
	v_add_u32_e32 v7, 0x800, v0
	v_pk_mov_b32 v[2:3], s[12:13], s[12:13] op_sel:[0,1]
	v_pk_mov_b32 v[4:5], s[20:21], s[20:21] op_sel:[0,1]
	ds_write2st64_b64 v0, v[4:5], v[2:3] offset1:4
	v_cndmask_b32_e64 v2, v6, v7, s[0:1]
	v_mov_b32_e32 v3, s2
	flat_load_dwordx2 v[4:5], v[2:3]
	s_xor_b64 s[4:5], s[0:1], -1
	v_pk_mov_b32 v[6:7], s[14:15], s[14:15] op_sel:[0,1]
	s_cbranch_vccnz .LBB114_2
; %bb.1:
	v_pk_mov_b32 v[2:3], s[12:13], s[12:13] op_sel:[0,1]
	flat_load_dwordx2 v[6:7], v[2:3] offset:8
.LBB114_2:
	s_and_b64 s[10:11], s[0:1], exec
	s_cselect_b32 s2, s3, s21
	v_mov_b32_e32 v2, s20
	v_cndmask_b32_e64 v2, v2, v0, s[0:1]
	v_mov_b32_e32 v3, s2
	flat_load_dwordx2 v[8:9], v[2:3]
	s_andn2_b64 vcc, exec, s[4:5]
	v_pk_mov_b32 v[10:11], s[22:23], s[22:23] op_sel:[0,1]
	s_cbranch_vccnz .LBB114_4
; %bb.3:
	v_pk_mov_b32 v[2:3], s[20:21], s[20:21] op_sel:[0,1]
	flat_load_dwordx2 v[10:11], v[2:3] offset:8
.LBB114_4:
	s_waitcnt vmcnt(0) lgkmcnt(0)
	v_cmp_eq_f64_e32 vcc, 0, v[4:5]
	v_cmp_eq_f64_e64 s[0:1], 0, v[6:7]
	s_and_b64 s[4:5], vcc, s[0:1]
	s_mov_b64 s[0:1], -1
	s_and_saveexec_b64 s[2:3], s[4:5]
; %bb.5:
	v_cmp_neq_f64_e32 vcc, 1.0, v[8:9]
	v_cmp_neq_f64_e64 s[0:1], 0, v[10:11]
	s_or_b64 s[0:1], vcc, s[0:1]
	s_orn2_b64 s[0:1], s[0:1], exec
; %bb.6:
	s_or_b64 exec, exec, s[2:3]
	s_and_saveexec_b64 s[2:3], s[0:1]
	s_cbranch_execz .LBB114_18
; %bb.7:
	s_load_dwordx2 s[12:13], s[6:7], 0x0
	v_lshl_or_b32 v0, s8, 8, v1
	v_lshrrev_b32_e32 v12, 5, v0
	s_waitcnt lgkmcnt(0)
	v_cmp_gt_i32_e32 vcc, s13, v12
	s_and_b64 exec, exec, vcc
	s_cbranch_execz .LBB114_18
; %bb.8:
	s_load_dword s0, s[6:7], 0x60
	s_load_dwordx2 s[14:15], s[6:7], 0x50
	s_load_dwordx4 s[8:11], s[6:7], 0x28
	s_load_dwordx2 s[2:3], s[6:7], 0x38
	v_and_b32_e32 v0, 31, v1
	s_waitcnt lgkmcnt(0)
	s_lshl_b32 s25, s0, 3
	v_subrev_co_u32_e32 v22, vcc, s24, v0
	s_bitcmp1_b32 s12, 0
	v_subb_co_u32_e64 v23, s[4:5], 0, 0, vcc
	s_cselect_b64 s[0:1], -1, 0
	s_ashr_i32 s5, s24, 31
	s_mov_b32 s4, s24
	s_lshl_b64 s[4:5], s[4:5], 4
	s_sub_u32 s12, s2, s4
	s_subb_u32 s23, s3, s5
	v_cmp_neq_f64_e32 vcc, 0, v[8:9]
	v_cmp_neq_f64_e64 s[4:5], 0, v[10:11]
	s_or_b64 s[20:21], vcc, s[4:5]
	s_mov_b32 s22, 0
	s_add_u32 s26, s10, 8
	v_cmp_eq_u32_e64 s[2:3], 31, v0
	s_mov_b64 s[6:7], 0
	s_addc_u32 s27, s11, 0
	v_mov_b32_e32 v24, s17
	v_mov_b32_e32 v25, s19
	;; [unrolled: 1-line block ×4, first 2 shown]
	s_branch .LBB114_11
.LBB114_9:                              ;   in Loop: Header=BB114_11 Depth=1
	s_or_b64 exec, exec, s[10:11]
	global_store_dwordx4 v[14:15], v[0:3], off
.LBB114_10:                             ;   in Loop: Header=BB114_11 Depth=1
	s_or_b64 exec, exec, s[4:5]
	v_add_u32_e32 v12, s25, v12
	v_cmp_le_i32_e32 vcc, s13, v12
	s_or_b64 s[6:7], vcc, s[6:7]
	s_andn2_b64 exec, exec, s[6:7]
	s_cbranch_execz .LBB114_18
.LBB114_11:                             ; =>This Loop Header: Depth=1
                                        ;     Child Loop BB114_13 Depth 2
	v_ashrrev_i32_e32 v13, 31, v12
	v_lshlrev_b64 v[0:1], 3, v[12:13]
	v_add_co_u32_e32 v2, vcc, s18, v0
	v_addc_co_u32_e32 v3, vcc, v25, v1, vcc
	global_load_dwordx2 v[2:3], v[2:3], off
	v_add_co_u32_e32 v0, vcc, s16, v0
	v_addc_co_u32_e32 v1, vcc, v24, v1, vcc
	global_load_dwordx2 v[14:15], v[0:1], off
	v_pk_mov_b32 v[0:1], 0, 0
	v_pk_mov_b32 v[16:17], v[0:1], v[0:1] op_sel:[0,1]
	s_waitcnt vmcnt(1)
	v_subrev_co_u32_e32 v2, vcc, s24, v2
	v_subb_co_u32_e32 v3, vcc, v3, v26, vcc
	s_waitcnt vmcnt(0)
	v_add_co_u32_e32 v14, vcc, v14, v22
	v_addc_co_u32_e32 v15, vcc, v15, v23, vcc
	v_cmp_lt_i64_e32 vcc, v[14:15], v[2:3]
	s_and_saveexec_b64 s[10:11], vcc
	s_cbranch_execz .LBB114_15
; %bb.12:                               ;   in Loop: Header=BB114_11 Depth=1
	v_lshlrev_b64 v[0:1], 4, v[14:15]
	v_mov_b32_e32 v16, s27
	v_add_co_u32_e32 v18, vcc, s26, v0
	v_addc_co_u32_e32 v19, vcc, v16, v1, vcc
	v_lshlrev_b64 v[0:1], 2, v[14:15]
	v_mov_b32_e32 v16, s9
	v_add_co_u32_e32 v20, vcc, s8, v0
	v_addc_co_u32_e32 v21, vcc, v16, v1, vcc
	v_pk_mov_b32 v[0:1], 0, 0
	s_mov_b64 s[22:23], 0
	v_pk_mov_b32 v[16:17], v[0:1], v[0:1] op_sel:[0,1]
.LBB114_13:                             ;   Parent Loop BB114_11 Depth=1
                                        ; =>  This Inner Loop Header: Depth=2
	global_load_dword v32, v[20:21], off
	global_load_dwordx4 v[28:31], v[18:19], off offset:-8
	s_waitcnt vmcnt(1)
	v_ashrrev_i32_e32 v33, 31, v32
	v_lshlrev_b64 v[32:33], 4, v[32:33]
	v_add_co_u32_e32 v32, vcc, s12, v32
	v_addc_co_u32_e32 v33, vcc, v27, v33, vcc
	global_load_dwordx4 v[32:35], v[32:33], off
	v_add_co_u32_e32 v14, vcc, 32, v14
	s_waitcnt vmcnt(1)
	v_xor_b32_e32 v36, 0x80000000, v31
	v_addc_co_u32_e32 v15, vcc, 0, v15, vcc
	v_cndmask_b32_e64 v31, v31, v36, s[0:1]
	v_add_co_u32_e32 v18, vcc, 0x200, v18
	v_mul_f64 v[36:37], v[30:31], -v[6:7]
	v_mul_f64 v[30:31], v[4:5], v[30:31]
	v_addc_co_u32_e32 v19, vcc, 0, v19, vcc
	v_fmac_f64_e32 v[36:37], v[4:5], v[28:29]
	v_fmac_f64_e32 v[30:31], v[6:7], v[28:29]
	v_add_co_u32_e32 v20, vcc, 0x80, v20
	v_cmp_ge_i64_e64 s[4:5], v[14:15], v[2:3]
	v_addc_co_u32_e32 v21, vcc, 0, v21, vcc
	s_or_b64 s[22:23], s[4:5], s[22:23]
	s_waitcnt vmcnt(0)
	v_fmac_f64_e32 v[16:17], v[36:37], v[32:33]
	v_fmac_f64_e32 v[0:1], v[30:31], v[32:33]
	v_fma_f64 v[16:17], -v[30:31], v[34:35], v[16:17]
	v_fmac_f64_e32 v[0:1], v[36:37], v[34:35]
	s_andn2_b64 exec, exec, s[22:23]
	s_cbranch_execnz .LBB114_13
; %bb.14:                               ;   in Loop: Header=BB114_11 Depth=1
	s_or_b64 exec, exec, s[22:23]
.LBB114_15:                             ;   in Loop: Header=BB114_11 Depth=1
	s_or_b64 exec, exec, s[10:11]
	v_mov_b32_dpp v2, v16 row_shr:1 row_mask:0xf bank_mask:0xf
	v_mov_b32_dpp v3, v17 row_shr:1 row_mask:0xf bank_mask:0xf
	v_add_f64 v[2:3], v[16:17], v[2:3]
	v_mov_b32_dpp v16, v0 row_shr:1 row_mask:0xf bank_mask:0xf
	v_mov_b32_dpp v17, v1 row_shr:1 row_mask:0xf bank_mask:0xf
	v_add_f64 v[0:1], v[0:1], v[16:17]
	v_mov_b32_dpp v14, v2 row_shr:2 row_mask:0xf bank_mask:0xf
	v_mov_b32_dpp v15, v3 row_shr:2 row_mask:0xf bank_mask:0xf
	v_mov_b32_dpp v16, v0 row_shr:2 row_mask:0xf bank_mask:0xf
	v_mov_b32_dpp v17, v1 row_shr:2 row_mask:0xf bank_mask:0xf
	v_add_f64 v[2:3], v[2:3], v[14:15]
	v_add_f64 v[0:1], v[0:1], v[16:17]
	s_nop 0
	v_mov_b32_dpp v14, v2 row_shr:4 row_mask:0xf bank_mask:0xe
	v_mov_b32_dpp v15, v3 row_shr:4 row_mask:0xf bank_mask:0xe
	v_mov_b32_dpp v16, v0 row_shr:4 row_mask:0xf bank_mask:0xe
	v_mov_b32_dpp v17, v1 row_shr:4 row_mask:0xf bank_mask:0xe
	v_add_f64 v[2:3], v[2:3], v[14:15]
	v_add_f64 v[0:1], v[0:1], v[16:17]
	s_nop 0
	;; [unrolled: 7-line block ×3, first 2 shown]
	v_mov_b32_dpp v14, v2 row_bcast:15 row_mask:0xa bank_mask:0xf
	v_mov_b32_dpp v15, v3 row_bcast:15 row_mask:0xa bank_mask:0xf
	;; [unrolled: 1-line block ×4, first 2 shown]
	s_and_saveexec_b64 s[4:5], s[2:3]
	s_cbranch_execz .LBB114_10
; %bb.16:                               ;   in Loop: Header=BB114_11 Depth=1
	v_add_f64 v[0:1], v[2:3], v[14:15]
	v_lshlrev_b64 v[14:15], 4, v[12:13]
	v_mov_b32_e32 v13, s15
	v_add_co_u32_e32 v14, vcc, s14, v14
	v_add_f64 v[2:3], v[16:17], v[18:19]
	v_addc_co_u32_e32 v15, vcc, v13, v15, vcc
	s_and_saveexec_b64 s[10:11], s[20:21]
	s_cbranch_execz .LBB114_9
; %bb.17:                               ;   in Loop: Header=BB114_11 Depth=1
	global_load_dwordx4 v[16:19], v[14:15], off
	s_waitcnt vmcnt(0)
	v_fmac_f64_e32 v[0:1], v[8:9], v[16:17]
	v_fmac_f64_e32 v[2:3], v[10:11], v[16:17]
	v_fma_f64 v[0:1], -v[10:11], v[18:19], v[0:1]
	v_fmac_f64_e32 v[2:3], v[8:9], v[18:19]
	s_branch .LBB114_9
.LBB114_18:
	s_endpgm
	.section	.rodata,"a",@progbits
	.p2align	6, 0x0
	.amdhsa_kernel _ZN9rocsparseL21csrmvn_general_kernelILj256ELj32Eli21rocsparse_complex_numIdES2_S2_S2_EEvbT2_NS_24const_host_device_scalarIT6_EEPKT1_S9_PKS3_PKT3_PKT4_S6_PT5_21rocsparse_index_base_b
		.amdhsa_group_segment_fixed_size 4096
		.amdhsa_private_segment_fixed_size 0
		.amdhsa_kernarg_size 352
		.amdhsa_user_sgpr_count 8
		.amdhsa_user_sgpr_private_segment_buffer 1
		.amdhsa_user_sgpr_dispatch_ptr 1
		.amdhsa_user_sgpr_queue_ptr 0
		.amdhsa_user_sgpr_kernarg_segment_ptr 1
		.amdhsa_user_sgpr_dispatch_id 0
		.amdhsa_user_sgpr_flat_scratch_init 0
		.amdhsa_user_sgpr_kernarg_preload_length 0
		.amdhsa_user_sgpr_kernarg_preload_offset 0
		.amdhsa_user_sgpr_private_segment_size 0
		.amdhsa_uses_dynamic_stack 0
		.amdhsa_system_sgpr_private_segment_wavefront_offset 0
		.amdhsa_system_sgpr_workgroup_id_x 1
		.amdhsa_system_sgpr_workgroup_id_y 0
		.amdhsa_system_sgpr_workgroup_id_z 0
		.amdhsa_system_sgpr_workgroup_info 0
		.amdhsa_system_vgpr_workitem_id 2
		.amdhsa_next_free_vgpr 38
		.amdhsa_next_free_sgpr 28
		.amdhsa_accum_offset 40
		.amdhsa_reserve_vcc 1
		.amdhsa_reserve_flat_scratch 0
		.amdhsa_float_round_mode_32 0
		.amdhsa_float_round_mode_16_64 0
		.amdhsa_float_denorm_mode_32 3
		.amdhsa_float_denorm_mode_16_64 3
		.amdhsa_dx10_clamp 1
		.amdhsa_ieee_mode 1
		.amdhsa_fp16_overflow 0
		.amdhsa_tg_split 0
		.amdhsa_exception_fp_ieee_invalid_op 0
		.amdhsa_exception_fp_denorm_src 0
		.amdhsa_exception_fp_ieee_div_zero 0
		.amdhsa_exception_fp_ieee_overflow 0
		.amdhsa_exception_fp_ieee_underflow 0
		.amdhsa_exception_fp_ieee_inexact 0
		.amdhsa_exception_int_div_zero 0
	.end_amdhsa_kernel
	.section	.text._ZN9rocsparseL21csrmvn_general_kernelILj256ELj32Eli21rocsparse_complex_numIdES2_S2_S2_EEvbT2_NS_24const_host_device_scalarIT6_EEPKT1_S9_PKS3_PKT3_PKT4_S6_PT5_21rocsparse_index_base_b,"axG",@progbits,_ZN9rocsparseL21csrmvn_general_kernelILj256ELj32Eli21rocsparse_complex_numIdES2_S2_S2_EEvbT2_NS_24const_host_device_scalarIT6_EEPKT1_S9_PKS3_PKT3_PKT4_S6_PT5_21rocsparse_index_base_b,comdat
.Lfunc_end114:
	.size	_ZN9rocsparseL21csrmvn_general_kernelILj256ELj32Eli21rocsparse_complex_numIdES2_S2_S2_EEvbT2_NS_24const_host_device_scalarIT6_EEPKT1_S9_PKS3_PKT3_PKT4_S6_PT5_21rocsparse_index_base_b, .Lfunc_end114-_ZN9rocsparseL21csrmvn_general_kernelILj256ELj32Eli21rocsparse_complex_numIdES2_S2_S2_EEvbT2_NS_24const_host_device_scalarIT6_EEPKT1_S9_PKS3_PKT3_PKT4_S6_PT5_21rocsparse_index_base_b
                                        ; -- End function
	.section	.AMDGPU.csdata,"",@progbits
; Kernel info:
; codeLenInByte = 1200
; NumSgprs: 32
; NumVgprs: 38
; NumAgprs: 0
; TotalNumVgprs: 38
; ScratchSize: 0
; MemoryBound: 0
; FloatMode: 240
; IeeeMode: 1
; LDSByteSize: 4096 bytes/workgroup (compile time only)
; SGPRBlocks: 3
; VGPRBlocks: 4
; NumSGPRsForWavesPerEU: 32
; NumVGPRsForWavesPerEU: 38
; AccumOffset: 40
; Occupancy: 8
; WaveLimiterHint : 1
; COMPUTE_PGM_RSRC2:SCRATCH_EN: 0
; COMPUTE_PGM_RSRC2:USER_SGPR: 8
; COMPUTE_PGM_RSRC2:TRAP_HANDLER: 0
; COMPUTE_PGM_RSRC2:TGID_X_EN: 1
; COMPUTE_PGM_RSRC2:TGID_Y_EN: 0
; COMPUTE_PGM_RSRC2:TGID_Z_EN: 0
; COMPUTE_PGM_RSRC2:TIDIG_COMP_CNT: 2
; COMPUTE_PGM_RSRC3_GFX90A:ACCUM_OFFSET: 9
; COMPUTE_PGM_RSRC3_GFX90A:TG_SPLIT: 0
	.section	.text._ZN9rocsparseL21csrmvn_general_kernelILj256ELj64Eli21rocsparse_complex_numIdES2_S2_S2_EEvbT2_NS_24const_host_device_scalarIT6_EEPKT1_S9_PKS3_PKT3_PKT4_S6_PT5_21rocsparse_index_base_b,"axG",@progbits,_ZN9rocsparseL21csrmvn_general_kernelILj256ELj64Eli21rocsparse_complex_numIdES2_S2_S2_EEvbT2_NS_24const_host_device_scalarIT6_EEPKT1_S9_PKS3_PKT3_PKT4_S6_PT5_21rocsparse_index_base_b,comdat
	.globl	_ZN9rocsparseL21csrmvn_general_kernelILj256ELj64Eli21rocsparse_complex_numIdES2_S2_S2_EEvbT2_NS_24const_host_device_scalarIT6_EEPKT1_S9_PKS3_PKT3_PKT4_S6_PT5_21rocsparse_index_base_b ; -- Begin function _ZN9rocsparseL21csrmvn_general_kernelILj256ELj64Eli21rocsparse_complex_numIdES2_S2_S2_EEvbT2_NS_24const_host_device_scalarIT6_EEPKT1_S9_PKS3_PKT3_PKT4_S6_PT5_21rocsparse_index_base_b
	.p2align	8
	.type	_ZN9rocsparseL21csrmvn_general_kernelILj256ELj64Eli21rocsparse_complex_numIdES2_S2_S2_EEvbT2_NS_24const_host_device_scalarIT6_EEPKT1_S9_PKS3_PKT3_PKT4_S6_PT5_21rocsparse_index_base_b,@function
_ZN9rocsparseL21csrmvn_general_kernelILj256ELj64Eli21rocsparse_complex_numIdES2_S2_S2_EEvbT2_NS_24const_host_device_scalarIT6_EEPKT1_S9_PKS3_PKT3_PKT4_S6_PT5_21rocsparse_index_base_b: ; @_ZN9rocsparseL21csrmvn_general_kernelILj256ELj64Eli21rocsparse_complex_numIdES2_S2_S2_EEvbT2_NS_24const_host_device_scalarIT6_EEPKT1_S9_PKS3_PKT3_PKT4_S6_PT5_21rocsparse_index_base_b
; %bb.0:
	s_load_dwordx2 s[24:25], s[6:7], 0x58
	s_load_dwordx8 s[12:19], s[6:7], 0x8
	s_load_dwordx4 s[20:23], s[6:7], 0x40
	s_mov_b64 s[2:3], src_shared_base
	s_load_dwordx2 s[4:5], s[4:5], 0x4
	s_waitcnt lgkmcnt(0)
	s_bitcmp1_b32 s25, 0
	s_cselect_b64 s[0:1], -1, 0
	s_and_b64 vcc, s[0:1], exec
	s_cselect_b32 s2, s3, s13
	s_lshr_b32 s4, s4, 16
	v_and_b32_e32 v1, 0x3ff, v0
	s_mul_i32 s4, s4, s5
	v_mul_lo_u32 v2, s4, v1
	v_bfe_u32 v3, v0, 10, 10
	v_mad_u32_u24 v2, v3, s5, v2
	v_bfe_u32 v0, v0, 20, 10
	v_add_lshl_u32 v0, v2, v0, 3
	v_mov_b32_e32 v6, s12
	v_add_u32_e32 v7, 0x800, v0
	v_pk_mov_b32 v[2:3], s[12:13], s[12:13] op_sel:[0,1]
	v_pk_mov_b32 v[4:5], s[20:21], s[20:21] op_sel:[0,1]
	ds_write2st64_b64 v0, v[4:5], v[2:3] offset1:4
	v_cndmask_b32_e64 v2, v6, v7, s[0:1]
	v_mov_b32_e32 v3, s2
	flat_load_dwordx2 v[4:5], v[2:3]
	s_xor_b64 s[4:5], s[0:1], -1
	v_pk_mov_b32 v[6:7], s[14:15], s[14:15] op_sel:[0,1]
	s_cbranch_vccnz .LBB115_2
; %bb.1:
	v_pk_mov_b32 v[2:3], s[12:13], s[12:13] op_sel:[0,1]
	flat_load_dwordx2 v[6:7], v[2:3] offset:8
.LBB115_2:
	s_and_b64 s[10:11], s[0:1], exec
	s_cselect_b32 s2, s3, s21
	v_mov_b32_e32 v2, s20
	v_cndmask_b32_e64 v2, v2, v0, s[0:1]
	v_mov_b32_e32 v3, s2
	flat_load_dwordx2 v[8:9], v[2:3]
	s_andn2_b64 vcc, exec, s[4:5]
	v_pk_mov_b32 v[10:11], s[22:23], s[22:23] op_sel:[0,1]
	s_cbranch_vccnz .LBB115_4
; %bb.3:
	v_pk_mov_b32 v[2:3], s[20:21], s[20:21] op_sel:[0,1]
	flat_load_dwordx2 v[10:11], v[2:3] offset:8
.LBB115_4:
	s_waitcnt vmcnt(0) lgkmcnt(0)
	v_cmp_eq_f64_e32 vcc, 0, v[4:5]
	v_cmp_eq_f64_e64 s[0:1], 0, v[6:7]
	s_and_b64 s[4:5], vcc, s[0:1]
	s_mov_b64 s[0:1], -1
	s_and_saveexec_b64 s[2:3], s[4:5]
; %bb.5:
	v_cmp_neq_f64_e32 vcc, 1.0, v[8:9]
	v_cmp_neq_f64_e64 s[0:1], 0, v[10:11]
	s_or_b64 s[0:1], vcc, s[0:1]
	s_orn2_b64 s[0:1], s[0:1], exec
; %bb.6:
	s_or_b64 exec, exec, s[2:3]
	s_and_saveexec_b64 s[2:3], s[0:1]
	s_cbranch_execz .LBB115_18
; %bb.7:
	s_load_dwordx2 s[12:13], s[6:7], 0x0
	v_lshl_or_b32 v0, s8, 8, v1
	v_lshrrev_b32_e32 v12, 6, v0
	s_waitcnt lgkmcnt(0)
	v_cmp_gt_i32_e32 vcc, s13, v12
	s_and_b64 exec, exec, vcc
	s_cbranch_execz .LBB115_18
; %bb.8:
	s_load_dword s0, s[6:7], 0x60
	s_load_dwordx2 s[14:15], s[6:7], 0x50
	s_load_dwordx4 s[8:11], s[6:7], 0x28
	s_load_dwordx2 s[2:3], s[6:7], 0x38
	v_and_b32_e32 v0, 63, v1
	s_waitcnt lgkmcnt(0)
	s_lshl_b32 s25, s0, 2
	v_subrev_co_u32_e32 v22, vcc, s24, v0
	s_bitcmp1_b32 s12, 0
	v_subb_co_u32_e64 v23, s[4:5], 0, 0, vcc
	s_cselect_b64 s[0:1], -1, 0
	s_ashr_i32 s5, s24, 31
	s_mov_b32 s4, s24
	s_lshl_b64 s[4:5], s[4:5], 4
	s_sub_u32 s12, s2, s4
	s_subb_u32 s23, s3, s5
	v_cmp_neq_f64_e32 vcc, 0, v[8:9]
	v_cmp_neq_f64_e64 s[4:5], 0, v[10:11]
	s_or_b64 s[20:21], vcc, s[4:5]
	s_mov_b32 s22, 0
	s_add_u32 s26, s10, 8
	v_cmp_eq_u32_e64 s[2:3], 63, v0
	s_mov_b64 s[6:7], 0
	s_addc_u32 s27, s11, 0
	v_mov_b32_e32 v24, s17
	v_mov_b32_e32 v25, s19
	;; [unrolled: 1-line block ×4, first 2 shown]
	s_branch .LBB115_11
.LBB115_9:                              ;   in Loop: Header=BB115_11 Depth=1
	s_or_b64 exec, exec, s[10:11]
	global_store_dwordx4 v[14:15], v[0:3], off
.LBB115_10:                             ;   in Loop: Header=BB115_11 Depth=1
	s_or_b64 exec, exec, s[4:5]
	v_add_u32_e32 v12, s25, v12
	v_cmp_le_i32_e32 vcc, s13, v12
	s_or_b64 s[6:7], vcc, s[6:7]
	s_andn2_b64 exec, exec, s[6:7]
	s_cbranch_execz .LBB115_18
.LBB115_11:                             ; =>This Loop Header: Depth=1
                                        ;     Child Loop BB115_13 Depth 2
	v_ashrrev_i32_e32 v13, 31, v12
	v_lshlrev_b64 v[0:1], 3, v[12:13]
	v_add_co_u32_e32 v2, vcc, s18, v0
	v_addc_co_u32_e32 v3, vcc, v25, v1, vcc
	global_load_dwordx2 v[2:3], v[2:3], off
	v_add_co_u32_e32 v0, vcc, s16, v0
	v_addc_co_u32_e32 v1, vcc, v24, v1, vcc
	global_load_dwordx2 v[14:15], v[0:1], off
	v_pk_mov_b32 v[0:1], 0, 0
	v_pk_mov_b32 v[16:17], v[0:1], v[0:1] op_sel:[0,1]
	s_waitcnt vmcnt(1)
	v_subrev_co_u32_e32 v2, vcc, s24, v2
	v_subb_co_u32_e32 v3, vcc, v3, v26, vcc
	s_waitcnt vmcnt(0)
	v_add_co_u32_e32 v14, vcc, v14, v22
	v_addc_co_u32_e32 v15, vcc, v15, v23, vcc
	v_cmp_lt_i64_e32 vcc, v[14:15], v[2:3]
	s_and_saveexec_b64 s[10:11], vcc
	s_cbranch_execz .LBB115_15
; %bb.12:                               ;   in Loop: Header=BB115_11 Depth=1
	v_lshlrev_b64 v[0:1], 4, v[14:15]
	v_mov_b32_e32 v16, s27
	v_add_co_u32_e32 v18, vcc, s26, v0
	v_addc_co_u32_e32 v19, vcc, v16, v1, vcc
	v_lshlrev_b64 v[0:1], 2, v[14:15]
	v_mov_b32_e32 v16, s9
	v_add_co_u32_e32 v20, vcc, s8, v0
	v_addc_co_u32_e32 v21, vcc, v16, v1, vcc
	v_pk_mov_b32 v[0:1], 0, 0
	s_mov_b64 s[22:23], 0
	v_pk_mov_b32 v[16:17], v[0:1], v[0:1] op_sel:[0,1]
.LBB115_13:                             ;   Parent Loop BB115_11 Depth=1
                                        ; =>  This Inner Loop Header: Depth=2
	global_load_dword v32, v[20:21], off
	global_load_dwordx4 v[28:31], v[18:19], off offset:-8
	s_waitcnt vmcnt(1)
	v_ashrrev_i32_e32 v33, 31, v32
	v_lshlrev_b64 v[32:33], 4, v[32:33]
	v_add_co_u32_e32 v32, vcc, s12, v32
	v_addc_co_u32_e32 v33, vcc, v27, v33, vcc
	global_load_dwordx4 v[32:35], v[32:33], off
	v_add_co_u32_e32 v14, vcc, 64, v14
	s_waitcnt vmcnt(1)
	v_xor_b32_e32 v36, 0x80000000, v31
	v_addc_co_u32_e32 v15, vcc, 0, v15, vcc
	v_cndmask_b32_e64 v31, v31, v36, s[0:1]
	v_add_co_u32_e32 v18, vcc, 0x400, v18
	v_mul_f64 v[36:37], v[30:31], -v[6:7]
	v_mul_f64 v[30:31], v[4:5], v[30:31]
	v_addc_co_u32_e32 v19, vcc, 0, v19, vcc
	v_fmac_f64_e32 v[36:37], v[4:5], v[28:29]
	v_fmac_f64_e32 v[30:31], v[6:7], v[28:29]
	v_add_co_u32_e32 v20, vcc, 0x100, v20
	v_cmp_ge_i64_e64 s[4:5], v[14:15], v[2:3]
	v_addc_co_u32_e32 v21, vcc, 0, v21, vcc
	s_or_b64 s[22:23], s[4:5], s[22:23]
	s_waitcnt vmcnt(0)
	v_fmac_f64_e32 v[16:17], v[36:37], v[32:33]
	v_fmac_f64_e32 v[0:1], v[30:31], v[32:33]
	v_fma_f64 v[16:17], -v[30:31], v[34:35], v[16:17]
	v_fmac_f64_e32 v[0:1], v[36:37], v[34:35]
	s_andn2_b64 exec, exec, s[22:23]
	s_cbranch_execnz .LBB115_13
; %bb.14:                               ;   in Loop: Header=BB115_11 Depth=1
	s_or_b64 exec, exec, s[22:23]
.LBB115_15:                             ;   in Loop: Header=BB115_11 Depth=1
	s_or_b64 exec, exec, s[10:11]
	v_mov_b32_dpp v2, v16 row_shr:1 row_mask:0xf bank_mask:0xf
	v_mov_b32_dpp v3, v17 row_shr:1 row_mask:0xf bank_mask:0xf
	v_add_f64 v[2:3], v[16:17], v[2:3]
	v_mov_b32_dpp v16, v0 row_shr:1 row_mask:0xf bank_mask:0xf
	v_mov_b32_dpp v17, v1 row_shr:1 row_mask:0xf bank_mask:0xf
	v_add_f64 v[0:1], v[0:1], v[16:17]
	v_mov_b32_dpp v14, v2 row_shr:2 row_mask:0xf bank_mask:0xf
	v_mov_b32_dpp v15, v3 row_shr:2 row_mask:0xf bank_mask:0xf
	v_mov_b32_dpp v16, v0 row_shr:2 row_mask:0xf bank_mask:0xf
	v_mov_b32_dpp v17, v1 row_shr:2 row_mask:0xf bank_mask:0xf
	v_add_f64 v[2:3], v[2:3], v[14:15]
	v_add_f64 v[0:1], v[0:1], v[16:17]
	s_nop 0
	v_mov_b32_dpp v14, v2 row_shr:4 row_mask:0xf bank_mask:0xe
	v_mov_b32_dpp v15, v3 row_shr:4 row_mask:0xf bank_mask:0xe
	v_mov_b32_dpp v16, v0 row_shr:4 row_mask:0xf bank_mask:0xe
	v_mov_b32_dpp v17, v1 row_shr:4 row_mask:0xf bank_mask:0xe
	v_add_f64 v[2:3], v[2:3], v[14:15]
	v_add_f64 v[0:1], v[0:1], v[16:17]
	s_nop 0
	;; [unrolled: 7-line block ×3, first 2 shown]
	v_mov_b32_dpp v14, v2 row_bcast:15 row_mask:0xa bank_mask:0xf
	v_mov_b32_dpp v15, v3 row_bcast:15 row_mask:0xa bank_mask:0xf
	;; [unrolled: 1-line block ×4, first 2 shown]
	v_add_f64 v[2:3], v[2:3], v[14:15]
	v_add_f64 v[16:17], v[0:1], v[16:17]
	s_nop 0
	v_mov_b32_dpp v14, v2 row_bcast:31 row_mask:0xc bank_mask:0xf
	v_mov_b32_dpp v15, v3 row_bcast:31 row_mask:0xc bank_mask:0xf
	;; [unrolled: 1-line block ×4, first 2 shown]
	s_and_saveexec_b64 s[4:5], s[2:3]
	s_cbranch_execz .LBB115_10
; %bb.16:                               ;   in Loop: Header=BB115_11 Depth=1
	v_add_f64 v[0:1], v[2:3], v[14:15]
	v_lshlrev_b64 v[14:15], 4, v[12:13]
	v_mov_b32_e32 v13, s15
	v_add_co_u32_e32 v14, vcc, s14, v14
	v_add_f64 v[2:3], v[16:17], v[18:19]
	v_addc_co_u32_e32 v15, vcc, v13, v15, vcc
	s_and_saveexec_b64 s[10:11], s[20:21]
	s_cbranch_execz .LBB115_9
; %bb.17:                               ;   in Loop: Header=BB115_11 Depth=1
	global_load_dwordx4 v[16:19], v[14:15], off
	s_waitcnt vmcnt(0)
	v_fmac_f64_e32 v[0:1], v[8:9], v[16:17]
	v_fmac_f64_e32 v[2:3], v[10:11], v[16:17]
	v_fma_f64 v[0:1], -v[10:11], v[18:19], v[0:1]
	v_fmac_f64_e32 v[2:3], v[8:9], v[18:19]
	s_branch .LBB115_9
.LBB115_18:
	s_endpgm
	.section	.rodata,"a",@progbits
	.p2align	6, 0x0
	.amdhsa_kernel _ZN9rocsparseL21csrmvn_general_kernelILj256ELj64Eli21rocsparse_complex_numIdES2_S2_S2_EEvbT2_NS_24const_host_device_scalarIT6_EEPKT1_S9_PKS3_PKT3_PKT4_S6_PT5_21rocsparse_index_base_b
		.amdhsa_group_segment_fixed_size 4096
		.amdhsa_private_segment_fixed_size 0
		.amdhsa_kernarg_size 352
		.amdhsa_user_sgpr_count 8
		.amdhsa_user_sgpr_private_segment_buffer 1
		.amdhsa_user_sgpr_dispatch_ptr 1
		.amdhsa_user_sgpr_queue_ptr 0
		.amdhsa_user_sgpr_kernarg_segment_ptr 1
		.amdhsa_user_sgpr_dispatch_id 0
		.amdhsa_user_sgpr_flat_scratch_init 0
		.amdhsa_user_sgpr_kernarg_preload_length 0
		.amdhsa_user_sgpr_kernarg_preload_offset 0
		.amdhsa_user_sgpr_private_segment_size 0
		.amdhsa_uses_dynamic_stack 0
		.amdhsa_system_sgpr_private_segment_wavefront_offset 0
		.amdhsa_system_sgpr_workgroup_id_x 1
		.amdhsa_system_sgpr_workgroup_id_y 0
		.amdhsa_system_sgpr_workgroup_id_z 0
		.amdhsa_system_sgpr_workgroup_info 0
		.amdhsa_system_vgpr_workitem_id 2
		.amdhsa_next_free_vgpr 38
		.amdhsa_next_free_sgpr 28
		.amdhsa_accum_offset 40
		.amdhsa_reserve_vcc 1
		.amdhsa_reserve_flat_scratch 0
		.amdhsa_float_round_mode_32 0
		.amdhsa_float_round_mode_16_64 0
		.amdhsa_float_denorm_mode_32 3
		.amdhsa_float_denorm_mode_16_64 3
		.amdhsa_dx10_clamp 1
		.amdhsa_ieee_mode 1
		.amdhsa_fp16_overflow 0
		.amdhsa_tg_split 0
		.amdhsa_exception_fp_ieee_invalid_op 0
		.amdhsa_exception_fp_denorm_src 0
		.amdhsa_exception_fp_ieee_div_zero 0
		.amdhsa_exception_fp_ieee_overflow 0
		.amdhsa_exception_fp_ieee_underflow 0
		.amdhsa_exception_fp_ieee_inexact 0
		.amdhsa_exception_int_div_zero 0
	.end_amdhsa_kernel
	.section	.text._ZN9rocsparseL21csrmvn_general_kernelILj256ELj64Eli21rocsparse_complex_numIdES2_S2_S2_EEvbT2_NS_24const_host_device_scalarIT6_EEPKT1_S9_PKS3_PKT3_PKT4_S6_PT5_21rocsparse_index_base_b,"axG",@progbits,_ZN9rocsparseL21csrmvn_general_kernelILj256ELj64Eli21rocsparse_complex_numIdES2_S2_S2_EEvbT2_NS_24const_host_device_scalarIT6_EEPKT1_S9_PKS3_PKT3_PKT4_S6_PT5_21rocsparse_index_base_b,comdat
.Lfunc_end115:
	.size	_ZN9rocsparseL21csrmvn_general_kernelILj256ELj64Eli21rocsparse_complex_numIdES2_S2_S2_EEvbT2_NS_24const_host_device_scalarIT6_EEPKT1_S9_PKS3_PKT3_PKT4_S6_PT5_21rocsparse_index_base_b, .Lfunc_end115-_ZN9rocsparseL21csrmvn_general_kernelILj256ELj64Eli21rocsparse_complex_numIdES2_S2_S2_EEvbT2_NS_24const_host_device_scalarIT6_EEPKT1_S9_PKS3_PKT3_PKT4_S6_PT5_21rocsparse_index_base_b
                                        ; -- End function
	.section	.AMDGPU.csdata,"",@progbits
; Kernel info:
; codeLenInByte = 1252
; NumSgprs: 32
; NumVgprs: 38
; NumAgprs: 0
; TotalNumVgprs: 38
; ScratchSize: 0
; MemoryBound: 0
; FloatMode: 240
; IeeeMode: 1
; LDSByteSize: 4096 bytes/workgroup (compile time only)
; SGPRBlocks: 3
; VGPRBlocks: 4
; NumSGPRsForWavesPerEU: 32
; NumVGPRsForWavesPerEU: 38
; AccumOffset: 40
; Occupancy: 8
; WaveLimiterHint : 1
; COMPUTE_PGM_RSRC2:SCRATCH_EN: 0
; COMPUTE_PGM_RSRC2:USER_SGPR: 8
; COMPUTE_PGM_RSRC2:TRAP_HANDLER: 0
; COMPUTE_PGM_RSRC2:TGID_X_EN: 1
; COMPUTE_PGM_RSRC2:TGID_Y_EN: 0
; COMPUTE_PGM_RSRC2:TGID_Z_EN: 0
; COMPUTE_PGM_RSRC2:TIDIG_COMP_CNT: 2
; COMPUTE_PGM_RSRC3_GFX90A:ACCUM_OFFSET: 9
; COMPUTE_PGM_RSRC3_GFX90A:TG_SPLIT: 0
	.section	.text._ZN9rocsparseL21csrmvt_general_kernelILj256ELj4Eli21rocsparse_complex_numIdES2_S2_S2_EEvbbT2_NS_24const_host_device_scalarIT6_EEPKT1_S9_PKS3_PKT3_PKT4_PT5_21rocsparse_index_base_b,"axG",@progbits,_ZN9rocsparseL21csrmvt_general_kernelILj256ELj4Eli21rocsparse_complex_numIdES2_S2_S2_EEvbbT2_NS_24const_host_device_scalarIT6_EEPKT1_S9_PKS3_PKT3_PKT4_PT5_21rocsparse_index_base_b,comdat
	.globl	_ZN9rocsparseL21csrmvt_general_kernelILj256ELj4Eli21rocsparse_complex_numIdES2_S2_S2_EEvbbT2_NS_24const_host_device_scalarIT6_EEPKT1_S9_PKS3_PKT3_PKT4_PT5_21rocsparse_index_base_b ; -- Begin function _ZN9rocsparseL21csrmvt_general_kernelILj256ELj4Eli21rocsparse_complex_numIdES2_S2_S2_EEvbbT2_NS_24const_host_device_scalarIT6_EEPKT1_S9_PKS3_PKT3_PKT4_PT5_21rocsparse_index_base_b
	.p2align	8
	.type	_ZN9rocsparseL21csrmvt_general_kernelILj256ELj4Eli21rocsparse_complex_numIdES2_S2_S2_EEvbbT2_NS_24const_host_device_scalarIT6_EEPKT1_S9_PKS3_PKT3_PKT4_PT5_21rocsparse_index_base_b,@function
_ZN9rocsparseL21csrmvt_general_kernelILj256ELj4Eli21rocsparse_complex_numIdES2_S2_S2_EEvbbT2_NS_24const_host_device_scalarIT6_EEPKT1_S9_PKS3_PKT3_PKT4_PT5_21rocsparse_index_base_b: ; @_ZN9rocsparseL21csrmvt_general_kernelILj256ELj4Eli21rocsparse_complex_numIdES2_S2_S2_EEvbbT2_NS_24const_host_device_scalarIT6_EEPKT1_S9_PKS3_PKT3_PKT4_PT5_21rocsparse_index_base_b
; %bb.0:
	s_load_dwordx2 s[10:11], s[6:7], 0x48
	s_load_dwordx2 s[0:1], s[4:5], 0x4
	s_load_dwordx8 s[12:19], s[6:7], 0x8
	v_and_b32_e32 v1, 0x3ff, v0
	v_bfe_u32 v3, v0, 10, 10
	s_waitcnt lgkmcnt(0)
	s_and_b32 s2, 1, s11
	s_lshr_b32 s0, s0, 16
	s_mul_i32 s0, s0, s1
	v_mul_lo_u32 v2, s0, v1
	s_cmp_eq_u32 s2, 1
	v_mad_u32_u24 v2, v3, s1, v2
	v_bfe_u32 v0, v0, 20, 10
	v_add_lshl_u32 v0, v2, v0, 3
	v_pk_mov_b32 v[2:3], s[12:13], s[12:13] op_sel:[0,1]
	s_cselect_b64 vcc, -1, 0
	ds_write_b64 v0, v[2:3]
	s_mov_b64 s[0:1], src_shared_base
	v_cndmask_b32_e32 v2, v2, v0, vcc
	s_and_b64 vcc, vcc, exec
	s_cselect_b32 s0, s1, s13
	v_mov_b32_e32 v3, s0
	flat_load_dwordx2 v[8:9], v[2:3]
	v_pk_mov_b32 v[10:11], s[14:15], s[14:15] op_sel:[0,1]
	s_cbranch_vccnz .LBB116_2
; %bb.1:
	v_pk_mov_b32 v[2:3], s[12:13], s[12:13] op_sel:[0,1]
	flat_load_dwordx2 v[10:11], v[2:3] offset:8
.LBB116_2:
	s_waitcnt vmcnt(0) lgkmcnt(0)
	v_cmp_neq_f64_e32 vcc, 0, v[8:9]
	v_cmp_neq_f64_e64 s[0:1], 0, v[10:11]
	s_or_b64 s[0:1], vcc, s[0:1]
	s_and_saveexec_b64 s[2:3], s[0:1]
	s_cbranch_execz .LBB116_27
; %bb.3:
	s_load_dword s0, s[6:7], 0x0
	s_load_dwordx2 s[4:5], s[6:7], 0x0
	s_load_dword s2, s[6:7], 0x50
	s_load_dwordx8 s[20:27], s[6:7], 0x28
	v_lshl_or_b32 v0, s8, 8, v1
	s_waitcnt lgkmcnt(0)
	s_and_b32 s3, s0, 1
	s_bitcmp1_b32 s4, 8
	s_cselect_b64 s[0:1], -1, 0
	s_lshl_b32 s4, s2, 6
	v_lshrrev_b32_e32 v12, 2, v0
	s_cmp_eq_u32 s3, 0
	v_and_b32_e32 v13, 3, v1
	v_cmp_gt_i32_e64 s[2:3], s5, v12
	s_mov_b64 s[6:7], -1
	s_cbranch_scc0 .LBB116_15
; %bb.4:
	s_and_saveexec_b64 s[6:7], s[2:3]
	s_cbranch_execz .LBB116_14
; %bb.5:
	v_subrev_co_u32_e32 v28, vcc, s10, v13
	s_mov_b32 s11, 0
	v_subb_co_u32_e64 v29, s[8:9], 0, 0, vcc
	s_mov_b64 s[8:9], 0
	v_mov_b32_e32 v30, s17
	v_mov_b32_e32 v31, s19
	v_mov_b32_e32 v32, s11
	v_mov_b32_e32 v14, v12
	s_branch .LBB116_7
.LBB116_6:                              ;   in Loop: Header=BB116_7 Depth=1
	s_or_b64 exec, exec, s[12:13]
	v_add_u32_e32 v14, s4, v14
	v_cmp_le_i32_e32 vcc, s5, v14
	s_or_b64 s[8:9], vcc, s[8:9]
	s_andn2_b64 exec, exec, s[8:9]
	s_cbranch_execz .LBB116_14
.LBB116_7:                              ; =>This Loop Header: Depth=1
                                        ;     Child Loop BB116_9 Depth 2
                                        ;       Child Loop BB116_10 Depth 3
                                        ;       Child Loop BB116_12 Depth 3
	v_ashrrev_i32_e32 v15, 31, v14
	v_lshlrev_b64 v[0:1], 3, v[14:15]
	v_add_co_u32_e32 v2, vcc, s18, v0
	v_addc_co_u32_e32 v3, vcc, v31, v1, vcc
	global_load_dwordx2 v[2:3], v[2:3], off
	v_add_co_u32_e32 v0, vcc, s16, v0
	v_addc_co_u32_e32 v1, vcc, v30, v1, vcc
	global_load_dwordx2 v[0:1], v[0:1], off
	s_waitcnt vmcnt(1)
	v_subrev_co_u32_e32 v16, vcc, s10, v2
	v_subb_co_u32_e32 v17, vcc, v3, v32, vcc
	s_waitcnt vmcnt(0)
	v_add_co_u32_e32 v18, vcc, v0, v28
	v_addc_co_u32_e32 v19, vcc, v1, v29, vcc
	v_cmp_lt_i64_e32 vcc, v[18:19], v[16:17]
	s_and_saveexec_b64 s[12:13], vcc
	s_cbranch_execz .LBB116_6
; %bb.8:                                ;   in Loop: Header=BB116_7 Depth=1
	v_lshlrev_b64 v[0:1], 4, v[14:15]
	v_mov_b32_e32 v2, s25
	v_add_co_u32_e32 v0, vcc, s24, v0
	v_addc_co_u32_e32 v1, vcc, v2, v1, vcc
	global_load_dwordx4 v[0:3], v[0:1], off
	s_mov_b64 s[14:15], 0
	s_waitcnt vmcnt(0)
	v_mul_f64 v[20:21], v[2:3], -v[10:11]
	v_mul_f64 v[22:23], v[8:9], v[2:3]
	v_fmac_f64_e32 v[20:21], v[8:9], v[0:1]
	v_fmac_f64_e32 v[22:23], v[10:11], v[0:1]
.LBB116_9:                              ;   Parent Loop BB116_7 Depth=1
                                        ; =>  This Loop Header: Depth=2
                                        ;       Child Loop BB116_10 Depth 3
                                        ;       Child Loop BB116_12 Depth 3
	v_lshlrev_b64 v[0:1], 2, v[18:19]
	v_mov_b32_e32 v2, s21
	v_add_co_u32_e32 v0, vcc, s20, v0
	v_addc_co_u32_e32 v1, vcc, v2, v1, vcc
	global_load_dword v4, v[0:1], off
	v_lshlrev_b64 v[0:1], 4, v[18:19]
	v_mov_b32_e32 v2, s23
	v_add_co_u32_e32 v0, vcc, s22, v0
	v_addc_co_u32_e32 v1, vcc, v2, v1, vcc
	global_load_dwordx4 v[0:3], v[0:1], off
	v_mov_b32_e32 v6, s27
	s_mov_b64 s[28:29], 0
	s_waitcnt vmcnt(1)
	v_subrev_u32_e32 v4, s10, v4
	v_ashrrev_i32_e32 v5, 31, v4
	v_lshlrev_b64 v[4:5], 4, v[4:5]
	v_add_co_u32_e32 v24, vcc, s26, v4
	v_addc_co_u32_e32 v25, vcc, v6, v5, vcc
	global_load_dwordx2 v[6:7], v[24:25], off
	s_waitcnt vmcnt(1)
	v_xor_b32_e32 v4, 0x80000000, v3
	v_cndmask_b32_e64 v3, v3, v4, s[0:1]
	v_mul_f64 v[26:27], v[2:3], -v[22:23]
	v_fmac_f64_e32 v[26:27], v[20:21], v[0:1]
.LBB116_10:                             ;   Parent Loop BB116_7 Depth=1
                                        ;     Parent Loop BB116_9 Depth=2
                                        ; =>    This Inner Loop Header: Depth=3
	s_waitcnt vmcnt(0)
	v_add_f64 v[4:5], v[6:7], v[26:27]
	global_atomic_cmpswap_x2 v[4:5], v[24:25], v[4:7], off glc
	s_waitcnt vmcnt(0)
	v_cmp_eq_u64_e32 vcc, v[4:5], v[6:7]
	s_or_b64 s[28:29], vcc, s[28:29]
	v_pk_mov_b32 v[6:7], v[4:5], v[4:5] op_sel:[0,1]
	s_andn2_b64 exec, exec, s[28:29]
	s_cbranch_execnz .LBB116_10
; %bb.11:                               ;   in Loop: Header=BB116_9 Depth=2
	s_or_b64 exec, exec, s[28:29]
	global_load_dwordx2 v[4:5], v[24:25], off offset:8
	v_mul_f64 v[6:7], v[20:21], v[2:3]
	v_fmac_f64_e32 v[6:7], v[22:23], v[0:1]
	s_mov_b64 s[28:29], 0
.LBB116_12:                             ;   Parent Loop BB116_7 Depth=1
                                        ;     Parent Loop BB116_9 Depth=2
                                        ; =>    This Inner Loop Header: Depth=3
	s_waitcnt vmcnt(0)
	v_add_f64 v[2:3], v[4:5], v[6:7]
	global_atomic_cmpswap_x2 v[0:1], v[24:25], v[2:5], off offset:8 glc
	s_waitcnt vmcnt(0)
	v_cmp_eq_u64_e32 vcc, v[0:1], v[4:5]
	s_or_b64 s[28:29], vcc, s[28:29]
	v_pk_mov_b32 v[4:5], v[0:1], v[0:1] op_sel:[0,1]
	s_andn2_b64 exec, exec, s[28:29]
	s_cbranch_execnz .LBB116_12
; %bb.13:                               ;   in Loop: Header=BB116_9 Depth=2
	s_or_b64 exec, exec, s[28:29]
	v_add_co_u32_e32 v18, vcc, 4, v18
	v_addc_co_u32_e32 v19, vcc, 0, v19, vcc
	v_cmp_ge_i64_e32 vcc, v[18:19], v[16:17]
	s_or_b64 s[14:15], vcc, s[14:15]
	s_andn2_b64 exec, exec, s[14:15]
	s_cbranch_execnz .LBB116_9
	s_branch .LBB116_6
.LBB116_14:
	s_or_b64 exec, exec, s[6:7]
	s_mov_b64 s[6:7], 0
.LBB116_15:
	s_andn2_b64 vcc, exec, s[6:7]
	s_cbranch_vccnz .LBB116_27
; %bb.16:
	s_and_b64 exec, exec, s[2:3]
	s_cbranch_execz .LBB116_27
; %bb.17:
	v_subrev_co_u32_e32 v26, vcc, s10, v13
	s_mov_b32 s6, 0
	v_subb_co_u32_e64 v27, s[2:3], 0, 0, vcc
	s_mov_b64 s[2:3], 0
	v_mov_b32_e32 v28, s17
	v_mov_b32_e32 v29, s19
	;; [unrolled: 1-line block ×3, first 2 shown]
	s_branch .LBB116_19
.LBB116_18:                             ;   in Loop: Header=BB116_19 Depth=1
	s_or_b64 exec, exec, s[6:7]
	v_add_u32_e32 v12, s4, v12
	v_cmp_le_i32_e32 vcc, s5, v12
	s_or_b64 s[2:3], vcc, s[2:3]
	s_andn2_b64 exec, exec, s[2:3]
	s_cbranch_execz .LBB116_27
.LBB116_19:                             ; =>This Loop Header: Depth=1
                                        ;     Child Loop BB116_22 Depth 2
                                        ;       Child Loop BB116_24 Depth 3
                                        ;       Child Loop BB116_26 Depth 3
	v_ashrrev_i32_e32 v13, 31, v12
	v_lshlrev_b64 v[0:1], 3, v[12:13]
	v_add_co_u32_e32 v2, vcc, s18, v0
	v_addc_co_u32_e32 v3, vcc, v29, v1, vcc
	global_load_dwordx2 v[2:3], v[2:3], off
	v_add_co_u32_e32 v0, vcc, s16, v0
	v_addc_co_u32_e32 v1, vcc, v28, v1, vcc
	global_load_dwordx2 v[0:1], v[0:1], off
	s_waitcnt vmcnt(1)
	v_subrev_co_u32_e32 v14, vcc, s10, v2
	v_subb_co_u32_e32 v15, vcc, v3, v30, vcc
	s_waitcnt vmcnt(0)
	v_add_co_u32_e32 v16, vcc, v0, v26
	v_addc_co_u32_e32 v17, vcc, v1, v27, vcc
	v_cmp_lt_i64_e32 vcc, v[16:17], v[14:15]
	s_and_saveexec_b64 s[6:7], vcc
	s_cbranch_execz .LBB116_18
; %bb.20:                               ;   in Loop: Header=BB116_19 Depth=1
	v_lshlrev_b64 v[0:1], 4, v[12:13]
	v_mov_b32_e32 v2, s25
	v_add_co_u32_e32 v0, vcc, s24, v0
	v_addc_co_u32_e32 v1, vcc, v2, v1, vcc
	global_load_dwordx4 v[0:3], v[0:1], off
	s_mov_b64 s[8:9], 0
	s_waitcnt vmcnt(0)
	v_mul_f64 v[18:19], v[2:3], -v[10:11]
	v_mul_f64 v[20:21], v[8:9], v[2:3]
	v_fmac_f64_e32 v[18:19], v[8:9], v[0:1]
	v_fmac_f64_e32 v[20:21], v[10:11], v[0:1]
	s_branch .LBB116_22
.LBB116_21:                             ;   in Loop: Header=BB116_22 Depth=2
	s_or_b64 exec, exec, s[12:13]
	v_add_co_u32_e32 v16, vcc, 4, v16
	v_addc_co_u32_e32 v17, vcc, 0, v17, vcc
	v_cmp_ge_i64_e32 vcc, v[16:17], v[14:15]
	s_or_b64 s[8:9], vcc, s[8:9]
	s_andn2_b64 exec, exec, s[8:9]
	s_cbranch_execz .LBB116_18
.LBB116_22:                             ;   Parent Loop BB116_19 Depth=1
                                        ; =>  This Loop Header: Depth=2
                                        ;       Child Loop BB116_24 Depth 3
                                        ;       Child Loop BB116_26 Depth 3
	v_lshlrev_b64 v[0:1], 2, v[16:17]
	v_mov_b32_e32 v2, s21
	v_add_co_u32_e32 v0, vcc, s20, v0
	v_addc_co_u32_e32 v1, vcc, v2, v1, vcc
	global_load_dword v0, v[0:1], off
	s_waitcnt vmcnt(0)
	v_subrev_u32_e32 v4, s10, v0
	v_cmp_ne_u32_e32 vcc, v4, v12
	s_and_saveexec_b64 s[12:13], vcc
	s_cbranch_execz .LBB116_21
; %bb.23:                               ;   in Loop: Header=BB116_22 Depth=2
	v_lshlrev_b64 v[0:1], 4, v[16:17]
	v_mov_b32_e32 v2, s23
	v_add_co_u32_e32 v0, vcc, s22, v0
	v_addc_co_u32_e32 v1, vcc, v2, v1, vcc
	global_load_dwordx4 v[0:3], v[0:1], off
	v_ashrrev_i32_e32 v5, 31, v4
	v_lshlrev_b64 v[4:5], 4, v[4:5]
	v_mov_b32_e32 v6, s27
	v_add_co_u32_e32 v22, vcc, s26, v4
	v_addc_co_u32_e32 v23, vcc, v6, v5, vcc
	global_load_dwordx2 v[6:7], v[22:23], off
	s_mov_b64 s[14:15], 0
	s_waitcnt vmcnt(1)
	v_xor_b32_e32 v4, 0x80000000, v3
	v_cndmask_b32_e64 v3, v3, v4, s[0:1]
	v_mul_f64 v[24:25], v[2:3], -v[20:21]
	v_fmac_f64_e32 v[24:25], v[18:19], v[0:1]
.LBB116_24:                             ;   Parent Loop BB116_19 Depth=1
                                        ;     Parent Loop BB116_22 Depth=2
                                        ; =>    This Inner Loop Header: Depth=3
	s_waitcnt vmcnt(0)
	v_add_f64 v[4:5], v[6:7], v[24:25]
	global_atomic_cmpswap_x2 v[4:5], v[22:23], v[4:7], off glc
	s_waitcnt vmcnt(0)
	v_cmp_eq_u64_e32 vcc, v[4:5], v[6:7]
	s_or_b64 s[14:15], vcc, s[14:15]
	v_pk_mov_b32 v[6:7], v[4:5], v[4:5] op_sel:[0,1]
	s_andn2_b64 exec, exec, s[14:15]
	s_cbranch_execnz .LBB116_24
; %bb.25:                               ;   in Loop: Header=BB116_22 Depth=2
	s_or_b64 exec, exec, s[14:15]
	global_load_dwordx2 v[4:5], v[22:23], off offset:8
	v_mul_f64 v[6:7], v[18:19], v[2:3]
	v_fmac_f64_e32 v[6:7], v[20:21], v[0:1]
	s_mov_b64 s[14:15], 0
.LBB116_26:                             ;   Parent Loop BB116_19 Depth=1
                                        ;     Parent Loop BB116_22 Depth=2
                                        ; =>    This Inner Loop Header: Depth=3
	s_waitcnt vmcnt(0)
	v_add_f64 v[2:3], v[4:5], v[6:7]
	global_atomic_cmpswap_x2 v[0:1], v[22:23], v[2:5], off offset:8 glc
	s_waitcnt vmcnt(0)
	v_cmp_eq_u64_e32 vcc, v[0:1], v[4:5]
	s_or_b64 s[14:15], vcc, s[14:15]
	v_pk_mov_b32 v[4:5], v[0:1], v[0:1] op_sel:[0,1]
	s_andn2_b64 exec, exec, s[14:15]
	s_cbranch_execnz .LBB116_26
	s_branch .LBB116_21
.LBB116_27:
	s_endpgm
	.section	.rodata,"a",@progbits
	.p2align	6, 0x0
	.amdhsa_kernel _ZN9rocsparseL21csrmvt_general_kernelILj256ELj4Eli21rocsparse_complex_numIdES2_S2_S2_EEvbbT2_NS_24const_host_device_scalarIT6_EEPKT1_S9_PKS3_PKT3_PKT4_PT5_21rocsparse_index_base_b
		.amdhsa_group_segment_fixed_size 2048
		.amdhsa_private_segment_fixed_size 0
		.amdhsa_kernarg_size 336
		.amdhsa_user_sgpr_count 8
		.amdhsa_user_sgpr_private_segment_buffer 1
		.amdhsa_user_sgpr_dispatch_ptr 1
		.amdhsa_user_sgpr_queue_ptr 0
		.amdhsa_user_sgpr_kernarg_segment_ptr 1
		.amdhsa_user_sgpr_dispatch_id 0
		.amdhsa_user_sgpr_flat_scratch_init 0
		.amdhsa_user_sgpr_kernarg_preload_length 0
		.amdhsa_user_sgpr_kernarg_preload_offset 0
		.amdhsa_user_sgpr_private_segment_size 0
		.amdhsa_uses_dynamic_stack 0
		.amdhsa_system_sgpr_private_segment_wavefront_offset 0
		.amdhsa_system_sgpr_workgroup_id_x 1
		.amdhsa_system_sgpr_workgroup_id_y 0
		.amdhsa_system_sgpr_workgroup_id_z 0
		.amdhsa_system_sgpr_workgroup_info 0
		.amdhsa_system_vgpr_workitem_id 2
		.amdhsa_next_free_vgpr 33
		.amdhsa_next_free_sgpr 30
		.amdhsa_accum_offset 36
		.amdhsa_reserve_vcc 1
		.amdhsa_reserve_flat_scratch 0
		.amdhsa_float_round_mode_32 0
		.amdhsa_float_round_mode_16_64 0
		.amdhsa_float_denorm_mode_32 3
		.amdhsa_float_denorm_mode_16_64 3
		.amdhsa_dx10_clamp 1
		.amdhsa_ieee_mode 1
		.amdhsa_fp16_overflow 0
		.amdhsa_tg_split 0
		.amdhsa_exception_fp_ieee_invalid_op 0
		.amdhsa_exception_fp_denorm_src 0
		.amdhsa_exception_fp_ieee_div_zero 0
		.amdhsa_exception_fp_ieee_overflow 0
		.amdhsa_exception_fp_ieee_underflow 0
		.amdhsa_exception_fp_ieee_inexact 0
		.amdhsa_exception_int_div_zero 0
	.end_amdhsa_kernel
	.section	.text._ZN9rocsparseL21csrmvt_general_kernelILj256ELj4Eli21rocsparse_complex_numIdES2_S2_S2_EEvbbT2_NS_24const_host_device_scalarIT6_EEPKT1_S9_PKS3_PKT3_PKT4_PT5_21rocsparse_index_base_b,"axG",@progbits,_ZN9rocsparseL21csrmvt_general_kernelILj256ELj4Eli21rocsparse_complex_numIdES2_S2_S2_EEvbbT2_NS_24const_host_device_scalarIT6_EEPKT1_S9_PKS3_PKT3_PKT4_PT5_21rocsparse_index_base_b,comdat
.Lfunc_end116:
	.size	_ZN9rocsparseL21csrmvt_general_kernelILj256ELj4Eli21rocsparse_complex_numIdES2_S2_S2_EEvbbT2_NS_24const_host_device_scalarIT6_EEPKT1_S9_PKS3_PKT3_PKT4_PT5_21rocsparse_index_base_b, .Lfunc_end116-_ZN9rocsparseL21csrmvt_general_kernelILj256ELj4Eli21rocsparse_complex_numIdES2_S2_S2_EEvbbT2_NS_24const_host_device_scalarIT6_EEPKT1_S9_PKS3_PKT3_PKT4_PT5_21rocsparse_index_base_b
                                        ; -- End function
	.section	.AMDGPU.csdata,"",@progbits
; Kernel info:
; codeLenInByte = 1316
; NumSgprs: 34
; NumVgprs: 33
; NumAgprs: 0
; TotalNumVgprs: 33
; ScratchSize: 0
; MemoryBound: 0
; FloatMode: 240
; IeeeMode: 1
; LDSByteSize: 2048 bytes/workgroup (compile time only)
; SGPRBlocks: 4
; VGPRBlocks: 4
; NumSGPRsForWavesPerEU: 34
; NumVGPRsForWavesPerEU: 33
; AccumOffset: 36
; Occupancy: 8
; WaveLimiterHint : 1
; COMPUTE_PGM_RSRC2:SCRATCH_EN: 0
; COMPUTE_PGM_RSRC2:USER_SGPR: 8
; COMPUTE_PGM_RSRC2:TRAP_HANDLER: 0
; COMPUTE_PGM_RSRC2:TGID_X_EN: 1
; COMPUTE_PGM_RSRC2:TGID_Y_EN: 0
; COMPUTE_PGM_RSRC2:TGID_Z_EN: 0
; COMPUTE_PGM_RSRC2:TIDIG_COMP_CNT: 2
; COMPUTE_PGM_RSRC3_GFX90A:ACCUM_OFFSET: 8
; COMPUTE_PGM_RSRC3_GFX90A:TG_SPLIT: 0
	.section	.text._ZN9rocsparseL21csrmvt_general_kernelILj256ELj8Eli21rocsparse_complex_numIdES2_S2_S2_EEvbbT2_NS_24const_host_device_scalarIT6_EEPKT1_S9_PKS3_PKT3_PKT4_PT5_21rocsparse_index_base_b,"axG",@progbits,_ZN9rocsparseL21csrmvt_general_kernelILj256ELj8Eli21rocsparse_complex_numIdES2_S2_S2_EEvbbT2_NS_24const_host_device_scalarIT6_EEPKT1_S9_PKS3_PKT3_PKT4_PT5_21rocsparse_index_base_b,comdat
	.globl	_ZN9rocsparseL21csrmvt_general_kernelILj256ELj8Eli21rocsparse_complex_numIdES2_S2_S2_EEvbbT2_NS_24const_host_device_scalarIT6_EEPKT1_S9_PKS3_PKT3_PKT4_PT5_21rocsparse_index_base_b ; -- Begin function _ZN9rocsparseL21csrmvt_general_kernelILj256ELj8Eli21rocsparse_complex_numIdES2_S2_S2_EEvbbT2_NS_24const_host_device_scalarIT6_EEPKT1_S9_PKS3_PKT3_PKT4_PT5_21rocsparse_index_base_b
	.p2align	8
	.type	_ZN9rocsparseL21csrmvt_general_kernelILj256ELj8Eli21rocsparse_complex_numIdES2_S2_S2_EEvbbT2_NS_24const_host_device_scalarIT6_EEPKT1_S9_PKS3_PKT3_PKT4_PT5_21rocsparse_index_base_b,@function
_ZN9rocsparseL21csrmvt_general_kernelILj256ELj8Eli21rocsparse_complex_numIdES2_S2_S2_EEvbbT2_NS_24const_host_device_scalarIT6_EEPKT1_S9_PKS3_PKT3_PKT4_PT5_21rocsparse_index_base_b: ; @_ZN9rocsparseL21csrmvt_general_kernelILj256ELj8Eli21rocsparse_complex_numIdES2_S2_S2_EEvbbT2_NS_24const_host_device_scalarIT6_EEPKT1_S9_PKS3_PKT3_PKT4_PT5_21rocsparse_index_base_b
; %bb.0:
	s_load_dwordx2 s[10:11], s[6:7], 0x48
	s_load_dwordx2 s[0:1], s[4:5], 0x4
	s_load_dwordx8 s[12:19], s[6:7], 0x8
	v_and_b32_e32 v1, 0x3ff, v0
	v_bfe_u32 v3, v0, 10, 10
	s_waitcnt lgkmcnt(0)
	s_and_b32 s2, 1, s11
	s_lshr_b32 s0, s0, 16
	s_mul_i32 s0, s0, s1
	v_mul_lo_u32 v2, s0, v1
	s_cmp_eq_u32 s2, 1
	v_mad_u32_u24 v2, v3, s1, v2
	v_bfe_u32 v0, v0, 20, 10
	v_add_lshl_u32 v0, v2, v0, 3
	v_pk_mov_b32 v[2:3], s[12:13], s[12:13] op_sel:[0,1]
	s_cselect_b64 vcc, -1, 0
	ds_write_b64 v0, v[2:3]
	s_mov_b64 s[0:1], src_shared_base
	v_cndmask_b32_e32 v2, v2, v0, vcc
	s_and_b64 vcc, vcc, exec
	s_cselect_b32 s0, s1, s13
	v_mov_b32_e32 v3, s0
	flat_load_dwordx2 v[8:9], v[2:3]
	v_pk_mov_b32 v[10:11], s[14:15], s[14:15] op_sel:[0,1]
	s_cbranch_vccnz .LBB117_2
; %bb.1:
	v_pk_mov_b32 v[2:3], s[12:13], s[12:13] op_sel:[0,1]
	flat_load_dwordx2 v[10:11], v[2:3] offset:8
.LBB117_2:
	s_waitcnt vmcnt(0) lgkmcnt(0)
	v_cmp_neq_f64_e32 vcc, 0, v[8:9]
	v_cmp_neq_f64_e64 s[0:1], 0, v[10:11]
	s_or_b64 s[0:1], vcc, s[0:1]
	s_and_saveexec_b64 s[2:3], s[0:1]
	s_cbranch_execz .LBB117_27
; %bb.3:
	s_load_dword s0, s[6:7], 0x0
	s_load_dwordx2 s[4:5], s[6:7], 0x0
	s_load_dword s2, s[6:7], 0x50
	s_load_dwordx8 s[20:27], s[6:7], 0x28
	v_lshl_or_b32 v0, s8, 8, v1
	s_waitcnt lgkmcnt(0)
	s_and_b32 s3, s0, 1
	s_bitcmp1_b32 s4, 8
	s_cselect_b64 s[0:1], -1, 0
	s_lshl_b32 s4, s2, 5
	v_lshrrev_b32_e32 v12, 3, v0
	s_cmp_eq_u32 s3, 0
	v_and_b32_e32 v13, 7, v1
	v_cmp_gt_i32_e64 s[2:3], s5, v12
	s_mov_b64 s[6:7], -1
	s_cbranch_scc0 .LBB117_15
; %bb.4:
	s_and_saveexec_b64 s[6:7], s[2:3]
	s_cbranch_execz .LBB117_14
; %bb.5:
	v_subrev_co_u32_e32 v28, vcc, s10, v13
	s_mov_b32 s11, 0
	v_subb_co_u32_e64 v29, s[8:9], 0, 0, vcc
	s_mov_b64 s[8:9], 0
	v_mov_b32_e32 v30, s17
	v_mov_b32_e32 v31, s19
	;; [unrolled: 1-line block ×4, first 2 shown]
	s_branch .LBB117_7
.LBB117_6:                              ;   in Loop: Header=BB117_7 Depth=1
	s_or_b64 exec, exec, s[12:13]
	v_add_u32_e32 v14, s4, v14
	v_cmp_le_i32_e32 vcc, s5, v14
	s_or_b64 s[8:9], vcc, s[8:9]
	s_andn2_b64 exec, exec, s[8:9]
	s_cbranch_execz .LBB117_14
.LBB117_7:                              ; =>This Loop Header: Depth=1
                                        ;     Child Loop BB117_9 Depth 2
                                        ;       Child Loop BB117_10 Depth 3
                                        ;       Child Loop BB117_12 Depth 3
	v_ashrrev_i32_e32 v15, 31, v14
	v_lshlrev_b64 v[0:1], 3, v[14:15]
	v_add_co_u32_e32 v2, vcc, s18, v0
	v_addc_co_u32_e32 v3, vcc, v31, v1, vcc
	global_load_dwordx2 v[2:3], v[2:3], off
	v_add_co_u32_e32 v0, vcc, s16, v0
	v_addc_co_u32_e32 v1, vcc, v30, v1, vcc
	global_load_dwordx2 v[0:1], v[0:1], off
	s_waitcnt vmcnt(1)
	v_subrev_co_u32_e32 v16, vcc, s10, v2
	v_subb_co_u32_e32 v17, vcc, v3, v32, vcc
	s_waitcnt vmcnt(0)
	v_add_co_u32_e32 v18, vcc, v0, v28
	v_addc_co_u32_e32 v19, vcc, v1, v29, vcc
	v_cmp_lt_i64_e32 vcc, v[18:19], v[16:17]
	s_and_saveexec_b64 s[12:13], vcc
	s_cbranch_execz .LBB117_6
; %bb.8:                                ;   in Loop: Header=BB117_7 Depth=1
	v_lshlrev_b64 v[0:1], 4, v[14:15]
	v_mov_b32_e32 v2, s25
	v_add_co_u32_e32 v0, vcc, s24, v0
	v_addc_co_u32_e32 v1, vcc, v2, v1, vcc
	global_load_dwordx4 v[0:3], v[0:1], off
	s_mov_b64 s[14:15], 0
	s_waitcnt vmcnt(0)
	v_mul_f64 v[20:21], v[2:3], -v[10:11]
	v_mul_f64 v[22:23], v[8:9], v[2:3]
	v_fmac_f64_e32 v[20:21], v[8:9], v[0:1]
	v_fmac_f64_e32 v[22:23], v[10:11], v[0:1]
.LBB117_9:                              ;   Parent Loop BB117_7 Depth=1
                                        ; =>  This Loop Header: Depth=2
                                        ;       Child Loop BB117_10 Depth 3
                                        ;       Child Loop BB117_12 Depth 3
	v_lshlrev_b64 v[0:1], 2, v[18:19]
	v_mov_b32_e32 v2, s21
	v_add_co_u32_e32 v0, vcc, s20, v0
	v_addc_co_u32_e32 v1, vcc, v2, v1, vcc
	global_load_dword v4, v[0:1], off
	v_lshlrev_b64 v[0:1], 4, v[18:19]
	v_mov_b32_e32 v2, s23
	v_add_co_u32_e32 v0, vcc, s22, v0
	v_addc_co_u32_e32 v1, vcc, v2, v1, vcc
	global_load_dwordx4 v[0:3], v[0:1], off
	v_mov_b32_e32 v6, s27
	s_mov_b64 s[28:29], 0
	s_waitcnt vmcnt(1)
	v_subrev_u32_e32 v4, s10, v4
	v_ashrrev_i32_e32 v5, 31, v4
	v_lshlrev_b64 v[4:5], 4, v[4:5]
	v_add_co_u32_e32 v24, vcc, s26, v4
	v_addc_co_u32_e32 v25, vcc, v6, v5, vcc
	global_load_dwordx2 v[6:7], v[24:25], off
	s_waitcnt vmcnt(1)
	v_xor_b32_e32 v4, 0x80000000, v3
	v_cndmask_b32_e64 v3, v3, v4, s[0:1]
	v_mul_f64 v[26:27], v[2:3], -v[22:23]
	v_fmac_f64_e32 v[26:27], v[20:21], v[0:1]
.LBB117_10:                             ;   Parent Loop BB117_7 Depth=1
                                        ;     Parent Loop BB117_9 Depth=2
                                        ; =>    This Inner Loop Header: Depth=3
	s_waitcnt vmcnt(0)
	v_add_f64 v[4:5], v[6:7], v[26:27]
	global_atomic_cmpswap_x2 v[4:5], v[24:25], v[4:7], off glc
	s_waitcnt vmcnt(0)
	v_cmp_eq_u64_e32 vcc, v[4:5], v[6:7]
	s_or_b64 s[28:29], vcc, s[28:29]
	v_pk_mov_b32 v[6:7], v[4:5], v[4:5] op_sel:[0,1]
	s_andn2_b64 exec, exec, s[28:29]
	s_cbranch_execnz .LBB117_10
; %bb.11:                               ;   in Loop: Header=BB117_9 Depth=2
	s_or_b64 exec, exec, s[28:29]
	global_load_dwordx2 v[4:5], v[24:25], off offset:8
	v_mul_f64 v[6:7], v[20:21], v[2:3]
	v_fmac_f64_e32 v[6:7], v[22:23], v[0:1]
	s_mov_b64 s[28:29], 0
.LBB117_12:                             ;   Parent Loop BB117_7 Depth=1
                                        ;     Parent Loop BB117_9 Depth=2
                                        ; =>    This Inner Loop Header: Depth=3
	s_waitcnt vmcnt(0)
	v_add_f64 v[2:3], v[4:5], v[6:7]
	global_atomic_cmpswap_x2 v[0:1], v[24:25], v[2:5], off offset:8 glc
	s_waitcnt vmcnt(0)
	v_cmp_eq_u64_e32 vcc, v[0:1], v[4:5]
	s_or_b64 s[28:29], vcc, s[28:29]
	v_pk_mov_b32 v[4:5], v[0:1], v[0:1] op_sel:[0,1]
	s_andn2_b64 exec, exec, s[28:29]
	s_cbranch_execnz .LBB117_12
; %bb.13:                               ;   in Loop: Header=BB117_9 Depth=2
	s_or_b64 exec, exec, s[28:29]
	v_add_co_u32_e32 v18, vcc, 8, v18
	v_addc_co_u32_e32 v19, vcc, 0, v19, vcc
	v_cmp_ge_i64_e32 vcc, v[18:19], v[16:17]
	s_or_b64 s[14:15], vcc, s[14:15]
	s_andn2_b64 exec, exec, s[14:15]
	s_cbranch_execnz .LBB117_9
	s_branch .LBB117_6
.LBB117_14:
	s_or_b64 exec, exec, s[6:7]
	s_mov_b64 s[6:7], 0
.LBB117_15:
	s_andn2_b64 vcc, exec, s[6:7]
	s_cbranch_vccnz .LBB117_27
; %bb.16:
	s_and_b64 exec, exec, s[2:3]
	s_cbranch_execz .LBB117_27
; %bb.17:
	v_subrev_co_u32_e32 v26, vcc, s10, v13
	s_mov_b32 s6, 0
	v_subb_co_u32_e64 v27, s[2:3], 0, 0, vcc
	s_mov_b64 s[2:3], 0
	v_mov_b32_e32 v28, s17
	v_mov_b32_e32 v29, s19
	;; [unrolled: 1-line block ×3, first 2 shown]
	s_branch .LBB117_19
.LBB117_18:                             ;   in Loop: Header=BB117_19 Depth=1
	s_or_b64 exec, exec, s[6:7]
	v_add_u32_e32 v12, s4, v12
	v_cmp_le_i32_e32 vcc, s5, v12
	s_or_b64 s[2:3], vcc, s[2:3]
	s_andn2_b64 exec, exec, s[2:3]
	s_cbranch_execz .LBB117_27
.LBB117_19:                             ; =>This Loop Header: Depth=1
                                        ;     Child Loop BB117_22 Depth 2
                                        ;       Child Loop BB117_24 Depth 3
                                        ;       Child Loop BB117_26 Depth 3
	v_ashrrev_i32_e32 v13, 31, v12
	v_lshlrev_b64 v[0:1], 3, v[12:13]
	v_add_co_u32_e32 v2, vcc, s18, v0
	v_addc_co_u32_e32 v3, vcc, v29, v1, vcc
	global_load_dwordx2 v[2:3], v[2:3], off
	v_add_co_u32_e32 v0, vcc, s16, v0
	v_addc_co_u32_e32 v1, vcc, v28, v1, vcc
	global_load_dwordx2 v[0:1], v[0:1], off
	s_waitcnt vmcnt(1)
	v_subrev_co_u32_e32 v14, vcc, s10, v2
	v_subb_co_u32_e32 v15, vcc, v3, v30, vcc
	s_waitcnt vmcnt(0)
	v_add_co_u32_e32 v16, vcc, v0, v26
	v_addc_co_u32_e32 v17, vcc, v1, v27, vcc
	v_cmp_lt_i64_e32 vcc, v[16:17], v[14:15]
	s_and_saveexec_b64 s[6:7], vcc
	s_cbranch_execz .LBB117_18
; %bb.20:                               ;   in Loop: Header=BB117_19 Depth=1
	v_lshlrev_b64 v[0:1], 4, v[12:13]
	v_mov_b32_e32 v2, s25
	v_add_co_u32_e32 v0, vcc, s24, v0
	v_addc_co_u32_e32 v1, vcc, v2, v1, vcc
	global_load_dwordx4 v[0:3], v[0:1], off
	s_mov_b64 s[8:9], 0
	s_waitcnt vmcnt(0)
	v_mul_f64 v[18:19], v[2:3], -v[10:11]
	v_mul_f64 v[20:21], v[8:9], v[2:3]
	v_fmac_f64_e32 v[18:19], v[8:9], v[0:1]
	v_fmac_f64_e32 v[20:21], v[10:11], v[0:1]
	s_branch .LBB117_22
.LBB117_21:                             ;   in Loop: Header=BB117_22 Depth=2
	s_or_b64 exec, exec, s[12:13]
	v_add_co_u32_e32 v16, vcc, 8, v16
	v_addc_co_u32_e32 v17, vcc, 0, v17, vcc
	v_cmp_ge_i64_e32 vcc, v[16:17], v[14:15]
	s_or_b64 s[8:9], vcc, s[8:9]
	s_andn2_b64 exec, exec, s[8:9]
	s_cbranch_execz .LBB117_18
.LBB117_22:                             ;   Parent Loop BB117_19 Depth=1
                                        ; =>  This Loop Header: Depth=2
                                        ;       Child Loop BB117_24 Depth 3
                                        ;       Child Loop BB117_26 Depth 3
	v_lshlrev_b64 v[0:1], 2, v[16:17]
	v_mov_b32_e32 v2, s21
	v_add_co_u32_e32 v0, vcc, s20, v0
	v_addc_co_u32_e32 v1, vcc, v2, v1, vcc
	global_load_dword v0, v[0:1], off
	s_waitcnt vmcnt(0)
	v_subrev_u32_e32 v4, s10, v0
	v_cmp_ne_u32_e32 vcc, v4, v12
	s_and_saveexec_b64 s[12:13], vcc
	s_cbranch_execz .LBB117_21
; %bb.23:                               ;   in Loop: Header=BB117_22 Depth=2
	v_lshlrev_b64 v[0:1], 4, v[16:17]
	v_mov_b32_e32 v2, s23
	v_add_co_u32_e32 v0, vcc, s22, v0
	v_addc_co_u32_e32 v1, vcc, v2, v1, vcc
	global_load_dwordx4 v[0:3], v[0:1], off
	v_ashrrev_i32_e32 v5, 31, v4
	v_lshlrev_b64 v[4:5], 4, v[4:5]
	v_mov_b32_e32 v6, s27
	v_add_co_u32_e32 v22, vcc, s26, v4
	v_addc_co_u32_e32 v23, vcc, v6, v5, vcc
	global_load_dwordx2 v[6:7], v[22:23], off
	s_mov_b64 s[14:15], 0
	s_waitcnt vmcnt(1)
	v_xor_b32_e32 v4, 0x80000000, v3
	v_cndmask_b32_e64 v3, v3, v4, s[0:1]
	v_mul_f64 v[24:25], v[2:3], -v[20:21]
	v_fmac_f64_e32 v[24:25], v[18:19], v[0:1]
.LBB117_24:                             ;   Parent Loop BB117_19 Depth=1
                                        ;     Parent Loop BB117_22 Depth=2
                                        ; =>    This Inner Loop Header: Depth=3
	s_waitcnt vmcnt(0)
	v_add_f64 v[4:5], v[6:7], v[24:25]
	global_atomic_cmpswap_x2 v[4:5], v[22:23], v[4:7], off glc
	s_waitcnt vmcnt(0)
	v_cmp_eq_u64_e32 vcc, v[4:5], v[6:7]
	s_or_b64 s[14:15], vcc, s[14:15]
	v_pk_mov_b32 v[6:7], v[4:5], v[4:5] op_sel:[0,1]
	s_andn2_b64 exec, exec, s[14:15]
	s_cbranch_execnz .LBB117_24
; %bb.25:                               ;   in Loop: Header=BB117_22 Depth=2
	s_or_b64 exec, exec, s[14:15]
	global_load_dwordx2 v[4:5], v[22:23], off offset:8
	v_mul_f64 v[6:7], v[18:19], v[2:3]
	v_fmac_f64_e32 v[6:7], v[20:21], v[0:1]
	s_mov_b64 s[14:15], 0
.LBB117_26:                             ;   Parent Loop BB117_19 Depth=1
                                        ;     Parent Loop BB117_22 Depth=2
                                        ; =>    This Inner Loop Header: Depth=3
	s_waitcnt vmcnt(0)
	v_add_f64 v[2:3], v[4:5], v[6:7]
	global_atomic_cmpswap_x2 v[0:1], v[22:23], v[2:5], off offset:8 glc
	s_waitcnt vmcnt(0)
	v_cmp_eq_u64_e32 vcc, v[0:1], v[4:5]
	s_or_b64 s[14:15], vcc, s[14:15]
	v_pk_mov_b32 v[4:5], v[0:1], v[0:1] op_sel:[0,1]
	s_andn2_b64 exec, exec, s[14:15]
	s_cbranch_execnz .LBB117_26
	s_branch .LBB117_21
.LBB117_27:
	s_endpgm
	.section	.rodata,"a",@progbits
	.p2align	6, 0x0
	.amdhsa_kernel _ZN9rocsparseL21csrmvt_general_kernelILj256ELj8Eli21rocsparse_complex_numIdES2_S2_S2_EEvbbT2_NS_24const_host_device_scalarIT6_EEPKT1_S9_PKS3_PKT3_PKT4_PT5_21rocsparse_index_base_b
		.amdhsa_group_segment_fixed_size 2048
		.amdhsa_private_segment_fixed_size 0
		.amdhsa_kernarg_size 336
		.amdhsa_user_sgpr_count 8
		.amdhsa_user_sgpr_private_segment_buffer 1
		.amdhsa_user_sgpr_dispatch_ptr 1
		.amdhsa_user_sgpr_queue_ptr 0
		.amdhsa_user_sgpr_kernarg_segment_ptr 1
		.amdhsa_user_sgpr_dispatch_id 0
		.amdhsa_user_sgpr_flat_scratch_init 0
		.amdhsa_user_sgpr_kernarg_preload_length 0
		.amdhsa_user_sgpr_kernarg_preload_offset 0
		.amdhsa_user_sgpr_private_segment_size 0
		.amdhsa_uses_dynamic_stack 0
		.amdhsa_system_sgpr_private_segment_wavefront_offset 0
		.amdhsa_system_sgpr_workgroup_id_x 1
		.amdhsa_system_sgpr_workgroup_id_y 0
		.amdhsa_system_sgpr_workgroup_id_z 0
		.amdhsa_system_sgpr_workgroup_info 0
		.amdhsa_system_vgpr_workitem_id 2
		.amdhsa_next_free_vgpr 33
		.amdhsa_next_free_sgpr 30
		.amdhsa_accum_offset 36
		.amdhsa_reserve_vcc 1
		.amdhsa_reserve_flat_scratch 0
		.amdhsa_float_round_mode_32 0
		.amdhsa_float_round_mode_16_64 0
		.amdhsa_float_denorm_mode_32 3
		.amdhsa_float_denorm_mode_16_64 3
		.amdhsa_dx10_clamp 1
		.amdhsa_ieee_mode 1
		.amdhsa_fp16_overflow 0
		.amdhsa_tg_split 0
		.amdhsa_exception_fp_ieee_invalid_op 0
		.amdhsa_exception_fp_denorm_src 0
		.amdhsa_exception_fp_ieee_div_zero 0
		.amdhsa_exception_fp_ieee_overflow 0
		.amdhsa_exception_fp_ieee_underflow 0
		.amdhsa_exception_fp_ieee_inexact 0
		.amdhsa_exception_int_div_zero 0
	.end_amdhsa_kernel
	.section	.text._ZN9rocsparseL21csrmvt_general_kernelILj256ELj8Eli21rocsparse_complex_numIdES2_S2_S2_EEvbbT2_NS_24const_host_device_scalarIT6_EEPKT1_S9_PKS3_PKT3_PKT4_PT5_21rocsparse_index_base_b,"axG",@progbits,_ZN9rocsparseL21csrmvt_general_kernelILj256ELj8Eli21rocsparse_complex_numIdES2_S2_S2_EEvbbT2_NS_24const_host_device_scalarIT6_EEPKT1_S9_PKS3_PKT3_PKT4_PT5_21rocsparse_index_base_b,comdat
.Lfunc_end117:
	.size	_ZN9rocsparseL21csrmvt_general_kernelILj256ELj8Eli21rocsparse_complex_numIdES2_S2_S2_EEvbbT2_NS_24const_host_device_scalarIT6_EEPKT1_S9_PKS3_PKT3_PKT4_PT5_21rocsparse_index_base_b, .Lfunc_end117-_ZN9rocsparseL21csrmvt_general_kernelILj256ELj8Eli21rocsparse_complex_numIdES2_S2_S2_EEvbbT2_NS_24const_host_device_scalarIT6_EEPKT1_S9_PKS3_PKT3_PKT4_PT5_21rocsparse_index_base_b
                                        ; -- End function
	.section	.AMDGPU.csdata,"",@progbits
; Kernel info:
; codeLenInByte = 1316
; NumSgprs: 34
; NumVgprs: 33
; NumAgprs: 0
; TotalNumVgprs: 33
; ScratchSize: 0
; MemoryBound: 0
; FloatMode: 240
; IeeeMode: 1
; LDSByteSize: 2048 bytes/workgroup (compile time only)
; SGPRBlocks: 4
; VGPRBlocks: 4
; NumSGPRsForWavesPerEU: 34
; NumVGPRsForWavesPerEU: 33
; AccumOffset: 36
; Occupancy: 8
; WaveLimiterHint : 1
; COMPUTE_PGM_RSRC2:SCRATCH_EN: 0
; COMPUTE_PGM_RSRC2:USER_SGPR: 8
; COMPUTE_PGM_RSRC2:TRAP_HANDLER: 0
; COMPUTE_PGM_RSRC2:TGID_X_EN: 1
; COMPUTE_PGM_RSRC2:TGID_Y_EN: 0
; COMPUTE_PGM_RSRC2:TGID_Z_EN: 0
; COMPUTE_PGM_RSRC2:TIDIG_COMP_CNT: 2
; COMPUTE_PGM_RSRC3_GFX90A:ACCUM_OFFSET: 8
; COMPUTE_PGM_RSRC3_GFX90A:TG_SPLIT: 0
	.section	.text._ZN9rocsparseL21csrmvt_general_kernelILj256ELj16Eli21rocsparse_complex_numIdES2_S2_S2_EEvbbT2_NS_24const_host_device_scalarIT6_EEPKT1_S9_PKS3_PKT3_PKT4_PT5_21rocsparse_index_base_b,"axG",@progbits,_ZN9rocsparseL21csrmvt_general_kernelILj256ELj16Eli21rocsparse_complex_numIdES2_S2_S2_EEvbbT2_NS_24const_host_device_scalarIT6_EEPKT1_S9_PKS3_PKT3_PKT4_PT5_21rocsparse_index_base_b,comdat
	.globl	_ZN9rocsparseL21csrmvt_general_kernelILj256ELj16Eli21rocsparse_complex_numIdES2_S2_S2_EEvbbT2_NS_24const_host_device_scalarIT6_EEPKT1_S9_PKS3_PKT3_PKT4_PT5_21rocsparse_index_base_b ; -- Begin function _ZN9rocsparseL21csrmvt_general_kernelILj256ELj16Eli21rocsparse_complex_numIdES2_S2_S2_EEvbbT2_NS_24const_host_device_scalarIT6_EEPKT1_S9_PKS3_PKT3_PKT4_PT5_21rocsparse_index_base_b
	.p2align	8
	.type	_ZN9rocsparseL21csrmvt_general_kernelILj256ELj16Eli21rocsparse_complex_numIdES2_S2_S2_EEvbbT2_NS_24const_host_device_scalarIT6_EEPKT1_S9_PKS3_PKT3_PKT4_PT5_21rocsparse_index_base_b,@function
_ZN9rocsparseL21csrmvt_general_kernelILj256ELj16Eli21rocsparse_complex_numIdES2_S2_S2_EEvbbT2_NS_24const_host_device_scalarIT6_EEPKT1_S9_PKS3_PKT3_PKT4_PT5_21rocsparse_index_base_b: ; @_ZN9rocsparseL21csrmvt_general_kernelILj256ELj16Eli21rocsparse_complex_numIdES2_S2_S2_EEvbbT2_NS_24const_host_device_scalarIT6_EEPKT1_S9_PKS3_PKT3_PKT4_PT5_21rocsparse_index_base_b
; %bb.0:
	s_load_dwordx2 s[10:11], s[6:7], 0x48
	s_load_dwordx2 s[0:1], s[4:5], 0x4
	s_load_dwordx8 s[12:19], s[6:7], 0x8
	v_and_b32_e32 v1, 0x3ff, v0
	v_bfe_u32 v3, v0, 10, 10
	s_waitcnt lgkmcnt(0)
	s_and_b32 s2, 1, s11
	s_lshr_b32 s0, s0, 16
	s_mul_i32 s0, s0, s1
	v_mul_lo_u32 v2, s0, v1
	s_cmp_eq_u32 s2, 1
	v_mad_u32_u24 v2, v3, s1, v2
	v_bfe_u32 v0, v0, 20, 10
	v_add_lshl_u32 v0, v2, v0, 3
	v_pk_mov_b32 v[2:3], s[12:13], s[12:13] op_sel:[0,1]
	s_cselect_b64 vcc, -1, 0
	ds_write_b64 v0, v[2:3]
	s_mov_b64 s[0:1], src_shared_base
	v_cndmask_b32_e32 v2, v2, v0, vcc
	s_and_b64 vcc, vcc, exec
	s_cselect_b32 s0, s1, s13
	v_mov_b32_e32 v3, s0
	flat_load_dwordx2 v[8:9], v[2:3]
	v_pk_mov_b32 v[10:11], s[14:15], s[14:15] op_sel:[0,1]
	s_cbranch_vccnz .LBB118_2
; %bb.1:
	v_pk_mov_b32 v[2:3], s[12:13], s[12:13] op_sel:[0,1]
	flat_load_dwordx2 v[10:11], v[2:3] offset:8
.LBB118_2:
	s_waitcnt vmcnt(0) lgkmcnt(0)
	v_cmp_neq_f64_e32 vcc, 0, v[8:9]
	v_cmp_neq_f64_e64 s[0:1], 0, v[10:11]
	s_or_b64 s[0:1], vcc, s[0:1]
	s_and_saveexec_b64 s[2:3], s[0:1]
	s_cbranch_execz .LBB118_27
; %bb.3:
	s_load_dword s0, s[6:7], 0x0
	s_load_dwordx2 s[4:5], s[6:7], 0x0
	s_load_dword s2, s[6:7], 0x50
	s_load_dwordx8 s[20:27], s[6:7], 0x28
	v_lshl_or_b32 v0, s8, 8, v1
	s_waitcnt lgkmcnt(0)
	s_and_b32 s3, s0, 1
	s_bitcmp1_b32 s4, 8
	s_cselect_b64 s[0:1], -1, 0
	s_lshl_b32 s4, s2, 4
	v_lshrrev_b32_e32 v12, 4, v0
	s_cmp_eq_u32 s3, 0
	v_and_b32_e32 v13, 15, v1
	v_cmp_gt_i32_e64 s[2:3], s5, v12
	s_mov_b64 s[6:7], -1
	s_cbranch_scc0 .LBB118_15
; %bb.4:
	s_and_saveexec_b64 s[6:7], s[2:3]
	s_cbranch_execz .LBB118_14
; %bb.5:
	v_subrev_co_u32_e32 v28, vcc, s10, v13
	s_mov_b32 s11, 0
	v_subb_co_u32_e64 v29, s[8:9], 0, 0, vcc
	s_mov_b64 s[8:9], 0
	v_mov_b32_e32 v30, s17
	v_mov_b32_e32 v31, s19
	;; [unrolled: 1-line block ×4, first 2 shown]
	s_branch .LBB118_7
.LBB118_6:                              ;   in Loop: Header=BB118_7 Depth=1
	s_or_b64 exec, exec, s[12:13]
	v_add_u32_e32 v14, s4, v14
	v_cmp_le_i32_e32 vcc, s5, v14
	s_or_b64 s[8:9], vcc, s[8:9]
	s_andn2_b64 exec, exec, s[8:9]
	s_cbranch_execz .LBB118_14
.LBB118_7:                              ; =>This Loop Header: Depth=1
                                        ;     Child Loop BB118_9 Depth 2
                                        ;       Child Loop BB118_10 Depth 3
                                        ;       Child Loop BB118_12 Depth 3
	v_ashrrev_i32_e32 v15, 31, v14
	v_lshlrev_b64 v[0:1], 3, v[14:15]
	v_add_co_u32_e32 v2, vcc, s18, v0
	v_addc_co_u32_e32 v3, vcc, v31, v1, vcc
	global_load_dwordx2 v[2:3], v[2:3], off
	v_add_co_u32_e32 v0, vcc, s16, v0
	v_addc_co_u32_e32 v1, vcc, v30, v1, vcc
	global_load_dwordx2 v[0:1], v[0:1], off
	s_waitcnt vmcnt(1)
	v_subrev_co_u32_e32 v16, vcc, s10, v2
	v_subb_co_u32_e32 v17, vcc, v3, v32, vcc
	s_waitcnt vmcnt(0)
	v_add_co_u32_e32 v18, vcc, v0, v28
	v_addc_co_u32_e32 v19, vcc, v1, v29, vcc
	v_cmp_lt_i64_e32 vcc, v[18:19], v[16:17]
	s_and_saveexec_b64 s[12:13], vcc
	s_cbranch_execz .LBB118_6
; %bb.8:                                ;   in Loop: Header=BB118_7 Depth=1
	v_lshlrev_b64 v[0:1], 4, v[14:15]
	v_mov_b32_e32 v2, s25
	v_add_co_u32_e32 v0, vcc, s24, v0
	v_addc_co_u32_e32 v1, vcc, v2, v1, vcc
	global_load_dwordx4 v[0:3], v[0:1], off
	s_mov_b64 s[14:15], 0
	s_waitcnt vmcnt(0)
	v_mul_f64 v[20:21], v[2:3], -v[10:11]
	v_mul_f64 v[22:23], v[8:9], v[2:3]
	v_fmac_f64_e32 v[20:21], v[8:9], v[0:1]
	v_fmac_f64_e32 v[22:23], v[10:11], v[0:1]
.LBB118_9:                              ;   Parent Loop BB118_7 Depth=1
                                        ; =>  This Loop Header: Depth=2
                                        ;       Child Loop BB118_10 Depth 3
                                        ;       Child Loop BB118_12 Depth 3
	v_lshlrev_b64 v[0:1], 2, v[18:19]
	v_mov_b32_e32 v2, s21
	v_add_co_u32_e32 v0, vcc, s20, v0
	v_addc_co_u32_e32 v1, vcc, v2, v1, vcc
	global_load_dword v4, v[0:1], off
	v_lshlrev_b64 v[0:1], 4, v[18:19]
	v_mov_b32_e32 v2, s23
	v_add_co_u32_e32 v0, vcc, s22, v0
	v_addc_co_u32_e32 v1, vcc, v2, v1, vcc
	global_load_dwordx4 v[0:3], v[0:1], off
	v_mov_b32_e32 v6, s27
	s_mov_b64 s[28:29], 0
	s_waitcnt vmcnt(1)
	v_subrev_u32_e32 v4, s10, v4
	v_ashrrev_i32_e32 v5, 31, v4
	v_lshlrev_b64 v[4:5], 4, v[4:5]
	v_add_co_u32_e32 v24, vcc, s26, v4
	v_addc_co_u32_e32 v25, vcc, v6, v5, vcc
	global_load_dwordx2 v[6:7], v[24:25], off
	s_waitcnt vmcnt(1)
	v_xor_b32_e32 v4, 0x80000000, v3
	v_cndmask_b32_e64 v3, v3, v4, s[0:1]
	v_mul_f64 v[26:27], v[2:3], -v[22:23]
	v_fmac_f64_e32 v[26:27], v[20:21], v[0:1]
.LBB118_10:                             ;   Parent Loop BB118_7 Depth=1
                                        ;     Parent Loop BB118_9 Depth=2
                                        ; =>    This Inner Loop Header: Depth=3
	s_waitcnt vmcnt(0)
	v_add_f64 v[4:5], v[6:7], v[26:27]
	global_atomic_cmpswap_x2 v[4:5], v[24:25], v[4:7], off glc
	s_waitcnt vmcnt(0)
	v_cmp_eq_u64_e32 vcc, v[4:5], v[6:7]
	s_or_b64 s[28:29], vcc, s[28:29]
	v_pk_mov_b32 v[6:7], v[4:5], v[4:5] op_sel:[0,1]
	s_andn2_b64 exec, exec, s[28:29]
	s_cbranch_execnz .LBB118_10
; %bb.11:                               ;   in Loop: Header=BB118_9 Depth=2
	s_or_b64 exec, exec, s[28:29]
	global_load_dwordx2 v[4:5], v[24:25], off offset:8
	v_mul_f64 v[6:7], v[20:21], v[2:3]
	v_fmac_f64_e32 v[6:7], v[22:23], v[0:1]
	s_mov_b64 s[28:29], 0
.LBB118_12:                             ;   Parent Loop BB118_7 Depth=1
                                        ;     Parent Loop BB118_9 Depth=2
                                        ; =>    This Inner Loop Header: Depth=3
	s_waitcnt vmcnt(0)
	v_add_f64 v[2:3], v[4:5], v[6:7]
	global_atomic_cmpswap_x2 v[0:1], v[24:25], v[2:5], off offset:8 glc
	s_waitcnt vmcnt(0)
	v_cmp_eq_u64_e32 vcc, v[0:1], v[4:5]
	s_or_b64 s[28:29], vcc, s[28:29]
	v_pk_mov_b32 v[4:5], v[0:1], v[0:1] op_sel:[0,1]
	s_andn2_b64 exec, exec, s[28:29]
	s_cbranch_execnz .LBB118_12
; %bb.13:                               ;   in Loop: Header=BB118_9 Depth=2
	s_or_b64 exec, exec, s[28:29]
	v_add_co_u32_e32 v18, vcc, 16, v18
	v_addc_co_u32_e32 v19, vcc, 0, v19, vcc
	v_cmp_ge_i64_e32 vcc, v[18:19], v[16:17]
	s_or_b64 s[14:15], vcc, s[14:15]
	s_andn2_b64 exec, exec, s[14:15]
	s_cbranch_execnz .LBB118_9
	s_branch .LBB118_6
.LBB118_14:
	s_or_b64 exec, exec, s[6:7]
	s_mov_b64 s[6:7], 0
.LBB118_15:
	s_andn2_b64 vcc, exec, s[6:7]
	s_cbranch_vccnz .LBB118_27
; %bb.16:
	s_and_b64 exec, exec, s[2:3]
	s_cbranch_execz .LBB118_27
; %bb.17:
	v_subrev_co_u32_e32 v26, vcc, s10, v13
	s_mov_b32 s6, 0
	v_subb_co_u32_e64 v27, s[2:3], 0, 0, vcc
	s_mov_b64 s[2:3], 0
	v_mov_b32_e32 v28, s17
	v_mov_b32_e32 v29, s19
	v_mov_b32_e32 v30, s6
	s_branch .LBB118_19
.LBB118_18:                             ;   in Loop: Header=BB118_19 Depth=1
	s_or_b64 exec, exec, s[6:7]
	v_add_u32_e32 v12, s4, v12
	v_cmp_le_i32_e32 vcc, s5, v12
	s_or_b64 s[2:3], vcc, s[2:3]
	s_andn2_b64 exec, exec, s[2:3]
	s_cbranch_execz .LBB118_27
.LBB118_19:                             ; =>This Loop Header: Depth=1
                                        ;     Child Loop BB118_22 Depth 2
                                        ;       Child Loop BB118_24 Depth 3
                                        ;       Child Loop BB118_26 Depth 3
	v_ashrrev_i32_e32 v13, 31, v12
	v_lshlrev_b64 v[0:1], 3, v[12:13]
	v_add_co_u32_e32 v2, vcc, s18, v0
	v_addc_co_u32_e32 v3, vcc, v29, v1, vcc
	global_load_dwordx2 v[2:3], v[2:3], off
	v_add_co_u32_e32 v0, vcc, s16, v0
	v_addc_co_u32_e32 v1, vcc, v28, v1, vcc
	global_load_dwordx2 v[0:1], v[0:1], off
	s_waitcnt vmcnt(1)
	v_subrev_co_u32_e32 v14, vcc, s10, v2
	v_subb_co_u32_e32 v15, vcc, v3, v30, vcc
	s_waitcnt vmcnt(0)
	v_add_co_u32_e32 v16, vcc, v0, v26
	v_addc_co_u32_e32 v17, vcc, v1, v27, vcc
	v_cmp_lt_i64_e32 vcc, v[16:17], v[14:15]
	s_and_saveexec_b64 s[6:7], vcc
	s_cbranch_execz .LBB118_18
; %bb.20:                               ;   in Loop: Header=BB118_19 Depth=1
	v_lshlrev_b64 v[0:1], 4, v[12:13]
	v_mov_b32_e32 v2, s25
	v_add_co_u32_e32 v0, vcc, s24, v0
	v_addc_co_u32_e32 v1, vcc, v2, v1, vcc
	global_load_dwordx4 v[0:3], v[0:1], off
	s_mov_b64 s[8:9], 0
	s_waitcnt vmcnt(0)
	v_mul_f64 v[18:19], v[2:3], -v[10:11]
	v_mul_f64 v[20:21], v[8:9], v[2:3]
	v_fmac_f64_e32 v[18:19], v[8:9], v[0:1]
	v_fmac_f64_e32 v[20:21], v[10:11], v[0:1]
	s_branch .LBB118_22
.LBB118_21:                             ;   in Loop: Header=BB118_22 Depth=2
	s_or_b64 exec, exec, s[12:13]
	v_add_co_u32_e32 v16, vcc, 16, v16
	v_addc_co_u32_e32 v17, vcc, 0, v17, vcc
	v_cmp_ge_i64_e32 vcc, v[16:17], v[14:15]
	s_or_b64 s[8:9], vcc, s[8:9]
	s_andn2_b64 exec, exec, s[8:9]
	s_cbranch_execz .LBB118_18
.LBB118_22:                             ;   Parent Loop BB118_19 Depth=1
                                        ; =>  This Loop Header: Depth=2
                                        ;       Child Loop BB118_24 Depth 3
                                        ;       Child Loop BB118_26 Depth 3
	v_lshlrev_b64 v[0:1], 2, v[16:17]
	v_mov_b32_e32 v2, s21
	v_add_co_u32_e32 v0, vcc, s20, v0
	v_addc_co_u32_e32 v1, vcc, v2, v1, vcc
	global_load_dword v0, v[0:1], off
	s_waitcnt vmcnt(0)
	v_subrev_u32_e32 v4, s10, v0
	v_cmp_ne_u32_e32 vcc, v4, v12
	s_and_saveexec_b64 s[12:13], vcc
	s_cbranch_execz .LBB118_21
; %bb.23:                               ;   in Loop: Header=BB118_22 Depth=2
	v_lshlrev_b64 v[0:1], 4, v[16:17]
	v_mov_b32_e32 v2, s23
	v_add_co_u32_e32 v0, vcc, s22, v0
	v_addc_co_u32_e32 v1, vcc, v2, v1, vcc
	global_load_dwordx4 v[0:3], v[0:1], off
	v_ashrrev_i32_e32 v5, 31, v4
	v_lshlrev_b64 v[4:5], 4, v[4:5]
	v_mov_b32_e32 v6, s27
	v_add_co_u32_e32 v22, vcc, s26, v4
	v_addc_co_u32_e32 v23, vcc, v6, v5, vcc
	global_load_dwordx2 v[6:7], v[22:23], off
	s_mov_b64 s[14:15], 0
	s_waitcnt vmcnt(1)
	v_xor_b32_e32 v4, 0x80000000, v3
	v_cndmask_b32_e64 v3, v3, v4, s[0:1]
	v_mul_f64 v[24:25], v[2:3], -v[20:21]
	v_fmac_f64_e32 v[24:25], v[18:19], v[0:1]
.LBB118_24:                             ;   Parent Loop BB118_19 Depth=1
                                        ;     Parent Loop BB118_22 Depth=2
                                        ; =>    This Inner Loop Header: Depth=3
	s_waitcnt vmcnt(0)
	v_add_f64 v[4:5], v[6:7], v[24:25]
	global_atomic_cmpswap_x2 v[4:5], v[22:23], v[4:7], off glc
	s_waitcnt vmcnt(0)
	v_cmp_eq_u64_e32 vcc, v[4:5], v[6:7]
	s_or_b64 s[14:15], vcc, s[14:15]
	v_pk_mov_b32 v[6:7], v[4:5], v[4:5] op_sel:[0,1]
	s_andn2_b64 exec, exec, s[14:15]
	s_cbranch_execnz .LBB118_24
; %bb.25:                               ;   in Loop: Header=BB118_22 Depth=2
	s_or_b64 exec, exec, s[14:15]
	global_load_dwordx2 v[4:5], v[22:23], off offset:8
	v_mul_f64 v[6:7], v[18:19], v[2:3]
	v_fmac_f64_e32 v[6:7], v[20:21], v[0:1]
	s_mov_b64 s[14:15], 0
.LBB118_26:                             ;   Parent Loop BB118_19 Depth=1
                                        ;     Parent Loop BB118_22 Depth=2
                                        ; =>    This Inner Loop Header: Depth=3
	s_waitcnt vmcnt(0)
	v_add_f64 v[2:3], v[4:5], v[6:7]
	global_atomic_cmpswap_x2 v[0:1], v[22:23], v[2:5], off offset:8 glc
	s_waitcnt vmcnt(0)
	v_cmp_eq_u64_e32 vcc, v[0:1], v[4:5]
	s_or_b64 s[14:15], vcc, s[14:15]
	v_pk_mov_b32 v[4:5], v[0:1], v[0:1] op_sel:[0,1]
	s_andn2_b64 exec, exec, s[14:15]
	s_cbranch_execnz .LBB118_26
	s_branch .LBB118_21
.LBB118_27:
	s_endpgm
	.section	.rodata,"a",@progbits
	.p2align	6, 0x0
	.amdhsa_kernel _ZN9rocsparseL21csrmvt_general_kernelILj256ELj16Eli21rocsparse_complex_numIdES2_S2_S2_EEvbbT2_NS_24const_host_device_scalarIT6_EEPKT1_S9_PKS3_PKT3_PKT4_PT5_21rocsparse_index_base_b
		.amdhsa_group_segment_fixed_size 2048
		.amdhsa_private_segment_fixed_size 0
		.amdhsa_kernarg_size 336
		.amdhsa_user_sgpr_count 8
		.amdhsa_user_sgpr_private_segment_buffer 1
		.amdhsa_user_sgpr_dispatch_ptr 1
		.amdhsa_user_sgpr_queue_ptr 0
		.amdhsa_user_sgpr_kernarg_segment_ptr 1
		.amdhsa_user_sgpr_dispatch_id 0
		.amdhsa_user_sgpr_flat_scratch_init 0
		.amdhsa_user_sgpr_kernarg_preload_length 0
		.amdhsa_user_sgpr_kernarg_preload_offset 0
		.amdhsa_user_sgpr_private_segment_size 0
		.amdhsa_uses_dynamic_stack 0
		.amdhsa_system_sgpr_private_segment_wavefront_offset 0
		.amdhsa_system_sgpr_workgroup_id_x 1
		.amdhsa_system_sgpr_workgroup_id_y 0
		.amdhsa_system_sgpr_workgroup_id_z 0
		.amdhsa_system_sgpr_workgroup_info 0
		.amdhsa_system_vgpr_workitem_id 2
		.amdhsa_next_free_vgpr 33
		.amdhsa_next_free_sgpr 30
		.amdhsa_accum_offset 36
		.amdhsa_reserve_vcc 1
		.amdhsa_reserve_flat_scratch 0
		.amdhsa_float_round_mode_32 0
		.amdhsa_float_round_mode_16_64 0
		.amdhsa_float_denorm_mode_32 3
		.amdhsa_float_denorm_mode_16_64 3
		.amdhsa_dx10_clamp 1
		.amdhsa_ieee_mode 1
		.amdhsa_fp16_overflow 0
		.amdhsa_tg_split 0
		.amdhsa_exception_fp_ieee_invalid_op 0
		.amdhsa_exception_fp_denorm_src 0
		.amdhsa_exception_fp_ieee_div_zero 0
		.amdhsa_exception_fp_ieee_overflow 0
		.amdhsa_exception_fp_ieee_underflow 0
		.amdhsa_exception_fp_ieee_inexact 0
		.amdhsa_exception_int_div_zero 0
	.end_amdhsa_kernel
	.section	.text._ZN9rocsparseL21csrmvt_general_kernelILj256ELj16Eli21rocsparse_complex_numIdES2_S2_S2_EEvbbT2_NS_24const_host_device_scalarIT6_EEPKT1_S9_PKS3_PKT3_PKT4_PT5_21rocsparse_index_base_b,"axG",@progbits,_ZN9rocsparseL21csrmvt_general_kernelILj256ELj16Eli21rocsparse_complex_numIdES2_S2_S2_EEvbbT2_NS_24const_host_device_scalarIT6_EEPKT1_S9_PKS3_PKT3_PKT4_PT5_21rocsparse_index_base_b,comdat
.Lfunc_end118:
	.size	_ZN9rocsparseL21csrmvt_general_kernelILj256ELj16Eli21rocsparse_complex_numIdES2_S2_S2_EEvbbT2_NS_24const_host_device_scalarIT6_EEPKT1_S9_PKS3_PKT3_PKT4_PT5_21rocsparse_index_base_b, .Lfunc_end118-_ZN9rocsparseL21csrmvt_general_kernelILj256ELj16Eli21rocsparse_complex_numIdES2_S2_S2_EEvbbT2_NS_24const_host_device_scalarIT6_EEPKT1_S9_PKS3_PKT3_PKT4_PT5_21rocsparse_index_base_b
                                        ; -- End function
	.section	.AMDGPU.csdata,"",@progbits
; Kernel info:
; codeLenInByte = 1316
; NumSgprs: 34
; NumVgprs: 33
; NumAgprs: 0
; TotalNumVgprs: 33
; ScratchSize: 0
; MemoryBound: 0
; FloatMode: 240
; IeeeMode: 1
; LDSByteSize: 2048 bytes/workgroup (compile time only)
; SGPRBlocks: 4
; VGPRBlocks: 4
; NumSGPRsForWavesPerEU: 34
; NumVGPRsForWavesPerEU: 33
; AccumOffset: 36
; Occupancy: 8
; WaveLimiterHint : 1
; COMPUTE_PGM_RSRC2:SCRATCH_EN: 0
; COMPUTE_PGM_RSRC2:USER_SGPR: 8
; COMPUTE_PGM_RSRC2:TRAP_HANDLER: 0
; COMPUTE_PGM_RSRC2:TGID_X_EN: 1
; COMPUTE_PGM_RSRC2:TGID_Y_EN: 0
; COMPUTE_PGM_RSRC2:TGID_Z_EN: 0
; COMPUTE_PGM_RSRC2:TIDIG_COMP_CNT: 2
; COMPUTE_PGM_RSRC3_GFX90A:ACCUM_OFFSET: 8
; COMPUTE_PGM_RSRC3_GFX90A:TG_SPLIT: 0
	.section	.text._ZN9rocsparseL21csrmvt_general_kernelILj256ELj32Eli21rocsparse_complex_numIdES2_S2_S2_EEvbbT2_NS_24const_host_device_scalarIT6_EEPKT1_S9_PKS3_PKT3_PKT4_PT5_21rocsparse_index_base_b,"axG",@progbits,_ZN9rocsparseL21csrmvt_general_kernelILj256ELj32Eli21rocsparse_complex_numIdES2_S2_S2_EEvbbT2_NS_24const_host_device_scalarIT6_EEPKT1_S9_PKS3_PKT3_PKT4_PT5_21rocsparse_index_base_b,comdat
	.globl	_ZN9rocsparseL21csrmvt_general_kernelILj256ELj32Eli21rocsparse_complex_numIdES2_S2_S2_EEvbbT2_NS_24const_host_device_scalarIT6_EEPKT1_S9_PKS3_PKT3_PKT4_PT5_21rocsparse_index_base_b ; -- Begin function _ZN9rocsparseL21csrmvt_general_kernelILj256ELj32Eli21rocsparse_complex_numIdES2_S2_S2_EEvbbT2_NS_24const_host_device_scalarIT6_EEPKT1_S9_PKS3_PKT3_PKT4_PT5_21rocsparse_index_base_b
	.p2align	8
	.type	_ZN9rocsparseL21csrmvt_general_kernelILj256ELj32Eli21rocsparse_complex_numIdES2_S2_S2_EEvbbT2_NS_24const_host_device_scalarIT6_EEPKT1_S9_PKS3_PKT3_PKT4_PT5_21rocsparse_index_base_b,@function
_ZN9rocsparseL21csrmvt_general_kernelILj256ELj32Eli21rocsparse_complex_numIdES2_S2_S2_EEvbbT2_NS_24const_host_device_scalarIT6_EEPKT1_S9_PKS3_PKT3_PKT4_PT5_21rocsparse_index_base_b: ; @_ZN9rocsparseL21csrmvt_general_kernelILj256ELj32Eli21rocsparse_complex_numIdES2_S2_S2_EEvbbT2_NS_24const_host_device_scalarIT6_EEPKT1_S9_PKS3_PKT3_PKT4_PT5_21rocsparse_index_base_b
; %bb.0:
	s_load_dwordx2 s[10:11], s[6:7], 0x48
	s_load_dwordx2 s[0:1], s[4:5], 0x4
	s_load_dwordx8 s[12:19], s[6:7], 0x8
	v_and_b32_e32 v1, 0x3ff, v0
	v_bfe_u32 v3, v0, 10, 10
	s_waitcnt lgkmcnt(0)
	s_and_b32 s2, 1, s11
	s_lshr_b32 s0, s0, 16
	s_mul_i32 s0, s0, s1
	v_mul_lo_u32 v2, s0, v1
	s_cmp_eq_u32 s2, 1
	v_mad_u32_u24 v2, v3, s1, v2
	v_bfe_u32 v0, v0, 20, 10
	v_add_lshl_u32 v0, v2, v0, 3
	v_pk_mov_b32 v[2:3], s[12:13], s[12:13] op_sel:[0,1]
	s_cselect_b64 vcc, -1, 0
	ds_write_b64 v0, v[2:3]
	s_mov_b64 s[0:1], src_shared_base
	v_cndmask_b32_e32 v2, v2, v0, vcc
	s_and_b64 vcc, vcc, exec
	s_cselect_b32 s0, s1, s13
	v_mov_b32_e32 v3, s0
	flat_load_dwordx2 v[8:9], v[2:3]
	v_pk_mov_b32 v[10:11], s[14:15], s[14:15] op_sel:[0,1]
	s_cbranch_vccnz .LBB119_2
; %bb.1:
	v_pk_mov_b32 v[2:3], s[12:13], s[12:13] op_sel:[0,1]
	flat_load_dwordx2 v[10:11], v[2:3] offset:8
.LBB119_2:
	s_waitcnt vmcnt(0) lgkmcnt(0)
	v_cmp_neq_f64_e32 vcc, 0, v[8:9]
	v_cmp_neq_f64_e64 s[0:1], 0, v[10:11]
	s_or_b64 s[0:1], vcc, s[0:1]
	s_and_saveexec_b64 s[2:3], s[0:1]
	s_cbranch_execz .LBB119_27
; %bb.3:
	s_load_dword s0, s[6:7], 0x0
	s_load_dwordx2 s[4:5], s[6:7], 0x0
	s_load_dword s2, s[6:7], 0x50
	s_load_dwordx8 s[20:27], s[6:7], 0x28
	v_lshl_or_b32 v0, s8, 8, v1
	s_waitcnt lgkmcnt(0)
	s_and_b32 s3, s0, 1
	s_bitcmp1_b32 s4, 8
	s_cselect_b64 s[0:1], -1, 0
	s_lshl_b32 s4, s2, 3
	v_lshrrev_b32_e32 v12, 5, v0
	s_cmp_eq_u32 s3, 0
	v_and_b32_e32 v13, 31, v1
	v_cmp_gt_i32_e64 s[2:3], s5, v12
	s_mov_b64 s[6:7], -1
	s_cbranch_scc0 .LBB119_15
; %bb.4:
	s_and_saveexec_b64 s[6:7], s[2:3]
	s_cbranch_execz .LBB119_14
; %bb.5:
	v_subrev_co_u32_e32 v28, vcc, s10, v13
	s_mov_b32 s11, 0
	v_subb_co_u32_e64 v29, s[8:9], 0, 0, vcc
	s_mov_b64 s[8:9], 0
	v_mov_b32_e32 v30, s17
	v_mov_b32_e32 v31, s19
	;; [unrolled: 1-line block ×4, first 2 shown]
	s_branch .LBB119_7
.LBB119_6:                              ;   in Loop: Header=BB119_7 Depth=1
	s_or_b64 exec, exec, s[12:13]
	v_add_u32_e32 v14, s4, v14
	v_cmp_le_i32_e32 vcc, s5, v14
	s_or_b64 s[8:9], vcc, s[8:9]
	s_andn2_b64 exec, exec, s[8:9]
	s_cbranch_execz .LBB119_14
.LBB119_7:                              ; =>This Loop Header: Depth=1
                                        ;     Child Loop BB119_9 Depth 2
                                        ;       Child Loop BB119_10 Depth 3
                                        ;       Child Loop BB119_12 Depth 3
	v_ashrrev_i32_e32 v15, 31, v14
	v_lshlrev_b64 v[0:1], 3, v[14:15]
	v_add_co_u32_e32 v2, vcc, s18, v0
	v_addc_co_u32_e32 v3, vcc, v31, v1, vcc
	global_load_dwordx2 v[2:3], v[2:3], off
	v_add_co_u32_e32 v0, vcc, s16, v0
	v_addc_co_u32_e32 v1, vcc, v30, v1, vcc
	global_load_dwordx2 v[0:1], v[0:1], off
	s_waitcnt vmcnt(1)
	v_subrev_co_u32_e32 v16, vcc, s10, v2
	v_subb_co_u32_e32 v17, vcc, v3, v32, vcc
	s_waitcnt vmcnt(0)
	v_add_co_u32_e32 v18, vcc, v0, v28
	v_addc_co_u32_e32 v19, vcc, v1, v29, vcc
	v_cmp_lt_i64_e32 vcc, v[18:19], v[16:17]
	s_and_saveexec_b64 s[12:13], vcc
	s_cbranch_execz .LBB119_6
; %bb.8:                                ;   in Loop: Header=BB119_7 Depth=1
	v_lshlrev_b64 v[0:1], 4, v[14:15]
	v_mov_b32_e32 v2, s25
	v_add_co_u32_e32 v0, vcc, s24, v0
	v_addc_co_u32_e32 v1, vcc, v2, v1, vcc
	global_load_dwordx4 v[0:3], v[0:1], off
	s_mov_b64 s[14:15], 0
	s_waitcnt vmcnt(0)
	v_mul_f64 v[20:21], v[2:3], -v[10:11]
	v_mul_f64 v[22:23], v[8:9], v[2:3]
	v_fmac_f64_e32 v[20:21], v[8:9], v[0:1]
	v_fmac_f64_e32 v[22:23], v[10:11], v[0:1]
.LBB119_9:                              ;   Parent Loop BB119_7 Depth=1
                                        ; =>  This Loop Header: Depth=2
                                        ;       Child Loop BB119_10 Depth 3
                                        ;       Child Loop BB119_12 Depth 3
	v_lshlrev_b64 v[0:1], 2, v[18:19]
	v_mov_b32_e32 v2, s21
	v_add_co_u32_e32 v0, vcc, s20, v0
	v_addc_co_u32_e32 v1, vcc, v2, v1, vcc
	global_load_dword v4, v[0:1], off
	v_lshlrev_b64 v[0:1], 4, v[18:19]
	v_mov_b32_e32 v2, s23
	v_add_co_u32_e32 v0, vcc, s22, v0
	v_addc_co_u32_e32 v1, vcc, v2, v1, vcc
	global_load_dwordx4 v[0:3], v[0:1], off
	v_mov_b32_e32 v6, s27
	s_mov_b64 s[28:29], 0
	s_waitcnt vmcnt(1)
	v_subrev_u32_e32 v4, s10, v4
	v_ashrrev_i32_e32 v5, 31, v4
	v_lshlrev_b64 v[4:5], 4, v[4:5]
	v_add_co_u32_e32 v24, vcc, s26, v4
	v_addc_co_u32_e32 v25, vcc, v6, v5, vcc
	global_load_dwordx2 v[6:7], v[24:25], off
	s_waitcnt vmcnt(1)
	v_xor_b32_e32 v4, 0x80000000, v3
	v_cndmask_b32_e64 v3, v3, v4, s[0:1]
	v_mul_f64 v[26:27], v[2:3], -v[22:23]
	v_fmac_f64_e32 v[26:27], v[20:21], v[0:1]
.LBB119_10:                             ;   Parent Loop BB119_7 Depth=1
                                        ;     Parent Loop BB119_9 Depth=2
                                        ; =>    This Inner Loop Header: Depth=3
	s_waitcnt vmcnt(0)
	v_add_f64 v[4:5], v[6:7], v[26:27]
	global_atomic_cmpswap_x2 v[4:5], v[24:25], v[4:7], off glc
	s_waitcnt vmcnt(0)
	v_cmp_eq_u64_e32 vcc, v[4:5], v[6:7]
	s_or_b64 s[28:29], vcc, s[28:29]
	v_pk_mov_b32 v[6:7], v[4:5], v[4:5] op_sel:[0,1]
	s_andn2_b64 exec, exec, s[28:29]
	s_cbranch_execnz .LBB119_10
; %bb.11:                               ;   in Loop: Header=BB119_9 Depth=2
	s_or_b64 exec, exec, s[28:29]
	global_load_dwordx2 v[4:5], v[24:25], off offset:8
	v_mul_f64 v[6:7], v[20:21], v[2:3]
	v_fmac_f64_e32 v[6:7], v[22:23], v[0:1]
	s_mov_b64 s[28:29], 0
.LBB119_12:                             ;   Parent Loop BB119_7 Depth=1
                                        ;     Parent Loop BB119_9 Depth=2
                                        ; =>    This Inner Loop Header: Depth=3
	s_waitcnt vmcnt(0)
	v_add_f64 v[2:3], v[4:5], v[6:7]
	global_atomic_cmpswap_x2 v[0:1], v[24:25], v[2:5], off offset:8 glc
	s_waitcnt vmcnt(0)
	v_cmp_eq_u64_e32 vcc, v[0:1], v[4:5]
	s_or_b64 s[28:29], vcc, s[28:29]
	v_pk_mov_b32 v[4:5], v[0:1], v[0:1] op_sel:[0,1]
	s_andn2_b64 exec, exec, s[28:29]
	s_cbranch_execnz .LBB119_12
; %bb.13:                               ;   in Loop: Header=BB119_9 Depth=2
	s_or_b64 exec, exec, s[28:29]
	v_add_co_u32_e32 v18, vcc, 32, v18
	v_addc_co_u32_e32 v19, vcc, 0, v19, vcc
	v_cmp_ge_i64_e32 vcc, v[18:19], v[16:17]
	s_or_b64 s[14:15], vcc, s[14:15]
	s_andn2_b64 exec, exec, s[14:15]
	s_cbranch_execnz .LBB119_9
	s_branch .LBB119_6
.LBB119_14:
	s_or_b64 exec, exec, s[6:7]
	s_mov_b64 s[6:7], 0
.LBB119_15:
	s_andn2_b64 vcc, exec, s[6:7]
	s_cbranch_vccnz .LBB119_27
; %bb.16:
	s_and_b64 exec, exec, s[2:3]
	s_cbranch_execz .LBB119_27
; %bb.17:
	v_subrev_co_u32_e32 v26, vcc, s10, v13
	s_mov_b32 s6, 0
	v_subb_co_u32_e64 v27, s[2:3], 0, 0, vcc
	s_mov_b64 s[2:3], 0
	v_mov_b32_e32 v28, s17
	v_mov_b32_e32 v29, s19
	;; [unrolled: 1-line block ×3, first 2 shown]
	s_branch .LBB119_19
.LBB119_18:                             ;   in Loop: Header=BB119_19 Depth=1
	s_or_b64 exec, exec, s[6:7]
	v_add_u32_e32 v12, s4, v12
	v_cmp_le_i32_e32 vcc, s5, v12
	s_or_b64 s[2:3], vcc, s[2:3]
	s_andn2_b64 exec, exec, s[2:3]
	s_cbranch_execz .LBB119_27
.LBB119_19:                             ; =>This Loop Header: Depth=1
                                        ;     Child Loop BB119_22 Depth 2
                                        ;       Child Loop BB119_24 Depth 3
                                        ;       Child Loop BB119_26 Depth 3
	v_ashrrev_i32_e32 v13, 31, v12
	v_lshlrev_b64 v[0:1], 3, v[12:13]
	v_add_co_u32_e32 v2, vcc, s18, v0
	v_addc_co_u32_e32 v3, vcc, v29, v1, vcc
	global_load_dwordx2 v[2:3], v[2:3], off
	v_add_co_u32_e32 v0, vcc, s16, v0
	v_addc_co_u32_e32 v1, vcc, v28, v1, vcc
	global_load_dwordx2 v[0:1], v[0:1], off
	s_waitcnt vmcnt(1)
	v_subrev_co_u32_e32 v14, vcc, s10, v2
	v_subb_co_u32_e32 v15, vcc, v3, v30, vcc
	s_waitcnt vmcnt(0)
	v_add_co_u32_e32 v16, vcc, v0, v26
	v_addc_co_u32_e32 v17, vcc, v1, v27, vcc
	v_cmp_lt_i64_e32 vcc, v[16:17], v[14:15]
	s_and_saveexec_b64 s[6:7], vcc
	s_cbranch_execz .LBB119_18
; %bb.20:                               ;   in Loop: Header=BB119_19 Depth=1
	v_lshlrev_b64 v[0:1], 4, v[12:13]
	v_mov_b32_e32 v2, s25
	v_add_co_u32_e32 v0, vcc, s24, v0
	v_addc_co_u32_e32 v1, vcc, v2, v1, vcc
	global_load_dwordx4 v[0:3], v[0:1], off
	s_mov_b64 s[8:9], 0
	s_waitcnt vmcnt(0)
	v_mul_f64 v[18:19], v[2:3], -v[10:11]
	v_mul_f64 v[20:21], v[8:9], v[2:3]
	v_fmac_f64_e32 v[18:19], v[8:9], v[0:1]
	v_fmac_f64_e32 v[20:21], v[10:11], v[0:1]
	s_branch .LBB119_22
.LBB119_21:                             ;   in Loop: Header=BB119_22 Depth=2
	s_or_b64 exec, exec, s[12:13]
	v_add_co_u32_e32 v16, vcc, 32, v16
	v_addc_co_u32_e32 v17, vcc, 0, v17, vcc
	v_cmp_ge_i64_e32 vcc, v[16:17], v[14:15]
	s_or_b64 s[8:9], vcc, s[8:9]
	s_andn2_b64 exec, exec, s[8:9]
	s_cbranch_execz .LBB119_18
.LBB119_22:                             ;   Parent Loop BB119_19 Depth=1
                                        ; =>  This Loop Header: Depth=2
                                        ;       Child Loop BB119_24 Depth 3
                                        ;       Child Loop BB119_26 Depth 3
	v_lshlrev_b64 v[0:1], 2, v[16:17]
	v_mov_b32_e32 v2, s21
	v_add_co_u32_e32 v0, vcc, s20, v0
	v_addc_co_u32_e32 v1, vcc, v2, v1, vcc
	global_load_dword v0, v[0:1], off
	s_waitcnt vmcnt(0)
	v_subrev_u32_e32 v4, s10, v0
	v_cmp_ne_u32_e32 vcc, v4, v12
	s_and_saveexec_b64 s[12:13], vcc
	s_cbranch_execz .LBB119_21
; %bb.23:                               ;   in Loop: Header=BB119_22 Depth=2
	v_lshlrev_b64 v[0:1], 4, v[16:17]
	v_mov_b32_e32 v2, s23
	v_add_co_u32_e32 v0, vcc, s22, v0
	v_addc_co_u32_e32 v1, vcc, v2, v1, vcc
	global_load_dwordx4 v[0:3], v[0:1], off
	v_ashrrev_i32_e32 v5, 31, v4
	v_lshlrev_b64 v[4:5], 4, v[4:5]
	v_mov_b32_e32 v6, s27
	v_add_co_u32_e32 v22, vcc, s26, v4
	v_addc_co_u32_e32 v23, vcc, v6, v5, vcc
	global_load_dwordx2 v[6:7], v[22:23], off
	s_mov_b64 s[14:15], 0
	s_waitcnt vmcnt(1)
	v_xor_b32_e32 v4, 0x80000000, v3
	v_cndmask_b32_e64 v3, v3, v4, s[0:1]
	v_mul_f64 v[24:25], v[2:3], -v[20:21]
	v_fmac_f64_e32 v[24:25], v[18:19], v[0:1]
.LBB119_24:                             ;   Parent Loop BB119_19 Depth=1
                                        ;     Parent Loop BB119_22 Depth=2
                                        ; =>    This Inner Loop Header: Depth=3
	s_waitcnt vmcnt(0)
	v_add_f64 v[4:5], v[6:7], v[24:25]
	global_atomic_cmpswap_x2 v[4:5], v[22:23], v[4:7], off glc
	s_waitcnt vmcnt(0)
	v_cmp_eq_u64_e32 vcc, v[4:5], v[6:7]
	s_or_b64 s[14:15], vcc, s[14:15]
	v_pk_mov_b32 v[6:7], v[4:5], v[4:5] op_sel:[0,1]
	s_andn2_b64 exec, exec, s[14:15]
	s_cbranch_execnz .LBB119_24
; %bb.25:                               ;   in Loop: Header=BB119_22 Depth=2
	s_or_b64 exec, exec, s[14:15]
	global_load_dwordx2 v[4:5], v[22:23], off offset:8
	v_mul_f64 v[6:7], v[18:19], v[2:3]
	v_fmac_f64_e32 v[6:7], v[20:21], v[0:1]
	s_mov_b64 s[14:15], 0
.LBB119_26:                             ;   Parent Loop BB119_19 Depth=1
                                        ;     Parent Loop BB119_22 Depth=2
                                        ; =>    This Inner Loop Header: Depth=3
	s_waitcnt vmcnt(0)
	v_add_f64 v[2:3], v[4:5], v[6:7]
	global_atomic_cmpswap_x2 v[0:1], v[22:23], v[2:5], off offset:8 glc
	s_waitcnt vmcnt(0)
	v_cmp_eq_u64_e32 vcc, v[0:1], v[4:5]
	s_or_b64 s[14:15], vcc, s[14:15]
	v_pk_mov_b32 v[4:5], v[0:1], v[0:1] op_sel:[0,1]
	s_andn2_b64 exec, exec, s[14:15]
	s_cbranch_execnz .LBB119_26
	s_branch .LBB119_21
.LBB119_27:
	s_endpgm
	.section	.rodata,"a",@progbits
	.p2align	6, 0x0
	.amdhsa_kernel _ZN9rocsparseL21csrmvt_general_kernelILj256ELj32Eli21rocsparse_complex_numIdES2_S2_S2_EEvbbT2_NS_24const_host_device_scalarIT6_EEPKT1_S9_PKS3_PKT3_PKT4_PT5_21rocsparse_index_base_b
		.amdhsa_group_segment_fixed_size 2048
		.amdhsa_private_segment_fixed_size 0
		.amdhsa_kernarg_size 336
		.amdhsa_user_sgpr_count 8
		.amdhsa_user_sgpr_private_segment_buffer 1
		.amdhsa_user_sgpr_dispatch_ptr 1
		.amdhsa_user_sgpr_queue_ptr 0
		.amdhsa_user_sgpr_kernarg_segment_ptr 1
		.amdhsa_user_sgpr_dispatch_id 0
		.amdhsa_user_sgpr_flat_scratch_init 0
		.amdhsa_user_sgpr_kernarg_preload_length 0
		.amdhsa_user_sgpr_kernarg_preload_offset 0
		.amdhsa_user_sgpr_private_segment_size 0
		.amdhsa_uses_dynamic_stack 0
		.amdhsa_system_sgpr_private_segment_wavefront_offset 0
		.amdhsa_system_sgpr_workgroup_id_x 1
		.amdhsa_system_sgpr_workgroup_id_y 0
		.amdhsa_system_sgpr_workgroup_id_z 0
		.amdhsa_system_sgpr_workgroup_info 0
		.amdhsa_system_vgpr_workitem_id 2
		.amdhsa_next_free_vgpr 33
		.amdhsa_next_free_sgpr 30
		.amdhsa_accum_offset 36
		.amdhsa_reserve_vcc 1
		.amdhsa_reserve_flat_scratch 0
		.amdhsa_float_round_mode_32 0
		.amdhsa_float_round_mode_16_64 0
		.amdhsa_float_denorm_mode_32 3
		.amdhsa_float_denorm_mode_16_64 3
		.amdhsa_dx10_clamp 1
		.amdhsa_ieee_mode 1
		.amdhsa_fp16_overflow 0
		.amdhsa_tg_split 0
		.amdhsa_exception_fp_ieee_invalid_op 0
		.amdhsa_exception_fp_denorm_src 0
		.amdhsa_exception_fp_ieee_div_zero 0
		.amdhsa_exception_fp_ieee_overflow 0
		.amdhsa_exception_fp_ieee_underflow 0
		.amdhsa_exception_fp_ieee_inexact 0
		.amdhsa_exception_int_div_zero 0
	.end_amdhsa_kernel
	.section	.text._ZN9rocsparseL21csrmvt_general_kernelILj256ELj32Eli21rocsparse_complex_numIdES2_S2_S2_EEvbbT2_NS_24const_host_device_scalarIT6_EEPKT1_S9_PKS3_PKT3_PKT4_PT5_21rocsparse_index_base_b,"axG",@progbits,_ZN9rocsparseL21csrmvt_general_kernelILj256ELj32Eli21rocsparse_complex_numIdES2_S2_S2_EEvbbT2_NS_24const_host_device_scalarIT6_EEPKT1_S9_PKS3_PKT3_PKT4_PT5_21rocsparse_index_base_b,comdat
.Lfunc_end119:
	.size	_ZN9rocsparseL21csrmvt_general_kernelILj256ELj32Eli21rocsparse_complex_numIdES2_S2_S2_EEvbbT2_NS_24const_host_device_scalarIT6_EEPKT1_S9_PKS3_PKT3_PKT4_PT5_21rocsparse_index_base_b, .Lfunc_end119-_ZN9rocsparseL21csrmvt_general_kernelILj256ELj32Eli21rocsparse_complex_numIdES2_S2_S2_EEvbbT2_NS_24const_host_device_scalarIT6_EEPKT1_S9_PKS3_PKT3_PKT4_PT5_21rocsparse_index_base_b
                                        ; -- End function
	.section	.AMDGPU.csdata,"",@progbits
; Kernel info:
; codeLenInByte = 1316
; NumSgprs: 34
; NumVgprs: 33
; NumAgprs: 0
; TotalNumVgprs: 33
; ScratchSize: 0
; MemoryBound: 0
; FloatMode: 240
; IeeeMode: 1
; LDSByteSize: 2048 bytes/workgroup (compile time only)
; SGPRBlocks: 4
; VGPRBlocks: 4
; NumSGPRsForWavesPerEU: 34
; NumVGPRsForWavesPerEU: 33
; AccumOffset: 36
; Occupancy: 8
; WaveLimiterHint : 1
; COMPUTE_PGM_RSRC2:SCRATCH_EN: 0
; COMPUTE_PGM_RSRC2:USER_SGPR: 8
; COMPUTE_PGM_RSRC2:TRAP_HANDLER: 0
; COMPUTE_PGM_RSRC2:TGID_X_EN: 1
; COMPUTE_PGM_RSRC2:TGID_Y_EN: 0
; COMPUTE_PGM_RSRC2:TGID_Z_EN: 0
; COMPUTE_PGM_RSRC2:TIDIG_COMP_CNT: 2
; COMPUTE_PGM_RSRC3_GFX90A:ACCUM_OFFSET: 8
; COMPUTE_PGM_RSRC3_GFX90A:TG_SPLIT: 0
	.section	.text._ZN9rocsparseL21csrmvt_general_kernelILj256ELj64Eli21rocsparse_complex_numIdES2_S2_S2_EEvbbT2_NS_24const_host_device_scalarIT6_EEPKT1_S9_PKS3_PKT3_PKT4_PT5_21rocsparse_index_base_b,"axG",@progbits,_ZN9rocsparseL21csrmvt_general_kernelILj256ELj64Eli21rocsparse_complex_numIdES2_S2_S2_EEvbbT2_NS_24const_host_device_scalarIT6_EEPKT1_S9_PKS3_PKT3_PKT4_PT5_21rocsparse_index_base_b,comdat
	.globl	_ZN9rocsparseL21csrmvt_general_kernelILj256ELj64Eli21rocsparse_complex_numIdES2_S2_S2_EEvbbT2_NS_24const_host_device_scalarIT6_EEPKT1_S9_PKS3_PKT3_PKT4_PT5_21rocsparse_index_base_b ; -- Begin function _ZN9rocsparseL21csrmvt_general_kernelILj256ELj64Eli21rocsparse_complex_numIdES2_S2_S2_EEvbbT2_NS_24const_host_device_scalarIT6_EEPKT1_S9_PKS3_PKT3_PKT4_PT5_21rocsparse_index_base_b
	.p2align	8
	.type	_ZN9rocsparseL21csrmvt_general_kernelILj256ELj64Eli21rocsparse_complex_numIdES2_S2_S2_EEvbbT2_NS_24const_host_device_scalarIT6_EEPKT1_S9_PKS3_PKT3_PKT4_PT5_21rocsparse_index_base_b,@function
_ZN9rocsparseL21csrmvt_general_kernelILj256ELj64Eli21rocsparse_complex_numIdES2_S2_S2_EEvbbT2_NS_24const_host_device_scalarIT6_EEPKT1_S9_PKS3_PKT3_PKT4_PT5_21rocsparse_index_base_b: ; @_ZN9rocsparseL21csrmvt_general_kernelILj256ELj64Eli21rocsparse_complex_numIdES2_S2_S2_EEvbbT2_NS_24const_host_device_scalarIT6_EEPKT1_S9_PKS3_PKT3_PKT4_PT5_21rocsparse_index_base_b
; %bb.0:
	s_load_dwordx2 s[10:11], s[6:7], 0x48
	s_load_dwordx2 s[0:1], s[4:5], 0x4
	s_load_dwordx8 s[12:19], s[6:7], 0x8
	v_and_b32_e32 v1, 0x3ff, v0
	v_bfe_u32 v3, v0, 10, 10
	s_waitcnt lgkmcnt(0)
	s_and_b32 s2, 1, s11
	s_lshr_b32 s0, s0, 16
	s_mul_i32 s0, s0, s1
	v_mul_lo_u32 v2, s0, v1
	s_cmp_eq_u32 s2, 1
	v_mad_u32_u24 v2, v3, s1, v2
	v_bfe_u32 v0, v0, 20, 10
	v_add_lshl_u32 v0, v2, v0, 3
	v_pk_mov_b32 v[2:3], s[12:13], s[12:13] op_sel:[0,1]
	s_cselect_b64 vcc, -1, 0
	ds_write_b64 v0, v[2:3]
	s_mov_b64 s[0:1], src_shared_base
	v_cndmask_b32_e32 v2, v2, v0, vcc
	s_and_b64 vcc, vcc, exec
	s_cselect_b32 s0, s1, s13
	v_mov_b32_e32 v3, s0
	flat_load_dwordx2 v[8:9], v[2:3]
	v_pk_mov_b32 v[10:11], s[14:15], s[14:15] op_sel:[0,1]
	s_cbranch_vccnz .LBB120_2
; %bb.1:
	v_pk_mov_b32 v[2:3], s[12:13], s[12:13] op_sel:[0,1]
	flat_load_dwordx2 v[10:11], v[2:3] offset:8
.LBB120_2:
	s_waitcnt vmcnt(0) lgkmcnt(0)
	v_cmp_neq_f64_e32 vcc, 0, v[8:9]
	v_cmp_neq_f64_e64 s[0:1], 0, v[10:11]
	s_or_b64 s[0:1], vcc, s[0:1]
	s_and_saveexec_b64 s[2:3], s[0:1]
	s_cbranch_execz .LBB120_27
; %bb.3:
	s_load_dword s0, s[6:7], 0x0
	s_load_dwordx2 s[4:5], s[6:7], 0x0
	s_load_dword s2, s[6:7], 0x50
	s_load_dwordx8 s[20:27], s[6:7], 0x28
	v_lshl_or_b32 v0, s8, 8, v1
	s_waitcnt lgkmcnt(0)
	s_and_b32 s3, s0, 1
	s_bitcmp1_b32 s4, 8
	s_cselect_b64 s[0:1], -1, 0
	s_lshl_b32 s4, s2, 2
	v_lshrrev_b32_e32 v12, 6, v0
	s_cmp_eq_u32 s3, 0
	v_and_b32_e32 v13, 63, v1
	v_cmp_gt_i32_e64 s[2:3], s5, v12
	s_mov_b64 s[6:7], -1
	s_cbranch_scc0 .LBB120_15
; %bb.4:
	s_and_saveexec_b64 s[6:7], s[2:3]
	s_cbranch_execz .LBB120_14
; %bb.5:
	v_subrev_co_u32_e32 v28, vcc, s10, v13
	s_mov_b32 s11, 0
	v_subb_co_u32_e64 v29, s[8:9], 0, 0, vcc
	s_mov_b64 s[8:9], 0
	v_mov_b32_e32 v30, s17
	v_mov_b32_e32 v31, s19
	;; [unrolled: 1-line block ×4, first 2 shown]
	s_branch .LBB120_7
.LBB120_6:                              ;   in Loop: Header=BB120_7 Depth=1
	s_or_b64 exec, exec, s[12:13]
	v_add_u32_e32 v14, s4, v14
	v_cmp_le_i32_e32 vcc, s5, v14
	s_or_b64 s[8:9], vcc, s[8:9]
	s_andn2_b64 exec, exec, s[8:9]
	s_cbranch_execz .LBB120_14
.LBB120_7:                              ; =>This Loop Header: Depth=1
                                        ;     Child Loop BB120_9 Depth 2
                                        ;       Child Loop BB120_10 Depth 3
                                        ;       Child Loop BB120_12 Depth 3
	v_ashrrev_i32_e32 v15, 31, v14
	v_lshlrev_b64 v[0:1], 3, v[14:15]
	v_add_co_u32_e32 v2, vcc, s18, v0
	v_addc_co_u32_e32 v3, vcc, v31, v1, vcc
	global_load_dwordx2 v[2:3], v[2:3], off
	v_add_co_u32_e32 v0, vcc, s16, v0
	v_addc_co_u32_e32 v1, vcc, v30, v1, vcc
	global_load_dwordx2 v[0:1], v[0:1], off
	s_waitcnt vmcnt(1)
	v_subrev_co_u32_e32 v16, vcc, s10, v2
	v_subb_co_u32_e32 v17, vcc, v3, v32, vcc
	s_waitcnt vmcnt(0)
	v_add_co_u32_e32 v18, vcc, v0, v28
	v_addc_co_u32_e32 v19, vcc, v1, v29, vcc
	v_cmp_lt_i64_e32 vcc, v[18:19], v[16:17]
	s_and_saveexec_b64 s[12:13], vcc
	s_cbranch_execz .LBB120_6
; %bb.8:                                ;   in Loop: Header=BB120_7 Depth=1
	v_lshlrev_b64 v[0:1], 4, v[14:15]
	v_mov_b32_e32 v2, s25
	v_add_co_u32_e32 v0, vcc, s24, v0
	v_addc_co_u32_e32 v1, vcc, v2, v1, vcc
	global_load_dwordx4 v[0:3], v[0:1], off
	s_mov_b64 s[14:15], 0
	s_waitcnt vmcnt(0)
	v_mul_f64 v[20:21], v[2:3], -v[10:11]
	v_mul_f64 v[22:23], v[8:9], v[2:3]
	v_fmac_f64_e32 v[20:21], v[8:9], v[0:1]
	v_fmac_f64_e32 v[22:23], v[10:11], v[0:1]
.LBB120_9:                              ;   Parent Loop BB120_7 Depth=1
                                        ; =>  This Loop Header: Depth=2
                                        ;       Child Loop BB120_10 Depth 3
                                        ;       Child Loop BB120_12 Depth 3
	v_lshlrev_b64 v[0:1], 2, v[18:19]
	v_mov_b32_e32 v2, s21
	v_add_co_u32_e32 v0, vcc, s20, v0
	v_addc_co_u32_e32 v1, vcc, v2, v1, vcc
	global_load_dword v4, v[0:1], off
	v_lshlrev_b64 v[0:1], 4, v[18:19]
	v_mov_b32_e32 v2, s23
	v_add_co_u32_e32 v0, vcc, s22, v0
	v_addc_co_u32_e32 v1, vcc, v2, v1, vcc
	global_load_dwordx4 v[0:3], v[0:1], off
	v_mov_b32_e32 v6, s27
	s_mov_b64 s[28:29], 0
	s_waitcnt vmcnt(1)
	v_subrev_u32_e32 v4, s10, v4
	v_ashrrev_i32_e32 v5, 31, v4
	v_lshlrev_b64 v[4:5], 4, v[4:5]
	v_add_co_u32_e32 v24, vcc, s26, v4
	v_addc_co_u32_e32 v25, vcc, v6, v5, vcc
	global_load_dwordx2 v[6:7], v[24:25], off
	s_waitcnt vmcnt(1)
	v_xor_b32_e32 v4, 0x80000000, v3
	v_cndmask_b32_e64 v3, v3, v4, s[0:1]
	v_mul_f64 v[26:27], v[2:3], -v[22:23]
	v_fmac_f64_e32 v[26:27], v[20:21], v[0:1]
.LBB120_10:                             ;   Parent Loop BB120_7 Depth=1
                                        ;     Parent Loop BB120_9 Depth=2
                                        ; =>    This Inner Loop Header: Depth=3
	s_waitcnt vmcnt(0)
	v_add_f64 v[4:5], v[6:7], v[26:27]
	global_atomic_cmpswap_x2 v[4:5], v[24:25], v[4:7], off glc
	s_waitcnt vmcnt(0)
	v_cmp_eq_u64_e32 vcc, v[4:5], v[6:7]
	s_or_b64 s[28:29], vcc, s[28:29]
	v_pk_mov_b32 v[6:7], v[4:5], v[4:5] op_sel:[0,1]
	s_andn2_b64 exec, exec, s[28:29]
	s_cbranch_execnz .LBB120_10
; %bb.11:                               ;   in Loop: Header=BB120_9 Depth=2
	s_or_b64 exec, exec, s[28:29]
	global_load_dwordx2 v[4:5], v[24:25], off offset:8
	v_mul_f64 v[6:7], v[20:21], v[2:3]
	v_fmac_f64_e32 v[6:7], v[22:23], v[0:1]
	s_mov_b64 s[28:29], 0
.LBB120_12:                             ;   Parent Loop BB120_7 Depth=1
                                        ;     Parent Loop BB120_9 Depth=2
                                        ; =>    This Inner Loop Header: Depth=3
	s_waitcnt vmcnt(0)
	v_add_f64 v[2:3], v[4:5], v[6:7]
	global_atomic_cmpswap_x2 v[0:1], v[24:25], v[2:5], off offset:8 glc
	s_waitcnt vmcnt(0)
	v_cmp_eq_u64_e32 vcc, v[0:1], v[4:5]
	s_or_b64 s[28:29], vcc, s[28:29]
	v_pk_mov_b32 v[4:5], v[0:1], v[0:1] op_sel:[0,1]
	s_andn2_b64 exec, exec, s[28:29]
	s_cbranch_execnz .LBB120_12
; %bb.13:                               ;   in Loop: Header=BB120_9 Depth=2
	s_or_b64 exec, exec, s[28:29]
	v_add_co_u32_e32 v18, vcc, 64, v18
	v_addc_co_u32_e32 v19, vcc, 0, v19, vcc
	v_cmp_ge_i64_e32 vcc, v[18:19], v[16:17]
	s_or_b64 s[14:15], vcc, s[14:15]
	s_andn2_b64 exec, exec, s[14:15]
	s_cbranch_execnz .LBB120_9
	s_branch .LBB120_6
.LBB120_14:
	s_or_b64 exec, exec, s[6:7]
	s_mov_b64 s[6:7], 0
.LBB120_15:
	s_andn2_b64 vcc, exec, s[6:7]
	s_cbranch_vccnz .LBB120_27
; %bb.16:
	s_and_b64 exec, exec, s[2:3]
	s_cbranch_execz .LBB120_27
; %bb.17:
	v_subrev_co_u32_e32 v26, vcc, s10, v13
	s_mov_b32 s6, 0
	v_subb_co_u32_e64 v27, s[2:3], 0, 0, vcc
	s_mov_b64 s[2:3], 0
	v_mov_b32_e32 v28, s17
	v_mov_b32_e32 v29, s19
	;; [unrolled: 1-line block ×3, first 2 shown]
	s_branch .LBB120_19
.LBB120_18:                             ;   in Loop: Header=BB120_19 Depth=1
	s_or_b64 exec, exec, s[6:7]
	v_add_u32_e32 v12, s4, v12
	v_cmp_le_i32_e32 vcc, s5, v12
	s_or_b64 s[2:3], vcc, s[2:3]
	s_andn2_b64 exec, exec, s[2:3]
	s_cbranch_execz .LBB120_27
.LBB120_19:                             ; =>This Loop Header: Depth=1
                                        ;     Child Loop BB120_22 Depth 2
                                        ;       Child Loop BB120_24 Depth 3
                                        ;       Child Loop BB120_26 Depth 3
	v_ashrrev_i32_e32 v13, 31, v12
	v_lshlrev_b64 v[0:1], 3, v[12:13]
	v_add_co_u32_e32 v2, vcc, s18, v0
	v_addc_co_u32_e32 v3, vcc, v29, v1, vcc
	global_load_dwordx2 v[2:3], v[2:3], off
	v_add_co_u32_e32 v0, vcc, s16, v0
	v_addc_co_u32_e32 v1, vcc, v28, v1, vcc
	global_load_dwordx2 v[0:1], v[0:1], off
	s_waitcnt vmcnt(1)
	v_subrev_co_u32_e32 v14, vcc, s10, v2
	v_subb_co_u32_e32 v15, vcc, v3, v30, vcc
	s_waitcnt vmcnt(0)
	v_add_co_u32_e32 v16, vcc, v0, v26
	v_addc_co_u32_e32 v17, vcc, v1, v27, vcc
	v_cmp_lt_i64_e32 vcc, v[16:17], v[14:15]
	s_and_saveexec_b64 s[6:7], vcc
	s_cbranch_execz .LBB120_18
; %bb.20:                               ;   in Loop: Header=BB120_19 Depth=1
	v_lshlrev_b64 v[0:1], 4, v[12:13]
	v_mov_b32_e32 v2, s25
	v_add_co_u32_e32 v0, vcc, s24, v0
	v_addc_co_u32_e32 v1, vcc, v2, v1, vcc
	global_load_dwordx4 v[0:3], v[0:1], off
	s_mov_b64 s[8:9], 0
	s_waitcnt vmcnt(0)
	v_mul_f64 v[18:19], v[2:3], -v[10:11]
	v_mul_f64 v[20:21], v[8:9], v[2:3]
	v_fmac_f64_e32 v[18:19], v[8:9], v[0:1]
	v_fmac_f64_e32 v[20:21], v[10:11], v[0:1]
	s_branch .LBB120_22
.LBB120_21:                             ;   in Loop: Header=BB120_22 Depth=2
	s_or_b64 exec, exec, s[12:13]
	v_add_co_u32_e32 v16, vcc, 64, v16
	v_addc_co_u32_e32 v17, vcc, 0, v17, vcc
	v_cmp_ge_i64_e32 vcc, v[16:17], v[14:15]
	s_or_b64 s[8:9], vcc, s[8:9]
	s_andn2_b64 exec, exec, s[8:9]
	s_cbranch_execz .LBB120_18
.LBB120_22:                             ;   Parent Loop BB120_19 Depth=1
                                        ; =>  This Loop Header: Depth=2
                                        ;       Child Loop BB120_24 Depth 3
                                        ;       Child Loop BB120_26 Depth 3
	v_lshlrev_b64 v[0:1], 2, v[16:17]
	v_mov_b32_e32 v2, s21
	v_add_co_u32_e32 v0, vcc, s20, v0
	v_addc_co_u32_e32 v1, vcc, v2, v1, vcc
	global_load_dword v0, v[0:1], off
	s_waitcnt vmcnt(0)
	v_subrev_u32_e32 v4, s10, v0
	v_cmp_ne_u32_e32 vcc, v4, v12
	s_and_saveexec_b64 s[12:13], vcc
	s_cbranch_execz .LBB120_21
; %bb.23:                               ;   in Loop: Header=BB120_22 Depth=2
	v_lshlrev_b64 v[0:1], 4, v[16:17]
	v_mov_b32_e32 v2, s23
	v_add_co_u32_e32 v0, vcc, s22, v0
	v_addc_co_u32_e32 v1, vcc, v2, v1, vcc
	global_load_dwordx4 v[0:3], v[0:1], off
	v_ashrrev_i32_e32 v5, 31, v4
	v_lshlrev_b64 v[4:5], 4, v[4:5]
	v_mov_b32_e32 v6, s27
	v_add_co_u32_e32 v22, vcc, s26, v4
	v_addc_co_u32_e32 v23, vcc, v6, v5, vcc
	global_load_dwordx2 v[6:7], v[22:23], off
	s_mov_b64 s[14:15], 0
	s_waitcnt vmcnt(1)
	v_xor_b32_e32 v4, 0x80000000, v3
	v_cndmask_b32_e64 v3, v3, v4, s[0:1]
	v_mul_f64 v[24:25], v[2:3], -v[20:21]
	v_fmac_f64_e32 v[24:25], v[18:19], v[0:1]
.LBB120_24:                             ;   Parent Loop BB120_19 Depth=1
                                        ;     Parent Loop BB120_22 Depth=2
                                        ; =>    This Inner Loop Header: Depth=3
	s_waitcnt vmcnt(0)
	v_add_f64 v[4:5], v[6:7], v[24:25]
	global_atomic_cmpswap_x2 v[4:5], v[22:23], v[4:7], off glc
	s_waitcnt vmcnt(0)
	v_cmp_eq_u64_e32 vcc, v[4:5], v[6:7]
	s_or_b64 s[14:15], vcc, s[14:15]
	v_pk_mov_b32 v[6:7], v[4:5], v[4:5] op_sel:[0,1]
	s_andn2_b64 exec, exec, s[14:15]
	s_cbranch_execnz .LBB120_24
; %bb.25:                               ;   in Loop: Header=BB120_22 Depth=2
	s_or_b64 exec, exec, s[14:15]
	global_load_dwordx2 v[4:5], v[22:23], off offset:8
	v_mul_f64 v[6:7], v[18:19], v[2:3]
	v_fmac_f64_e32 v[6:7], v[20:21], v[0:1]
	s_mov_b64 s[14:15], 0
.LBB120_26:                             ;   Parent Loop BB120_19 Depth=1
                                        ;     Parent Loop BB120_22 Depth=2
                                        ; =>    This Inner Loop Header: Depth=3
	s_waitcnt vmcnt(0)
	v_add_f64 v[2:3], v[4:5], v[6:7]
	global_atomic_cmpswap_x2 v[0:1], v[22:23], v[2:5], off offset:8 glc
	s_waitcnt vmcnt(0)
	v_cmp_eq_u64_e32 vcc, v[0:1], v[4:5]
	s_or_b64 s[14:15], vcc, s[14:15]
	v_pk_mov_b32 v[4:5], v[0:1], v[0:1] op_sel:[0,1]
	s_andn2_b64 exec, exec, s[14:15]
	s_cbranch_execnz .LBB120_26
	s_branch .LBB120_21
.LBB120_27:
	s_endpgm
	.section	.rodata,"a",@progbits
	.p2align	6, 0x0
	.amdhsa_kernel _ZN9rocsparseL21csrmvt_general_kernelILj256ELj64Eli21rocsparse_complex_numIdES2_S2_S2_EEvbbT2_NS_24const_host_device_scalarIT6_EEPKT1_S9_PKS3_PKT3_PKT4_PT5_21rocsparse_index_base_b
		.amdhsa_group_segment_fixed_size 2048
		.amdhsa_private_segment_fixed_size 0
		.amdhsa_kernarg_size 336
		.amdhsa_user_sgpr_count 8
		.amdhsa_user_sgpr_private_segment_buffer 1
		.amdhsa_user_sgpr_dispatch_ptr 1
		.amdhsa_user_sgpr_queue_ptr 0
		.amdhsa_user_sgpr_kernarg_segment_ptr 1
		.amdhsa_user_sgpr_dispatch_id 0
		.amdhsa_user_sgpr_flat_scratch_init 0
		.amdhsa_user_sgpr_kernarg_preload_length 0
		.amdhsa_user_sgpr_kernarg_preload_offset 0
		.amdhsa_user_sgpr_private_segment_size 0
		.amdhsa_uses_dynamic_stack 0
		.amdhsa_system_sgpr_private_segment_wavefront_offset 0
		.amdhsa_system_sgpr_workgroup_id_x 1
		.amdhsa_system_sgpr_workgroup_id_y 0
		.amdhsa_system_sgpr_workgroup_id_z 0
		.amdhsa_system_sgpr_workgroup_info 0
		.amdhsa_system_vgpr_workitem_id 2
		.amdhsa_next_free_vgpr 33
		.amdhsa_next_free_sgpr 30
		.amdhsa_accum_offset 36
		.amdhsa_reserve_vcc 1
		.amdhsa_reserve_flat_scratch 0
		.amdhsa_float_round_mode_32 0
		.amdhsa_float_round_mode_16_64 0
		.amdhsa_float_denorm_mode_32 3
		.amdhsa_float_denorm_mode_16_64 3
		.amdhsa_dx10_clamp 1
		.amdhsa_ieee_mode 1
		.amdhsa_fp16_overflow 0
		.amdhsa_tg_split 0
		.amdhsa_exception_fp_ieee_invalid_op 0
		.amdhsa_exception_fp_denorm_src 0
		.amdhsa_exception_fp_ieee_div_zero 0
		.amdhsa_exception_fp_ieee_overflow 0
		.amdhsa_exception_fp_ieee_underflow 0
		.amdhsa_exception_fp_ieee_inexact 0
		.amdhsa_exception_int_div_zero 0
	.end_amdhsa_kernel
	.section	.text._ZN9rocsparseL21csrmvt_general_kernelILj256ELj64Eli21rocsparse_complex_numIdES2_S2_S2_EEvbbT2_NS_24const_host_device_scalarIT6_EEPKT1_S9_PKS3_PKT3_PKT4_PT5_21rocsparse_index_base_b,"axG",@progbits,_ZN9rocsparseL21csrmvt_general_kernelILj256ELj64Eli21rocsparse_complex_numIdES2_S2_S2_EEvbbT2_NS_24const_host_device_scalarIT6_EEPKT1_S9_PKS3_PKT3_PKT4_PT5_21rocsparse_index_base_b,comdat
.Lfunc_end120:
	.size	_ZN9rocsparseL21csrmvt_general_kernelILj256ELj64Eli21rocsparse_complex_numIdES2_S2_S2_EEvbbT2_NS_24const_host_device_scalarIT6_EEPKT1_S9_PKS3_PKT3_PKT4_PT5_21rocsparse_index_base_b, .Lfunc_end120-_ZN9rocsparseL21csrmvt_general_kernelILj256ELj64Eli21rocsparse_complex_numIdES2_S2_S2_EEvbbT2_NS_24const_host_device_scalarIT6_EEPKT1_S9_PKS3_PKT3_PKT4_PT5_21rocsparse_index_base_b
                                        ; -- End function
	.section	.AMDGPU.csdata,"",@progbits
; Kernel info:
; codeLenInByte = 1316
; NumSgprs: 34
; NumVgprs: 33
; NumAgprs: 0
; TotalNumVgprs: 33
; ScratchSize: 0
; MemoryBound: 0
; FloatMode: 240
; IeeeMode: 1
; LDSByteSize: 2048 bytes/workgroup (compile time only)
; SGPRBlocks: 4
; VGPRBlocks: 4
; NumSGPRsForWavesPerEU: 34
; NumVGPRsForWavesPerEU: 33
; AccumOffset: 36
; Occupancy: 8
; WaveLimiterHint : 1
; COMPUTE_PGM_RSRC2:SCRATCH_EN: 0
; COMPUTE_PGM_RSRC2:USER_SGPR: 8
; COMPUTE_PGM_RSRC2:TRAP_HANDLER: 0
; COMPUTE_PGM_RSRC2:TGID_X_EN: 1
; COMPUTE_PGM_RSRC2:TGID_Y_EN: 0
; COMPUTE_PGM_RSRC2:TGID_Z_EN: 0
; COMPUTE_PGM_RSRC2:TIDIG_COMP_CNT: 2
; COMPUTE_PGM_RSRC3_GFX90A:ACCUM_OFFSET: 8
; COMPUTE_PGM_RSRC3_GFX90A:TG_SPLIT: 0
	.section	.text._ZN9rocsparseL21csrmvn_general_kernelILj256ELj2Ell21rocsparse_complex_numIdES2_S2_S2_EEvbT2_NS_24const_host_device_scalarIT6_EEPKT1_S9_PKS3_PKT3_PKT4_S6_PT5_21rocsparse_index_base_b,"axG",@progbits,_ZN9rocsparseL21csrmvn_general_kernelILj256ELj2Ell21rocsparse_complex_numIdES2_S2_S2_EEvbT2_NS_24const_host_device_scalarIT6_EEPKT1_S9_PKS3_PKT3_PKT4_S6_PT5_21rocsparse_index_base_b,comdat
	.globl	_ZN9rocsparseL21csrmvn_general_kernelILj256ELj2Ell21rocsparse_complex_numIdES2_S2_S2_EEvbT2_NS_24const_host_device_scalarIT6_EEPKT1_S9_PKS3_PKT3_PKT4_S6_PT5_21rocsparse_index_base_b ; -- Begin function _ZN9rocsparseL21csrmvn_general_kernelILj256ELj2Ell21rocsparse_complex_numIdES2_S2_S2_EEvbT2_NS_24const_host_device_scalarIT6_EEPKT1_S9_PKS3_PKT3_PKT4_S6_PT5_21rocsparse_index_base_b
	.p2align	8
	.type	_ZN9rocsparseL21csrmvn_general_kernelILj256ELj2Ell21rocsparse_complex_numIdES2_S2_S2_EEvbT2_NS_24const_host_device_scalarIT6_EEPKT1_S9_PKS3_PKT3_PKT4_S6_PT5_21rocsparse_index_base_b,@function
_ZN9rocsparseL21csrmvn_general_kernelILj256ELj2Ell21rocsparse_complex_numIdES2_S2_S2_EEvbT2_NS_24const_host_device_scalarIT6_EEPKT1_S9_PKS3_PKT3_PKT4_S6_PT5_21rocsparse_index_base_b: ; @_ZN9rocsparseL21csrmvn_general_kernelILj256ELj2Ell21rocsparse_complex_numIdES2_S2_S2_EEvbT2_NS_24const_host_device_scalarIT6_EEPKT1_S9_PKS3_PKT3_PKT4_S6_PT5_21rocsparse_index_base_b
; %bb.0:
	s_load_dwordx2 s[24:25], s[6:7], 0x60
	s_load_dwordx8 s[12:19], s[6:7], 0x8
	s_load_dwordx4 s[20:23], s[6:7], 0x48
	s_mov_b64 s[2:3], src_shared_base
	s_load_dwordx2 s[4:5], s[4:5], 0x4
	s_waitcnt lgkmcnt(0)
	s_bitcmp1_b32 s25, 0
	s_cselect_b64 s[0:1], -1, 0
	s_and_b64 vcc, s[0:1], exec
	s_cselect_b32 s2, s3, s15
	s_lshr_b32 s4, s4, 16
	v_and_b32_e32 v1, 0x3ff, v0
	s_mul_i32 s4, s4, s5
	v_mul_lo_u32 v2, s4, v1
	v_bfe_u32 v3, v0, 10, 10
	v_mad_u32_u24 v2, v3, s5, v2
	v_bfe_u32 v0, v0, 20, 10
	v_add_lshl_u32 v0, v2, v0, 3
	v_mov_b32_e32 v6, s14
	v_add_u32_e32 v7, 0x800, v0
	v_pk_mov_b32 v[2:3], s[14:15], s[14:15] op_sel:[0,1]
	v_pk_mov_b32 v[4:5], s[20:21], s[20:21] op_sel:[0,1]
	ds_write2st64_b64 v0, v[4:5], v[2:3] offset1:4
	v_cndmask_b32_e64 v2, v6, v7, s[0:1]
	v_mov_b32_e32 v3, s2
	flat_load_dwordx2 v[4:5], v[2:3]
	s_xor_b64 s[4:5], s[0:1], -1
	v_pk_mov_b32 v[6:7], s[16:17], s[16:17] op_sel:[0,1]
	s_cbranch_vccnz .LBB121_2
; %bb.1:
	v_pk_mov_b32 v[2:3], s[14:15], s[14:15] op_sel:[0,1]
	flat_load_dwordx2 v[6:7], v[2:3] offset:8
.LBB121_2:
	s_and_b64 s[10:11], s[0:1], exec
	s_cselect_b32 s2, s3, s21
	v_mov_b32_e32 v2, s20
	v_cndmask_b32_e64 v2, v2, v0, s[0:1]
	v_mov_b32_e32 v3, s2
	flat_load_dwordx2 v[8:9], v[2:3]
	s_andn2_b64 vcc, exec, s[4:5]
	v_pk_mov_b32 v[10:11], s[22:23], s[22:23] op_sel:[0,1]
	s_cbranch_vccnz .LBB121_4
; %bb.3:
	v_pk_mov_b32 v[2:3], s[20:21], s[20:21] op_sel:[0,1]
	flat_load_dwordx2 v[10:11], v[2:3] offset:8
.LBB121_4:
	s_waitcnt vmcnt(0) lgkmcnt(0)
	v_cmp_eq_f64_e32 vcc, 0, v[4:5]
	v_cmp_eq_f64_e64 s[0:1], 0, v[6:7]
	s_and_b64 s[4:5], vcc, s[0:1]
	s_mov_b64 s[0:1], -1
	s_and_saveexec_b64 s[2:3], s[4:5]
; %bb.5:
	v_cmp_neq_f64_e32 vcc, 1.0, v[8:9]
	v_cmp_neq_f64_e64 s[0:1], 0, v[10:11]
	s_or_b64 s[0:1], vcc, s[0:1]
	s_orn2_b64 s[0:1], s[0:1], exec
; %bb.6:
	s_or_b64 exec, exec, s[2:3]
	s_and_saveexec_b64 s[2:3], s[0:1]
	s_cbranch_execz .LBB121_18
; %bb.7:
	s_load_dwordx2 s[14:15], s[6:7], 0x28
	v_lshl_or_b32 v0, s8, 8, v1
	v_lshrrev_b32_e32 v12, 1, v0
	v_mov_b32_e32 v13, 0
	v_cmp_gt_i64_e32 vcc, s[12:13], v[12:13]
	s_and_b64 exec, exec, vcc
	s_cbranch_execz .LBB121_18
; %bb.8:
	s_load_dword s0, s[6:7], 0x68
	s_load_dwordx4 s[8:11], s[6:7], 0x30
	s_load_dword s1, s[6:7], 0x0
	s_load_dwordx2 s[16:17], s[6:7], 0x58
	s_load_dwordx2 s[2:3], s[6:7], 0x40
	s_waitcnt lgkmcnt(0)
	s_lshl_b32 s22, s0, 7
	v_and_b32_e32 v0, 1, v1
	s_bitcmp1_b32 s1, 0
	v_subrev_co_u32_e64 v22, s[0:1], s24, v0
	v_subb_co_u32_e64 v23, s[0:1], 0, 0, s[0:1]
	s_cselect_b64 vcc, -1, 0
	s_ashr_i32 s1, s24, 31
	s_mov_b32 s0, s24
	s_lshl_b64 s[0:1], s[0:1], 4
	s_sub_u32 s25, s2, s0
	s_subb_u32 s21, s3, s1
	v_cmp_neq_f64_e64 s[2:3], 0, v[8:9]
	v_cmp_neq_f64_e64 s[4:5], 0, v[10:11]
	s_or_b64 s[4:5], s[2:3], s[4:5]
	s_mov_b32 s23, 0
	s_add_u32 s26, s10, 8
	v_cmp_eq_u32_e64 s[0:1], 1, v0
	s_mov_b64 s[6:7], 0
	s_addc_u32 s27, s11, 0
	v_mov_b32_e32 v24, s19
	v_mov_b32_e32 v25, s15
	;; [unrolled: 1-line block ×4, first 2 shown]
	s_branch .LBB121_11
.LBB121_9:                              ;   in Loop: Header=BB121_11 Depth=1
	s_or_b64 exec, exec, s[2:3]
	global_store_dwordx4 v[14:15], v[0:3], off
.LBB121_10:                             ;   in Loop: Header=BB121_11 Depth=1
	s_or_b64 exec, exec, s[10:11]
	v_mov_b32_e32 v0, s23
	v_add_co_u32_e64 v12, s[2:3], s22, v12
	v_addc_co_u32_e64 v13, s[2:3], v13, v0, s[2:3]
	v_cmp_le_i64_e64 s[2:3], s[12:13], v[12:13]
	s_or_b64 s[6:7], s[2:3], s[6:7]
	s_andn2_b64 exec, exec, s[6:7]
	s_cbranch_execz .LBB121_18
.LBB121_11:                             ; =>This Loop Header: Depth=1
                                        ;     Child Loop BB121_13 Depth 2
	v_lshlrev_b64 v[0:1], 3, v[12:13]
	v_add_co_u32_e64 v2, s[2:3], s14, v0
	v_addc_co_u32_e64 v3, s[2:3], v25, v1, s[2:3]
	global_load_dwordx2 v[14:15], v[2:3], off
	v_add_co_u32_e64 v0, s[2:3], s18, v0
	v_addc_co_u32_e64 v1, s[2:3], v24, v1, s[2:3]
	global_load_dwordx2 v[16:17], v[0:1], off
	v_pk_mov_b32 v[2:3], 0, 0
	s_waitcnt vmcnt(1)
	v_subrev_co_u32_e64 v0, s[2:3], s24, v14
	v_subb_co_u32_e64 v1, s[2:3], v15, v26, s[2:3]
	s_waitcnt vmcnt(0)
	v_add_co_u32_e64 v14, s[2:3], v16, v22
	v_addc_co_u32_e64 v15, s[2:3], v17, v23, s[2:3]
	v_cmp_lt_i64_e64 s[2:3], v[14:15], v[0:1]
	v_pk_mov_b32 v[16:17], v[2:3], v[2:3] op_sel:[0,1]
	s_and_saveexec_b64 s[10:11], s[2:3]
	s_cbranch_execz .LBB121_15
; %bb.12:                               ;   in Loop: Header=BB121_11 Depth=1
	v_lshlrev_b64 v[2:3], 4, v[14:15]
	v_mov_b32_e32 v16, s27
	v_add_co_u32_e64 v18, s[2:3], s26, v2
	v_addc_co_u32_e64 v19, s[2:3], v16, v3, s[2:3]
	v_lshlrev_b64 v[2:3], 3, v[14:15]
	v_mov_b32_e32 v16, s9
	v_add_co_u32_e64 v20, s[2:3], s8, v2
	v_addc_co_u32_e64 v21, s[2:3], v16, v3, s[2:3]
	v_pk_mov_b32 v[2:3], 0, 0
	s_mov_b64 s[20:21], 0
	v_pk_mov_b32 v[16:17], v[2:3], v[2:3] op_sel:[0,1]
.LBB121_13:                             ;   Parent Loop BB121_11 Depth=1
                                        ; =>  This Inner Loop Header: Depth=2
	global_load_dwordx2 v[32:33], v[20:21], off
	global_load_dwordx4 v[28:31], v[18:19], off offset:-8
	s_waitcnt vmcnt(1)
	v_lshlrev_b64 v[32:33], 4, v[32:33]
	v_add_co_u32_e64 v32, s[2:3], s25, v32
	v_addc_co_u32_e64 v33, s[2:3], v27, v33, s[2:3]
	global_load_dwordx4 v[32:35], v[32:33], off
	v_add_co_u32_e64 v14, s[2:3], 2, v14
	v_addc_co_u32_e64 v15, s[2:3], 0, v15, s[2:3]
	v_add_co_u32_e64 v18, s[2:3], 32, v18
	s_waitcnt vmcnt(1)
	v_xor_b32_e32 v36, 0x80000000, v31
	v_addc_co_u32_e64 v19, s[2:3], 0, v19, s[2:3]
	v_cndmask_b32_e32 v31, v31, v36, vcc
	v_add_co_u32_e64 v20, s[2:3], 16, v20
	v_mul_f64 v[36:37], v[30:31], -v[6:7]
	v_mul_f64 v[30:31], v[4:5], v[30:31]
	v_addc_co_u32_e64 v21, s[2:3], 0, v21, s[2:3]
	v_fmac_f64_e32 v[36:37], v[4:5], v[28:29]
	v_fmac_f64_e32 v[30:31], v[6:7], v[28:29]
	v_cmp_ge_i64_e64 s[2:3], v[14:15], v[0:1]
	s_or_b64 s[20:21], s[2:3], s[20:21]
	s_waitcnt vmcnt(0)
	v_fmac_f64_e32 v[16:17], v[36:37], v[32:33]
	v_fmac_f64_e32 v[2:3], v[30:31], v[32:33]
	v_fma_f64 v[16:17], -v[30:31], v[34:35], v[16:17]
	v_fmac_f64_e32 v[2:3], v[36:37], v[34:35]
	s_andn2_b64 exec, exec, s[20:21]
	s_cbranch_execnz .LBB121_13
; %bb.14:                               ;   in Loop: Header=BB121_11 Depth=1
	s_or_b64 exec, exec, s[20:21]
.LBB121_15:                             ;   in Loop: Header=BB121_11 Depth=1
	s_or_b64 exec, exec, s[10:11]
	v_mov_b32_dpp v0, v16 row_shr:1 row_mask:0xf bank_mask:0xf
	v_mov_b32_dpp v1, v17 row_shr:1 row_mask:0xf bank_mask:0xf
	;; [unrolled: 1-line block ×4, first 2 shown]
	s_and_saveexec_b64 s[10:11], s[0:1]
	s_cbranch_execz .LBB121_10
; %bb.16:                               ;   in Loop: Header=BB121_11 Depth=1
	v_add_f64 v[2:3], v[2:3], v[14:15]
	v_lshlrev_b64 v[14:15], 4, v[12:13]
	v_add_f64 v[0:1], v[16:17], v[0:1]
	v_mov_b32_e32 v16, s17
	v_add_co_u32_e64 v14, s[2:3], s16, v14
	v_addc_co_u32_e64 v15, s[2:3], v16, v15, s[2:3]
	s_and_saveexec_b64 s[2:3], s[4:5]
	s_cbranch_execz .LBB121_9
; %bb.17:                               ;   in Loop: Header=BB121_11 Depth=1
	global_load_dwordx4 v[16:19], v[14:15], off
	s_waitcnt vmcnt(0)
	v_fmac_f64_e32 v[0:1], v[8:9], v[16:17]
	v_fmac_f64_e32 v[2:3], v[10:11], v[16:17]
	v_fma_f64 v[0:1], -v[10:11], v[18:19], v[0:1]
	v_fmac_f64_e32 v[2:3], v[8:9], v[18:19]
	s_branch .LBB121_9
.LBB121_18:
	s_endpgm
	.section	.rodata,"a",@progbits
	.p2align	6, 0x0
	.amdhsa_kernel _ZN9rocsparseL21csrmvn_general_kernelILj256ELj2Ell21rocsparse_complex_numIdES2_S2_S2_EEvbT2_NS_24const_host_device_scalarIT6_EEPKT1_S9_PKS3_PKT3_PKT4_S6_PT5_21rocsparse_index_base_b
		.amdhsa_group_segment_fixed_size 4096
		.amdhsa_private_segment_fixed_size 0
		.amdhsa_kernarg_size 360
		.amdhsa_user_sgpr_count 8
		.amdhsa_user_sgpr_private_segment_buffer 1
		.amdhsa_user_sgpr_dispatch_ptr 1
		.amdhsa_user_sgpr_queue_ptr 0
		.amdhsa_user_sgpr_kernarg_segment_ptr 1
		.amdhsa_user_sgpr_dispatch_id 0
		.amdhsa_user_sgpr_flat_scratch_init 0
		.amdhsa_user_sgpr_kernarg_preload_length 0
		.amdhsa_user_sgpr_kernarg_preload_offset 0
		.amdhsa_user_sgpr_private_segment_size 0
		.amdhsa_uses_dynamic_stack 0
		.amdhsa_system_sgpr_private_segment_wavefront_offset 0
		.amdhsa_system_sgpr_workgroup_id_x 1
		.amdhsa_system_sgpr_workgroup_id_y 0
		.amdhsa_system_sgpr_workgroup_id_z 0
		.amdhsa_system_sgpr_workgroup_info 0
		.amdhsa_system_vgpr_workitem_id 2
		.amdhsa_next_free_vgpr 38
		.amdhsa_next_free_sgpr 28
		.amdhsa_accum_offset 40
		.amdhsa_reserve_vcc 1
		.amdhsa_reserve_flat_scratch 0
		.amdhsa_float_round_mode_32 0
		.amdhsa_float_round_mode_16_64 0
		.amdhsa_float_denorm_mode_32 3
		.amdhsa_float_denorm_mode_16_64 3
		.amdhsa_dx10_clamp 1
		.amdhsa_ieee_mode 1
		.amdhsa_fp16_overflow 0
		.amdhsa_tg_split 0
		.amdhsa_exception_fp_ieee_invalid_op 0
		.amdhsa_exception_fp_denorm_src 0
		.amdhsa_exception_fp_ieee_div_zero 0
		.amdhsa_exception_fp_ieee_overflow 0
		.amdhsa_exception_fp_ieee_underflow 0
		.amdhsa_exception_fp_ieee_inexact 0
		.amdhsa_exception_int_div_zero 0
	.end_amdhsa_kernel
	.section	.text._ZN9rocsparseL21csrmvn_general_kernelILj256ELj2Ell21rocsparse_complex_numIdES2_S2_S2_EEvbT2_NS_24const_host_device_scalarIT6_EEPKT1_S9_PKS3_PKT3_PKT4_S6_PT5_21rocsparse_index_base_b,"axG",@progbits,_ZN9rocsparseL21csrmvn_general_kernelILj256ELj2Ell21rocsparse_complex_numIdES2_S2_S2_EEvbT2_NS_24const_host_device_scalarIT6_EEPKT1_S9_PKS3_PKT3_PKT4_S6_PT5_21rocsparse_index_base_b,comdat
.Lfunc_end121:
	.size	_ZN9rocsparseL21csrmvn_general_kernelILj256ELj2Ell21rocsparse_complex_numIdES2_S2_S2_EEvbT2_NS_24const_host_device_scalarIT6_EEPKT1_S9_PKS3_PKT3_PKT4_S6_PT5_21rocsparse_index_base_b, .Lfunc_end121-_ZN9rocsparseL21csrmvn_general_kernelILj256ELj2Ell21rocsparse_complex_numIdES2_S2_S2_EEvbT2_NS_24const_host_device_scalarIT6_EEPKT1_S9_PKS3_PKT3_PKT4_S6_PT5_21rocsparse_index_base_b
                                        ; -- End function
	.section	.AMDGPU.csdata,"",@progbits
; Kernel info:
; codeLenInByte = 1104
; NumSgprs: 32
; NumVgprs: 38
; NumAgprs: 0
; TotalNumVgprs: 38
; ScratchSize: 0
; MemoryBound: 0
; FloatMode: 240
; IeeeMode: 1
; LDSByteSize: 4096 bytes/workgroup (compile time only)
; SGPRBlocks: 3
; VGPRBlocks: 4
; NumSGPRsForWavesPerEU: 32
; NumVGPRsForWavesPerEU: 38
; AccumOffset: 40
; Occupancy: 8
; WaveLimiterHint : 1
; COMPUTE_PGM_RSRC2:SCRATCH_EN: 0
; COMPUTE_PGM_RSRC2:USER_SGPR: 8
; COMPUTE_PGM_RSRC2:TRAP_HANDLER: 0
; COMPUTE_PGM_RSRC2:TGID_X_EN: 1
; COMPUTE_PGM_RSRC2:TGID_Y_EN: 0
; COMPUTE_PGM_RSRC2:TGID_Z_EN: 0
; COMPUTE_PGM_RSRC2:TIDIG_COMP_CNT: 2
; COMPUTE_PGM_RSRC3_GFX90A:ACCUM_OFFSET: 9
; COMPUTE_PGM_RSRC3_GFX90A:TG_SPLIT: 0
	.section	.text._ZN9rocsparseL21csrmvn_general_kernelILj256ELj4Ell21rocsparse_complex_numIdES2_S2_S2_EEvbT2_NS_24const_host_device_scalarIT6_EEPKT1_S9_PKS3_PKT3_PKT4_S6_PT5_21rocsparse_index_base_b,"axG",@progbits,_ZN9rocsparseL21csrmvn_general_kernelILj256ELj4Ell21rocsparse_complex_numIdES2_S2_S2_EEvbT2_NS_24const_host_device_scalarIT6_EEPKT1_S9_PKS3_PKT3_PKT4_S6_PT5_21rocsparse_index_base_b,comdat
	.globl	_ZN9rocsparseL21csrmvn_general_kernelILj256ELj4Ell21rocsparse_complex_numIdES2_S2_S2_EEvbT2_NS_24const_host_device_scalarIT6_EEPKT1_S9_PKS3_PKT3_PKT4_S6_PT5_21rocsparse_index_base_b ; -- Begin function _ZN9rocsparseL21csrmvn_general_kernelILj256ELj4Ell21rocsparse_complex_numIdES2_S2_S2_EEvbT2_NS_24const_host_device_scalarIT6_EEPKT1_S9_PKS3_PKT3_PKT4_S6_PT5_21rocsparse_index_base_b
	.p2align	8
	.type	_ZN9rocsparseL21csrmvn_general_kernelILj256ELj4Ell21rocsparse_complex_numIdES2_S2_S2_EEvbT2_NS_24const_host_device_scalarIT6_EEPKT1_S9_PKS3_PKT3_PKT4_S6_PT5_21rocsparse_index_base_b,@function
_ZN9rocsparseL21csrmvn_general_kernelILj256ELj4Ell21rocsparse_complex_numIdES2_S2_S2_EEvbT2_NS_24const_host_device_scalarIT6_EEPKT1_S9_PKS3_PKT3_PKT4_S6_PT5_21rocsparse_index_base_b: ; @_ZN9rocsparseL21csrmvn_general_kernelILj256ELj4Ell21rocsparse_complex_numIdES2_S2_S2_EEvbT2_NS_24const_host_device_scalarIT6_EEPKT1_S9_PKS3_PKT3_PKT4_S6_PT5_21rocsparse_index_base_b
; %bb.0:
	s_load_dwordx2 s[24:25], s[6:7], 0x60
	s_load_dwordx8 s[12:19], s[6:7], 0x8
	s_load_dwordx4 s[20:23], s[6:7], 0x48
	s_mov_b64 s[2:3], src_shared_base
	s_load_dwordx2 s[4:5], s[4:5], 0x4
	s_waitcnt lgkmcnt(0)
	s_bitcmp1_b32 s25, 0
	s_cselect_b64 s[0:1], -1, 0
	s_and_b64 vcc, s[0:1], exec
	s_cselect_b32 s2, s3, s15
	s_lshr_b32 s4, s4, 16
	v_and_b32_e32 v1, 0x3ff, v0
	s_mul_i32 s4, s4, s5
	v_mul_lo_u32 v2, s4, v1
	v_bfe_u32 v3, v0, 10, 10
	v_mad_u32_u24 v2, v3, s5, v2
	v_bfe_u32 v0, v0, 20, 10
	v_add_lshl_u32 v0, v2, v0, 3
	v_mov_b32_e32 v6, s14
	v_add_u32_e32 v7, 0x800, v0
	v_pk_mov_b32 v[2:3], s[14:15], s[14:15] op_sel:[0,1]
	v_pk_mov_b32 v[4:5], s[20:21], s[20:21] op_sel:[0,1]
	ds_write2st64_b64 v0, v[4:5], v[2:3] offset1:4
	v_cndmask_b32_e64 v2, v6, v7, s[0:1]
	v_mov_b32_e32 v3, s2
	flat_load_dwordx2 v[4:5], v[2:3]
	s_xor_b64 s[4:5], s[0:1], -1
	v_pk_mov_b32 v[6:7], s[16:17], s[16:17] op_sel:[0,1]
	s_cbranch_vccnz .LBB122_2
; %bb.1:
	v_pk_mov_b32 v[2:3], s[14:15], s[14:15] op_sel:[0,1]
	flat_load_dwordx2 v[6:7], v[2:3] offset:8
.LBB122_2:
	s_and_b64 s[10:11], s[0:1], exec
	s_cselect_b32 s2, s3, s21
	v_mov_b32_e32 v2, s20
	v_cndmask_b32_e64 v2, v2, v0, s[0:1]
	v_mov_b32_e32 v3, s2
	flat_load_dwordx2 v[8:9], v[2:3]
	s_andn2_b64 vcc, exec, s[4:5]
	v_pk_mov_b32 v[10:11], s[22:23], s[22:23] op_sel:[0,1]
	s_cbranch_vccnz .LBB122_4
; %bb.3:
	v_pk_mov_b32 v[2:3], s[20:21], s[20:21] op_sel:[0,1]
	flat_load_dwordx2 v[10:11], v[2:3] offset:8
.LBB122_4:
	s_waitcnt vmcnt(0) lgkmcnt(0)
	v_cmp_eq_f64_e32 vcc, 0, v[4:5]
	v_cmp_eq_f64_e64 s[0:1], 0, v[6:7]
	s_and_b64 s[4:5], vcc, s[0:1]
	s_mov_b64 s[0:1], -1
	s_and_saveexec_b64 s[2:3], s[4:5]
; %bb.5:
	v_cmp_neq_f64_e32 vcc, 1.0, v[8:9]
	v_cmp_neq_f64_e64 s[0:1], 0, v[10:11]
	s_or_b64 s[0:1], vcc, s[0:1]
	s_orn2_b64 s[0:1], s[0:1], exec
; %bb.6:
	s_or_b64 exec, exec, s[2:3]
	s_and_saveexec_b64 s[2:3], s[0:1]
	s_cbranch_execz .LBB122_18
; %bb.7:
	s_load_dwordx2 s[14:15], s[6:7], 0x28
	v_lshl_or_b32 v0, s8, 8, v1
	v_lshrrev_b32_e32 v12, 2, v0
	v_mov_b32_e32 v13, 0
	v_cmp_gt_i64_e32 vcc, s[12:13], v[12:13]
	s_and_b64 exec, exec, vcc
	s_cbranch_execz .LBB122_18
; %bb.8:
	s_load_dword s0, s[6:7], 0x68
	s_load_dwordx4 s[8:11], s[6:7], 0x30
	s_load_dword s1, s[6:7], 0x0
	s_load_dwordx2 s[16:17], s[6:7], 0x58
	s_load_dwordx2 s[2:3], s[6:7], 0x40
	s_waitcnt lgkmcnt(0)
	s_lshl_b32 s22, s0, 6
	v_and_b32_e32 v0, 3, v1
	s_bitcmp1_b32 s1, 0
	v_subrev_co_u32_e64 v22, s[0:1], s24, v0
	v_subb_co_u32_e64 v23, s[0:1], 0, 0, s[0:1]
	s_cselect_b64 vcc, -1, 0
	s_ashr_i32 s1, s24, 31
	s_mov_b32 s0, s24
	s_lshl_b64 s[0:1], s[0:1], 4
	s_sub_u32 s25, s2, s0
	s_subb_u32 s21, s3, s1
	v_cmp_neq_f64_e64 s[2:3], 0, v[8:9]
	v_cmp_neq_f64_e64 s[4:5], 0, v[10:11]
	s_or_b64 s[4:5], s[2:3], s[4:5]
	s_mov_b32 s23, 0
	s_add_u32 s26, s10, 8
	v_cmp_eq_u32_e64 s[0:1], 3, v0
	s_mov_b64 s[6:7], 0
	s_addc_u32 s27, s11, 0
	v_mov_b32_e32 v24, s19
	v_mov_b32_e32 v25, s15
	v_mov_b32_e32 v26, s23
	v_mov_b32_e32 v27, s21
	s_branch .LBB122_11
.LBB122_9:                              ;   in Loop: Header=BB122_11 Depth=1
	s_or_b64 exec, exec, s[2:3]
	global_store_dwordx4 v[14:15], v[0:3], off
.LBB122_10:                             ;   in Loop: Header=BB122_11 Depth=1
	s_or_b64 exec, exec, s[10:11]
	v_mov_b32_e32 v0, s23
	v_add_co_u32_e64 v12, s[2:3], s22, v12
	v_addc_co_u32_e64 v13, s[2:3], v13, v0, s[2:3]
	v_cmp_le_i64_e64 s[2:3], s[12:13], v[12:13]
	s_or_b64 s[6:7], s[2:3], s[6:7]
	s_andn2_b64 exec, exec, s[6:7]
	s_cbranch_execz .LBB122_18
.LBB122_11:                             ; =>This Loop Header: Depth=1
                                        ;     Child Loop BB122_13 Depth 2
	v_lshlrev_b64 v[0:1], 3, v[12:13]
	v_add_co_u32_e64 v2, s[2:3], s14, v0
	v_addc_co_u32_e64 v3, s[2:3], v25, v1, s[2:3]
	global_load_dwordx2 v[2:3], v[2:3], off
	v_add_co_u32_e64 v0, s[2:3], s18, v0
	v_addc_co_u32_e64 v1, s[2:3], v24, v1, s[2:3]
	global_load_dwordx2 v[14:15], v[0:1], off
	v_pk_mov_b32 v[0:1], 0, 0
	v_pk_mov_b32 v[16:17], v[0:1], v[0:1] op_sel:[0,1]
	s_waitcnt vmcnt(1)
	v_subrev_co_u32_e64 v2, s[2:3], s24, v2
	v_subb_co_u32_e64 v3, s[2:3], v3, v26, s[2:3]
	s_waitcnt vmcnt(0)
	v_add_co_u32_e64 v14, s[2:3], v14, v22
	v_addc_co_u32_e64 v15, s[2:3], v15, v23, s[2:3]
	v_cmp_lt_i64_e64 s[2:3], v[14:15], v[2:3]
	s_and_saveexec_b64 s[10:11], s[2:3]
	s_cbranch_execz .LBB122_15
; %bb.12:                               ;   in Loop: Header=BB122_11 Depth=1
	v_lshlrev_b64 v[0:1], 4, v[14:15]
	v_mov_b32_e32 v16, s27
	v_add_co_u32_e64 v18, s[2:3], s26, v0
	v_addc_co_u32_e64 v19, s[2:3], v16, v1, s[2:3]
	v_lshlrev_b64 v[0:1], 3, v[14:15]
	v_mov_b32_e32 v16, s9
	v_add_co_u32_e64 v20, s[2:3], s8, v0
	v_addc_co_u32_e64 v21, s[2:3], v16, v1, s[2:3]
	v_pk_mov_b32 v[0:1], 0, 0
	s_mov_b64 s[20:21], 0
	v_pk_mov_b32 v[16:17], v[0:1], v[0:1] op_sel:[0,1]
.LBB122_13:                             ;   Parent Loop BB122_11 Depth=1
                                        ; =>  This Inner Loop Header: Depth=2
	global_load_dwordx2 v[32:33], v[20:21], off
	global_load_dwordx4 v[28:31], v[18:19], off offset:-8
	s_waitcnt vmcnt(1)
	v_lshlrev_b64 v[32:33], 4, v[32:33]
	v_add_co_u32_e64 v32, s[2:3], s25, v32
	v_addc_co_u32_e64 v33, s[2:3], v27, v33, s[2:3]
	global_load_dwordx4 v[32:35], v[32:33], off
	v_add_co_u32_e64 v14, s[2:3], 4, v14
	v_addc_co_u32_e64 v15, s[2:3], 0, v15, s[2:3]
	v_add_co_u32_e64 v18, s[2:3], 64, v18
	s_waitcnt vmcnt(1)
	v_xor_b32_e32 v36, 0x80000000, v31
	v_addc_co_u32_e64 v19, s[2:3], 0, v19, s[2:3]
	v_cndmask_b32_e32 v31, v31, v36, vcc
	v_add_co_u32_e64 v20, s[2:3], 32, v20
	v_mul_f64 v[36:37], v[30:31], -v[6:7]
	v_mul_f64 v[30:31], v[4:5], v[30:31]
	v_addc_co_u32_e64 v21, s[2:3], 0, v21, s[2:3]
	v_fmac_f64_e32 v[36:37], v[4:5], v[28:29]
	v_fmac_f64_e32 v[30:31], v[6:7], v[28:29]
	v_cmp_ge_i64_e64 s[2:3], v[14:15], v[2:3]
	s_or_b64 s[20:21], s[2:3], s[20:21]
	s_waitcnt vmcnt(0)
	v_fmac_f64_e32 v[16:17], v[36:37], v[32:33]
	v_fmac_f64_e32 v[0:1], v[30:31], v[32:33]
	v_fma_f64 v[16:17], -v[30:31], v[34:35], v[16:17]
	v_fmac_f64_e32 v[0:1], v[36:37], v[34:35]
	s_andn2_b64 exec, exec, s[20:21]
	s_cbranch_execnz .LBB122_13
; %bb.14:                               ;   in Loop: Header=BB122_11 Depth=1
	s_or_b64 exec, exec, s[20:21]
.LBB122_15:                             ;   in Loop: Header=BB122_11 Depth=1
	s_or_b64 exec, exec, s[10:11]
	v_mov_b32_dpp v2, v16 row_shr:1 row_mask:0xf bank_mask:0xf
	v_mov_b32_dpp v3, v17 row_shr:1 row_mask:0xf bank_mask:0xf
	v_add_f64 v[2:3], v[16:17], v[2:3]
	v_mov_b32_dpp v16, v0 row_shr:1 row_mask:0xf bank_mask:0xf
	v_mov_b32_dpp v17, v1 row_shr:1 row_mask:0xf bank_mask:0xf
	v_add_f64 v[16:17], v[0:1], v[16:17]
	v_mov_b32_dpp v14, v2 row_shr:2 row_mask:0xf bank_mask:0xf
	v_mov_b32_dpp v15, v3 row_shr:2 row_mask:0xf bank_mask:0xf
	;; [unrolled: 1-line block ×4, first 2 shown]
	s_and_saveexec_b64 s[10:11], s[0:1]
	s_cbranch_execz .LBB122_10
; %bb.16:                               ;   in Loop: Header=BB122_11 Depth=1
	v_add_f64 v[0:1], v[2:3], v[14:15]
	v_lshlrev_b64 v[14:15], 4, v[12:13]
	v_add_f64 v[2:3], v[16:17], v[18:19]
	v_mov_b32_e32 v16, s17
	v_add_co_u32_e64 v14, s[2:3], s16, v14
	v_addc_co_u32_e64 v15, s[2:3], v16, v15, s[2:3]
	s_and_saveexec_b64 s[2:3], s[4:5]
	s_cbranch_execz .LBB122_9
; %bb.17:                               ;   in Loop: Header=BB122_11 Depth=1
	global_load_dwordx4 v[16:19], v[14:15], off
	s_waitcnt vmcnt(0)
	v_fmac_f64_e32 v[0:1], v[8:9], v[16:17]
	v_fmac_f64_e32 v[2:3], v[10:11], v[16:17]
	v_fma_f64 v[0:1], -v[10:11], v[18:19], v[0:1]
	v_fmac_f64_e32 v[2:3], v[8:9], v[18:19]
	s_branch .LBB122_9
.LBB122_18:
	s_endpgm
	.section	.rodata,"a",@progbits
	.p2align	6, 0x0
	.amdhsa_kernel _ZN9rocsparseL21csrmvn_general_kernelILj256ELj4Ell21rocsparse_complex_numIdES2_S2_S2_EEvbT2_NS_24const_host_device_scalarIT6_EEPKT1_S9_PKS3_PKT3_PKT4_S6_PT5_21rocsparse_index_base_b
		.amdhsa_group_segment_fixed_size 4096
		.amdhsa_private_segment_fixed_size 0
		.amdhsa_kernarg_size 360
		.amdhsa_user_sgpr_count 8
		.amdhsa_user_sgpr_private_segment_buffer 1
		.amdhsa_user_sgpr_dispatch_ptr 1
		.amdhsa_user_sgpr_queue_ptr 0
		.amdhsa_user_sgpr_kernarg_segment_ptr 1
		.amdhsa_user_sgpr_dispatch_id 0
		.amdhsa_user_sgpr_flat_scratch_init 0
		.amdhsa_user_sgpr_kernarg_preload_length 0
		.amdhsa_user_sgpr_kernarg_preload_offset 0
		.amdhsa_user_sgpr_private_segment_size 0
		.amdhsa_uses_dynamic_stack 0
		.amdhsa_system_sgpr_private_segment_wavefront_offset 0
		.amdhsa_system_sgpr_workgroup_id_x 1
		.amdhsa_system_sgpr_workgroup_id_y 0
		.amdhsa_system_sgpr_workgroup_id_z 0
		.amdhsa_system_sgpr_workgroup_info 0
		.amdhsa_system_vgpr_workitem_id 2
		.amdhsa_next_free_vgpr 38
		.amdhsa_next_free_sgpr 28
		.amdhsa_accum_offset 40
		.amdhsa_reserve_vcc 1
		.amdhsa_reserve_flat_scratch 0
		.amdhsa_float_round_mode_32 0
		.amdhsa_float_round_mode_16_64 0
		.amdhsa_float_denorm_mode_32 3
		.amdhsa_float_denorm_mode_16_64 3
		.amdhsa_dx10_clamp 1
		.amdhsa_ieee_mode 1
		.amdhsa_fp16_overflow 0
		.amdhsa_tg_split 0
		.amdhsa_exception_fp_ieee_invalid_op 0
		.amdhsa_exception_fp_denorm_src 0
		.amdhsa_exception_fp_ieee_div_zero 0
		.amdhsa_exception_fp_ieee_overflow 0
		.amdhsa_exception_fp_ieee_underflow 0
		.amdhsa_exception_fp_ieee_inexact 0
		.amdhsa_exception_int_div_zero 0
	.end_amdhsa_kernel
	.section	.text._ZN9rocsparseL21csrmvn_general_kernelILj256ELj4Ell21rocsparse_complex_numIdES2_S2_S2_EEvbT2_NS_24const_host_device_scalarIT6_EEPKT1_S9_PKS3_PKT3_PKT4_S6_PT5_21rocsparse_index_base_b,"axG",@progbits,_ZN9rocsparseL21csrmvn_general_kernelILj256ELj4Ell21rocsparse_complex_numIdES2_S2_S2_EEvbT2_NS_24const_host_device_scalarIT6_EEPKT1_S9_PKS3_PKT3_PKT4_S6_PT5_21rocsparse_index_base_b,comdat
.Lfunc_end122:
	.size	_ZN9rocsparseL21csrmvn_general_kernelILj256ELj4Ell21rocsparse_complex_numIdES2_S2_S2_EEvbT2_NS_24const_host_device_scalarIT6_EEPKT1_S9_PKS3_PKT3_PKT4_S6_PT5_21rocsparse_index_base_b, .Lfunc_end122-_ZN9rocsparseL21csrmvn_general_kernelILj256ELj4Ell21rocsparse_complex_numIdES2_S2_S2_EEvbT2_NS_24const_host_device_scalarIT6_EEPKT1_S9_PKS3_PKT3_PKT4_S6_PT5_21rocsparse_index_base_b
                                        ; -- End function
	.section	.AMDGPU.csdata,"",@progbits
; Kernel info:
; codeLenInByte = 1152
; NumSgprs: 32
; NumVgprs: 38
; NumAgprs: 0
; TotalNumVgprs: 38
; ScratchSize: 0
; MemoryBound: 0
; FloatMode: 240
; IeeeMode: 1
; LDSByteSize: 4096 bytes/workgroup (compile time only)
; SGPRBlocks: 3
; VGPRBlocks: 4
; NumSGPRsForWavesPerEU: 32
; NumVGPRsForWavesPerEU: 38
; AccumOffset: 40
; Occupancy: 8
; WaveLimiterHint : 1
; COMPUTE_PGM_RSRC2:SCRATCH_EN: 0
; COMPUTE_PGM_RSRC2:USER_SGPR: 8
; COMPUTE_PGM_RSRC2:TRAP_HANDLER: 0
; COMPUTE_PGM_RSRC2:TGID_X_EN: 1
; COMPUTE_PGM_RSRC2:TGID_Y_EN: 0
; COMPUTE_PGM_RSRC2:TGID_Z_EN: 0
; COMPUTE_PGM_RSRC2:TIDIG_COMP_CNT: 2
; COMPUTE_PGM_RSRC3_GFX90A:ACCUM_OFFSET: 9
; COMPUTE_PGM_RSRC3_GFX90A:TG_SPLIT: 0
	.section	.text._ZN9rocsparseL21csrmvn_general_kernelILj256ELj8Ell21rocsparse_complex_numIdES2_S2_S2_EEvbT2_NS_24const_host_device_scalarIT6_EEPKT1_S9_PKS3_PKT3_PKT4_S6_PT5_21rocsparse_index_base_b,"axG",@progbits,_ZN9rocsparseL21csrmvn_general_kernelILj256ELj8Ell21rocsparse_complex_numIdES2_S2_S2_EEvbT2_NS_24const_host_device_scalarIT6_EEPKT1_S9_PKS3_PKT3_PKT4_S6_PT5_21rocsparse_index_base_b,comdat
	.globl	_ZN9rocsparseL21csrmvn_general_kernelILj256ELj8Ell21rocsparse_complex_numIdES2_S2_S2_EEvbT2_NS_24const_host_device_scalarIT6_EEPKT1_S9_PKS3_PKT3_PKT4_S6_PT5_21rocsparse_index_base_b ; -- Begin function _ZN9rocsparseL21csrmvn_general_kernelILj256ELj8Ell21rocsparse_complex_numIdES2_S2_S2_EEvbT2_NS_24const_host_device_scalarIT6_EEPKT1_S9_PKS3_PKT3_PKT4_S6_PT5_21rocsparse_index_base_b
	.p2align	8
	.type	_ZN9rocsparseL21csrmvn_general_kernelILj256ELj8Ell21rocsparse_complex_numIdES2_S2_S2_EEvbT2_NS_24const_host_device_scalarIT6_EEPKT1_S9_PKS3_PKT3_PKT4_S6_PT5_21rocsparse_index_base_b,@function
_ZN9rocsparseL21csrmvn_general_kernelILj256ELj8Ell21rocsparse_complex_numIdES2_S2_S2_EEvbT2_NS_24const_host_device_scalarIT6_EEPKT1_S9_PKS3_PKT3_PKT4_S6_PT5_21rocsparse_index_base_b: ; @_ZN9rocsparseL21csrmvn_general_kernelILj256ELj8Ell21rocsparse_complex_numIdES2_S2_S2_EEvbT2_NS_24const_host_device_scalarIT6_EEPKT1_S9_PKS3_PKT3_PKT4_S6_PT5_21rocsparse_index_base_b
; %bb.0:
	s_load_dwordx2 s[24:25], s[6:7], 0x60
	s_load_dwordx8 s[12:19], s[6:7], 0x8
	s_load_dwordx4 s[20:23], s[6:7], 0x48
	s_mov_b64 s[2:3], src_shared_base
	s_load_dwordx2 s[4:5], s[4:5], 0x4
	s_waitcnt lgkmcnt(0)
	s_bitcmp1_b32 s25, 0
	s_cselect_b64 s[0:1], -1, 0
	s_and_b64 vcc, s[0:1], exec
	s_cselect_b32 s2, s3, s15
	s_lshr_b32 s4, s4, 16
	v_and_b32_e32 v1, 0x3ff, v0
	s_mul_i32 s4, s4, s5
	v_mul_lo_u32 v2, s4, v1
	v_bfe_u32 v3, v0, 10, 10
	v_mad_u32_u24 v2, v3, s5, v2
	v_bfe_u32 v0, v0, 20, 10
	v_add_lshl_u32 v0, v2, v0, 3
	v_mov_b32_e32 v6, s14
	v_add_u32_e32 v7, 0x800, v0
	v_pk_mov_b32 v[2:3], s[14:15], s[14:15] op_sel:[0,1]
	v_pk_mov_b32 v[4:5], s[20:21], s[20:21] op_sel:[0,1]
	ds_write2st64_b64 v0, v[4:5], v[2:3] offset1:4
	v_cndmask_b32_e64 v2, v6, v7, s[0:1]
	v_mov_b32_e32 v3, s2
	flat_load_dwordx2 v[4:5], v[2:3]
	s_xor_b64 s[4:5], s[0:1], -1
	v_pk_mov_b32 v[6:7], s[16:17], s[16:17] op_sel:[0,1]
	s_cbranch_vccnz .LBB123_2
; %bb.1:
	v_pk_mov_b32 v[2:3], s[14:15], s[14:15] op_sel:[0,1]
	flat_load_dwordx2 v[6:7], v[2:3] offset:8
.LBB123_2:
	s_and_b64 s[10:11], s[0:1], exec
	s_cselect_b32 s2, s3, s21
	v_mov_b32_e32 v2, s20
	v_cndmask_b32_e64 v2, v2, v0, s[0:1]
	v_mov_b32_e32 v3, s2
	flat_load_dwordx2 v[8:9], v[2:3]
	s_andn2_b64 vcc, exec, s[4:5]
	v_pk_mov_b32 v[10:11], s[22:23], s[22:23] op_sel:[0,1]
	s_cbranch_vccnz .LBB123_4
; %bb.3:
	v_pk_mov_b32 v[2:3], s[20:21], s[20:21] op_sel:[0,1]
	flat_load_dwordx2 v[10:11], v[2:3] offset:8
.LBB123_4:
	s_waitcnt vmcnt(0) lgkmcnt(0)
	v_cmp_eq_f64_e32 vcc, 0, v[4:5]
	v_cmp_eq_f64_e64 s[0:1], 0, v[6:7]
	s_and_b64 s[4:5], vcc, s[0:1]
	s_mov_b64 s[0:1], -1
	s_and_saveexec_b64 s[2:3], s[4:5]
; %bb.5:
	v_cmp_neq_f64_e32 vcc, 1.0, v[8:9]
	v_cmp_neq_f64_e64 s[0:1], 0, v[10:11]
	s_or_b64 s[0:1], vcc, s[0:1]
	s_orn2_b64 s[0:1], s[0:1], exec
; %bb.6:
	s_or_b64 exec, exec, s[2:3]
	s_and_saveexec_b64 s[2:3], s[0:1]
	s_cbranch_execz .LBB123_18
; %bb.7:
	s_load_dwordx2 s[14:15], s[6:7], 0x28
	v_lshl_or_b32 v0, s8, 8, v1
	v_lshrrev_b32_e32 v12, 3, v0
	v_mov_b32_e32 v13, 0
	v_cmp_gt_i64_e32 vcc, s[12:13], v[12:13]
	s_and_b64 exec, exec, vcc
	s_cbranch_execz .LBB123_18
; %bb.8:
	s_load_dword s0, s[6:7], 0x68
	s_load_dwordx4 s[8:11], s[6:7], 0x30
	s_load_dword s1, s[6:7], 0x0
	s_load_dwordx2 s[16:17], s[6:7], 0x58
	s_load_dwordx2 s[2:3], s[6:7], 0x40
	v_and_b32_e32 v0, 7, v1
	s_waitcnt lgkmcnt(0)
	s_lshl_b32 s25, s0, 5
	v_subrev_co_u32_e32 v22, vcc, s24, v0
	s_bitcmp1_b32 s1, 0
	v_subb_co_u32_e64 v23, s[4:5], 0, 0, vcc
	s_cselect_b64 s[0:1], -1, 0
	s_ashr_i32 s5, s24, 31
	s_mov_b32 s4, s24
	s_lshl_b64 s[4:5], s[4:5], 4
	s_sub_u32 s27, s2, s4
	s_subb_u32 s23, s3, s5
	v_cmp_neq_f64_e32 vcc, 0, v[8:9]
	v_cmp_neq_f64_e64 s[4:5], 0, v[10:11]
	s_or_b64 s[20:21], vcc, s[4:5]
	s_mov_b32 s26, 0
	s_add_u32 s28, s10, 8
	v_cmp_eq_u32_e64 s[2:3], 7, v0
	s_mov_b64 s[6:7], 0
	s_addc_u32 s29, s11, 0
	v_mov_b32_e32 v24, s19
	v_mov_b32_e32 v25, s15
	;; [unrolled: 1-line block ×4, first 2 shown]
	s_branch .LBB123_11
.LBB123_9:                              ;   in Loop: Header=BB123_11 Depth=1
	s_or_b64 exec, exec, s[10:11]
	global_store_dwordx4 v[14:15], v[0:3], off
.LBB123_10:                             ;   in Loop: Header=BB123_11 Depth=1
	s_or_b64 exec, exec, s[4:5]
	v_mov_b32_e32 v0, s26
	v_add_co_u32_e32 v12, vcc, s25, v12
	v_addc_co_u32_e32 v13, vcc, v13, v0, vcc
	v_cmp_le_i64_e32 vcc, s[12:13], v[12:13]
	s_or_b64 s[6:7], vcc, s[6:7]
	s_andn2_b64 exec, exec, s[6:7]
	s_cbranch_execz .LBB123_18
.LBB123_11:                             ; =>This Loop Header: Depth=1
                                        ;     Child Loop BB123_13 Depth 2
	v_lshlrev_b64 v[0:1], 3, v[12:13]
	v_add_co_u32_e32 v2, vcc, s14, v0
	v_addc_co_u32_e32 v3, vcc, v25, v1, vcc
	global_load_dwordx2 v[2:3], v[2:3], off
	v_add_co_u32_e32 v0, vcc, s18, v0
	v_addc_co_u32_e32 v1, vcc, v24, v1, vcc
	global_load_dwordx2 v[14:15], v[0:1], off
	v_pk_mov_b32 v[0:1], 0, 0
	v_pk_mov_b32 v[16:17], v[0:1], v[0:1] op_sel:[0,1]
	s_waitcnt vmcnt(1)
	v_subrev_co_u32_e32 v2, vcc, s24, v2
	v_subb_co_u32_e32 v3, vcc, v3, v26, vcc
	s_waitcnt vmcnt(0)
	v_add_co_u32_e32 v14, vcc, v14, v22
	v_addc_co_u32_e32 v15, vcc, v15, v23, vcc
	v_cmp_lt_i64_e32 vcc, v[14:15], v[2:3]
	s_and_saveexec_b64 s[10:11], vcc
	s_cbranch_execz .LBB123_15
; %bb.12:                               ;   in Loop: Header=BB123_11 Depth=1
	v_lshlrev_b64 v[0:1], 4, v[14:15]
	v_mov_b32_e32 v16, s29
	v_add_co_u32_e32 v18, vcc, s28, v0
	v_addc_co_u32_e32 v19, vcc, v16, v1, vcc
	v_lshlrev_b64 v[0:1], 3, v[14:15]
	v_mov_b32_e32 v16, s9
	v_add_co_u32_e32 v20, vcc, s8, v0
	v_addc_co_u32_e32 v21, vcc, v16, v1, vcc
	v_pk_mov_b32 v[0:1], 0, 0
	s_mov_b64 s[22:23], 0
	v_pk_mov_b32 v[16:17], v[0:1], v[0:1] op_sel:[0,1]
.LBB123_13:                             ;   Parent Loop BB123_11 Depth=1
                                        ; =>  This Inner Loop Header: Depth=2
	global_load_dwordx2 v[32:33], v[20:21], off
	global_load_dwordx4 v[28:31], v[18:19], off offset:-8
	v_add_co_u32_e64 v20, s[4:5], 64, v20
	v_addc_co_u32_e64 v21, s[4:5], 0, v21, s[4:5]
	s_waitcnt vmcnt(1)
	v_lshlrev_b64 v[32:33], 4, v[32:33]
	v_add_co_u32_e32 v32, vcc, s27, v32
	v_addc_co_u32_e32 v33, vcc, v27, v33, vcc
	global_load_dwordx4 v[32:35], v[32:33], off
	v_add_co_u32_e32 v14, vcc, 8, v14
	s_waitcnt vmcnt(1)
	v_xor_b32_e32 v36, 0x80000000, v31
	v_addc_co_u32_e32 v15, vcc, 0, v15, vcc
	v_cndmask_b32_e64 v31, v31, v36, s[0:1]
	v_add_co_u32_e32 v18, vcc, 0x80, v18
	v_mul_f64 v[36:37], v[30:31], -v[6:7]
	v_mul_f64 v[30:31], v[4:5], v[30:31]
	v_addc_co_u32_e32 v19, vcc, 0, v19, vcc
	v_fmac_f64_e32 v[36:37], v[4:5], v[28:29]
	v_fmac_f64_e32 v[30:31], v[6:7], v[28:29]
	v_cmp_ge_i64_e32 vcc, v[14:15], v[2:3]
	s_or_b64 s[22:23], vcc, s[22:23]
	s_waitcnt vmcnt(0)
	v_fmac_f64_e32 v[16:17], v[36:37], v[32:33]
	v_fmac_f64_e32 v[0:1], v[30:31], v[32:33]
	v_fma_f64 v[16:17], -v[30:31], v[34:35], v[16:17]
	v_fmac_f64_e32 v[0:1], v[36:37], v[34:35]
	s_andn2_b64 exec, exec, s[22:23]
	s_cbranch_execnz .LBB123_13
; %bb.14:                               ;   in Loop: Header=BB123_11 Depth=1
	s_or_b64 exec, exec, s[22:23]
.LBB123_15:                             ;   in Loop: Header=BB123_11 Depth=1
	s_or_b64 exec, exec, s[10:11]
	v_mov_b32_dpp v2, v16 row_shr:1 row_mask:0xf bank_mask:0xf
	v_mov_b32_dpp v3, v17 row_shr:1 row_mask:0xf bank_mask:0xf
	v_add_f64 v[2:3], v[16:17], v[2:3]
	v_mov_b32_dpp v16, v0 row_shr:1 row_mask:0xf bank_mask:0xf
	v_mov_b32_dpp v17, v1 row_shr:1 row_mask:0xf bank_mask:0xf
	v_add_f64 v[0:1], v[0:1], v[16:17]
	v_mov_b32_dpp v14, v2 row_shr:2 row_mask:0xf bank_mask:0xf
	v_mov_b32_dpp v15, v3 row_shr:2 row_mask:0xf bank_mask:0xf
	;; [unrolled: 1-line block ×4, first 2 shown]
	v_add_f64 v[2:3], v[2:3], v[14:15]
	v_add_f64 v[16:17], v[0:1], v[16:17]
	s_nop 0
	v_mov_b32_dpp v14, v2 row_shr:4 row_mask:0xf bank_mask:0xe
	v_mov_b32_dpp v15, v3 row_shr:4 row_mask:0xf bank_mask:0xe
	;; [unrolled: 1-line block ×4, first 2 shown]
	s_and_saveexec_b64 s[4:5], s[2:3]
	s_cbranch_execz .LBB123_10
; %bb.16:                               ;   in Loop: Header=BB123_11 Depth=1
	v_add_f64 v[0:1], v[2:3], v[14:15]
	v_lshlrev_b64 v[14:15], 4, v[12:13]
	v_add_f64 v[2:3], v[16:17], v[18:19]
	v_mov_b32_e32 v16, s17
	v_add_co_u32_e32 v14, vcc, s16, v14
	v_addc_co_u32_e32 v15, vcc, v16, v15, vcc
	s_and_saveexec_b64 s[10:11], s[20:21]
	s_cbranch_execz .LBB123_9
; %bb.17:                               ;   in Loop: Header=BB123_11 Depth=1
	global_load_dwordx4 v[16:19], v[14:15], off
	s_waitcnt vmcnt(0)
	v_fmac_f64_e32 v[0:1], v[8:9], v[16:17]
	v_fmac_f64_e32 v[2:3], v[10:11], v[16:17]
	v_fma_f64 v[0:1], -v[10:11], v[18:19], v[0:1]
	v_fmac_f64_e32 v[2:3], v[8:9], v[18:19]
	s_branch .LBB123_9
.LBB123_18:
	s_endpgm
	.section	.rodata,"a",@progbits
	.p2align	6, 0x0
	.amdhsa_kernel _ZN9rocsparseL21csrmvn_general_kernelILj256ELj8Ell21rocsparse_complex_numIdES2_S2_S2_EEvbT2_NS_24const_host_device_scalarIT6_EEPKT1_S9_PKS3_PKT3_PKT4_S6_PT5_21rocsparse_index_base_b
		.amdhsa_group_segment_fixed_size 4096
		.amdhsa_private_segment_fixed_size 0
		.amdhsa_kernarg_size 360
		.amdhsa_user_sgpr_count 8
		.amdhsa_user_sgpr_private_segment_buffer 1
		.amdhsa_user_sgpr_dispatch_ptr 1
		.amdhsa_user_sgpr_queue_ptr 0
		.amdhsa_user_sgpr_kernarg_segment_ptr 1
		.amdhsa_user_sgpr_dispatch_id 0
		.amdhsa_user_sgpr_flat_scratch_init 0
		.amdhsa_user_sgpr_kernarg_preload_length 0
		.amdhsa_user_sgpr_kernarg_preload_offset 0
		.amdhsa_user_sgpr_private_segment_size 0
		.amdhsa_uses_dynamic_stack 0
		.amdhsa_system_sgpr_private_segment_wavefront_offset 0
		.amdhsa_system_sgpr_workgroup_id_x 1
		.amdhsa_system_sgpr_workgroup_id_y 0
		.amdhsa_system_sgpr_workgroup_id_z 0
		.amdhsa_system_sgpr_workgroup_info 0
		.amdhsa_system_vgpr_workitem_id 2
		.amdhsa_next_free_vgpr 38
		.amdhsa_next_free_sgpr 30
		.amdhsa_accum_offset 40
		.amdhsa_reserve_vcc 1
		.amdhsa_reserve_flat_scratch 0
		.amdhsa_float_round_mode_32 0
		.amdhsa_float_round_mode_16_64 0
		.amdhsa_float_denorm_mode_32 3
		.amdhsa_float_denorm_mode_16_64 3
		.amdhsa_dx10_clamp 1
		.amdhsa_ieee_mode 1
		.amdhsa_fp16_overflow 0
		.amdhsa_tg_split 0
		.amdhsa_exception_fp_ieee_invalid_op 0
		.amdhsa_exception_fp_denorm_src 0
		.amdhsa_exception_fp_ieee_div_zero 0
		.amdhsa_exception_fp_ieee_overflow 0
		.amdhsa_exception_fp_ieee_underflow 0
		.amdhsa_exception_fp_ieee_inexact 0
		.amdhsa_exception_int_div_zero 0
	.end_amdhsa_kernel
	.section	.text._ZN9rocsparseL21csrmvn_general_kernelILj256ELj8Ell21rocsparse_complex_numIdES2_S2_S2_EEvbT2_NS_24const_host_device_scalarIT6_EEPKT1_S9_PKS3_PKT3_PKT4_S6_PT5_21rocsparse_index_base_b,"axG",@progbits,_ZN9rocsparseL21csrmvn_general_kernelILj256ELj8Ell21rocsparse_complex_numIdES2_S2_S2_EEvbT2_NS_24const_host_device_scalarIT6_EEPKT1_S9_PKS3_PKT3_PKT4_S6_PT5_21rocsparse_index_base_b,comdat
.Lfunc_end123:
	.size	_ZN9rocsparseL21csrmvn_general_kernelILj256ELj8Ell21rocsparse_complex_numIdES2_S2_S2_EEvbT2_NS_24const_host_device_scalarIT6_EEPKT1_S9_PKS3_PKT3_PKT4_S6_PT5_21rocsparse_index_base_b, .Lfunc_end123-_ZN9rocsparseL21csrmvn_general_kernelILj256ELj8Ell21rocsparse_complex_numIdES2_S2_S2_EEvbT2_NS_24const_host_device_scalarIT6_EEPKT1_S9_PKS3_PKT3_PKT4_S6_PT5_21rocsparse_index_base_b
                                        ; -- End function
	.section	.AMDGPU.csdata,"",@progbits
; Kernel info:
; codeLenInByte = 1104
; NumSgprs: 34
; NumVgprs: 38
; NumAgprs: 0
; TotalNumVgprs: 38
; ScratchSize: 0
; MemoryBound: 0
; FloatMode: 240
; IeeeMode: 1
; LDSByteSize: 4096 bytes/workgroup (compile time only)
; SGPRBlocks: 4
; VGPRBlocks: 4
; NumSGPRsForWavesPerEU: 34
; NumVGPRsForWavesPerEU: 38
; AccumOffset: 40
; Occupancy: 8
; WaveLimiterHint : 1
; COMPUTE_PGM_RSRC2:SCRATCH_EN: 0
; COMPUTE_PGM_RSRC2:USER_SGPR: 8
; COMPUTE_PGM_RSRC2:TRAP_HANDLER: 0
; COMPUTE_PGM_RSRC2:TGID_X_EN: 1
; COMPUTE_PGM_RSRC2:TGID_Y_EN: 0
; COMPUTE_PGM_RSRC2:TGID_Z_EN: 0
; COMPUTE_PGM_RSRC2:TIDIG_COMP_CNT: 2
; COMPUTE_PGM_RSRC3_GFX90A:ACCUM_OFFSET: 9
; COMPUTE_PGM_RSRC3_GFX90A:TG_SPLIT: 0
	.section	.text._ZN9rocsparseL21csrmvn_general_kernelILj256ELj16Ell21rocsparse_complex_numIdES2_S2_S2_EEvbT2_NS_24const_host_device_scalarIT6_EEPKT1_S9_PKS3_PKT3_PKT4_S6_PT5_21rocsparse_index_base_b,"axG",@progbits,_ZN9rocsparseL21csrmvn_general_kernelILj256ELj16Ell21rocsparse_complex_numIdES2_S2_S2_EEvbT2_NS_24const_host_device_scalarIT6_EEPKT1_S9_PKS3_PKT3_PKT4_S6_PT5_21rocsparse_index_base_b,comdat
	.globl	_ZN9rocsparseL21csrmvn_general_kernelILj256ELj16Ell21rocsparse_complex_numIdES2_S2_S2_EEvbT2_NS_24const_host_device_scalarIT6_EEPKT1_S9_PKS3_PKT3_PKT4_S6_PT5_21rocsparse_index_base_b ; -- Begin function _ZN9rocsparseL21csrmvn_general_kernelILj256ELj16Ell21rocsparse_complex_numIdES2_S2_S2_EEvbT2_NS_24const_host_device_scalarIT6_EEPKT1_S9_PKS3_PKT3_PKT4_S6_PT5_21rocsparse_index_base_b
	.p2align	8
	.type	_ZN9rocsparseL21csrmvn_general_kernelILj256ELj16Ell21rocsparse_complex_numIdES2_S2_S2_EEvbT2_NS_24const_host_device_scalarIT6_EEPKT1_S9_PKS3_PKT3_PKT4_S6_PT5_21rocsparse_index_base_b,@function
_ZN9rocsparseL21csrmvn_general_kernelILj256ELj16Ell21rocsparse_complex_numIdES2_S2_S2_EEvbT2_NS_24const_host_device_scalarIT6_EEPKT1_S9_PKS3_PKT3_PKT4_S6_PT5_21rocsparse_index_base_b: ; @_ZN9rocsparseL21csrmvn_general_kernelILj256ELj16Ell21rocsparse_complex_numIdES2_S2_S2_EEvbT2_NS_24const_host_device_scalarIT6_EEPKT1_S9_PKS3_PKT3_PKT4_S6_PT5_21rocsparse_index_base_b
; %bb.0:
	s_load_dwordx2 s[24:25], s[6:7], 0x60
	s_load_dwordx8 s[12:19], s[6:7], 0x8
	s_load_dwordx4 s[20:23], s[6:7], 0x48
	s_mov_b64 s[2:3], src_shared_base
	s_load_dwordx2 s[4:5], s[4:5], 0x4
	s_waitcnt lgkmcnt(0)
	s_bitcmp1_b32 s25, 0
	s_cselect_b64 s[0:1], -1, 0
	s_and_b64 vcc, s[0:1], exec
	s_cselect_b32 s2, s3, s15
	s_lshr_b32 s4, s4, 16
	v_and_b32_e32 v1, 0x3ff, v0
	s_mul_i32 s4, s4, s5
	v_mul_lo_u32 v2, s4, v1
	v_bfe_u32 v3, v0, 10, 10
	v_mad_u32_u24 v2, v3, s5, v2
	v_bfe_u32 v0, v0, 20, 10
	v_add_lshl_u32 v0, v2, v0, 3
	v_mov_b32_e32 v6, s14
	v_add_u32_e32 v7, 0x800, v0
	v_pk_mov_b32 v[2:3], s[14:15], s[14:15] op_sel:[0,1]
	v_pk_mov_b32 v[4:5], s[20:21], s[20:21] op_sel:[0,1]
	ds_write2st64_b64 v0, v[4:5], v[2:3] offset1:4
	v_cndmask_b32_e64 v2, v6, v7, s[0:1]
	v_mov_b32_e32 v3, s2
	flat_load_dwordx2 v[4:5], v[2:3]
	s_xor_b64 s[4:5], s[0:1], -1
	v_pk_mov_b32 v[6:7], s[16:17], s[16:17] op_sel:[0,1]
	s_cbranch_vccnz .LBB124_2
; %bb.1:
	v_pk_mov_b32 v[2:3], s[14:15], s[14:15] op_sel:[0,1]
	flat_load_dwordx2 v[6:7], v[2:3] offset:8
.LBB124_2:
	s_and_b64 s[10:11], s[0:1], exec
	s_cselect_b32 s2, s3, s21
	v_mov_b32_e32 v2, s20
	v_cndmask_b32_e64 v2, v2, v0, s[0:1]
	v_mov_b32_e32 v3, s2
	flat_load_dwordx2 v[8:9], v[2:3]
	s_andn2_b64 vcc, exec, s[4:5]
	v_pk_mov_b32 v[10:11], s[22:23], s[22:23] op_sel:[0,1]
	s_cbranch_vccnz .LBB124_4
; %bb.3:
	v_pk_mov_b32 v[2:3], s[20:21], s[20:21] op_sel:[0,1]
	flat_load_dwordx2 v[10:11], v[2:3] offset:8
.LBB124_4:
	s_waitcnt vmcnt(0) lgkmcnt(0)
	v_cmp_eq_f64_e32 vcc, 0, v[4:5]
	v_cmp_eq_f64_e64 s[0:1], 0, v[6:7]
	s_and_b64 s[4:5], vcc, s[0:1]
	s_mov_b64 s[0:1], -1
	s_and_saveexec_b64 s[2:3], s[4:5]
; %bb.5:
	v_cmp_neq_f64_e32 vcc, 1.0, v[8:9]
	v_cmp_neq_f64_e64 s[0:1], 0, v[10:11]
	s_or_b64 s[0:1], vcc, s[0:1]
	s_orn2_b64 s[0:1], s[0:1], exec
; %bb.6:
	s_or_b64 exec, exec, s[2:3]
	s_and_saveexec_b64 s[2:3], s[0:1]
	s_cbranch_execz .LBB124_18
; %bb.7:
	s_load_dwordx2 s[14:15], s[6:7], 0x28
	v_lshl_or_b32 v0, s8, 8, v1
	v_lshrrev_b32_e32 v12, 4, v0
	v_mov_b32_e32 v13, 0
	v_cmp_gt_i64_e32 vcc, s[12:13], v[12:13]
	s_and_b64 exec, exec, vcc
	s_cbranch_execz .LBB124_18
; %bb.8:
	s_load_dword s0, s[6:7], 0x68
	s_load_dwordx4 s[8:11], s[6:7], 0x30
	s_load_dword s1, s[6:7], 0x0
	s_load_dwordx2 s[16:17], s[6:7], 0x58
	s_load_dwordx2 s[2:3], s[6:7], 0x40
	v_and_b32_e32 v0, 15, v1
	s_waitcnt lgkmcnt(0)
	s_lshl_b32 s25, s0, 4
	v_subrev_co_u32_e32 v22, vcc, s24, v0
	s_bitcmp1_b32 s1, 0
	v_subb_co_u32_e64 v23, s[4:5], 0, 0, vcc
	s_cselect_b64 s[0:1], -1, 0
	s_ashr_i32 s5, s24, 31
	s_mov_b32 s4, s24
	s_lshl_b64 s[4:5], s[4:5], 4
	s_sub_u32 s27, s2, s4
	s_subb_u32 s23, s3, s5
	v_cmp_neq_f64_e32 vcc, 0, v[8:9]
	v_cmp_neq_f64_e64 s[4:5], 0, v[10:11]
	s_or_b64 s[20:21], vcc, s[4:5]
	s_mov_b32 s26, 0
	s_add_u32 s28, s10, 8
	v_cmp_eq_u32_e64 s[2:3], 15, v0
	s_mov_b64 s[6:7], 0
	s_addc_u32 s29, s11, 0
	v_mov_b32_e32 v24, s19
	v_mov_b32_e32 v25, s15
	;; [unrolled: 1-line block ×4, first 2 shown]
	s_branch .LBB124_11
.LBB124_9:                              ;   in Loop: Header=BB124_11 Depth=1
	s_or_b64 exec, exec, s[10:11]
	global_store_dwordx4 v[14:15], v[0:3], off
.LBB124_10:                             ;   in Loop: Header=BB124_11 Depth=1
	s_or_b64 exec, exec, s[4:5]
	v_mov_b32_e32 v0, s26
	v_add_co_u32_e32 v12, vcc, s25, v12
	v_addc_co_u32_e32 v13, vcc, v13, v0, vcc
	v_cmp_le_i64_e32 vcc, s[12:13], v[12:13]
	s_or_b64 s[6:7], vcc, s[6:7]
	s_andn2_b64 exec, exec, s[6:7]
	s_cbranch_execz .LBB124_18
.LBB124_11:                             ; =>This Loop Header: Depth=1
                                        ;     Child Loop BB124_13 Depth 2
	v_lshlrev_b64 v[0:1], 3, v[12:13]
	v_add_co_u32_e32 v2, vcc, s14, v0
	v_addc_co_u32_e32 v3, vcc, v25, v1, vcc
	global_load_dwordx2 v[2:3], v[2:3], off
	v_add_co_u32_e32 v0, vcc, s18, v0
	v_addc_co_u32_e32 v1, vcc, v24, v1, vcc
	global_load_dwordx2 v[14:15], v[0:1], off
	v_pk_mov_b32 v[0:1], 0, 0
	v_pk_mov_b32 v[16:17], v[0:1], v[0:1] op_sel:[0,1]
	s_waitcnt vmcnt(1)
	v_subrev_co_u32_e32 v2, vcc, s24, v2
	v_subb_co_u32_e32 v3, vcc, v3, v26, vcc
	s_waitcnt vmcnt(0)
	v_add_co_u32_e32 v14, vcc, v14, v22
	v_addc_co_u32_e32 v15, vcc, v15, v23, vcc
	v_cmp_lt_i64_e32 vcc, v[14:15], v[2:3]
	s_and_saveexec_b64 s[10:11], vcc
	s_cbranch_execz .LBB124_15
; %bb.12:                               ;   in Loop: Header=BB124_11 Depth=1
	v_lshlrev_b64 v[0:1], 4, v[14:15]
	v_mov_b32_e32 v16, s29
	v_add_co_u32_e32 v18, vcc, s28, v0
	v_addc_co_u32_e32 v19, vcc, v16, v1, vcc
	v_lshlrev_b64 v[0:1], 3, v[14:15]
	v_mov_b32_e32 v16, s9
	v_add_co_u32_e32 v20, vcc, s8, v0
	v_addc_co_u32_e32 v21, vcc, v16, v1, vcc
	v_pk_mov_b32 v[0:1], 0, 0
	s_mov_b64 s[22:23], 0
	v_pk_mov_b32 v[16:17], v[0:1], v[0:1] op_sel:[0,1]
.LBB124_13:                             ;   Parent Loop BB124_11 Depth=1
                                        ; =>  This Inner Loop Header: Depth=2
	global_load_dwordx2 v[32:33], v[20:21], off
	global_load_dwordx4 v[28:31], v[18:19], off offset:-8
	s_waitcnt vmcnt(1)
	v_lshlrev_b64 v[32:33], 4, v[32:33]
	v_add_co_u32_e32 v32, vcc, s27, v32
	v_addc_co_u32_e32 v33, vcc, v27, v33, vcc
	global_load_dwordx4 v[32:35], v[32:33], off
	v_add_co_u32_e32 v14, vcc, 16, v14
	s_waitcnt vmcnt(1)
	v_xor_b32_e32 v36, 0x80000000, v31
	v_addc_co_u32_e32 v15, vcc, 0, v15, vcc
	v_cndmask_b32_e64 v31, v31, v36, s[0:1]
	v_add_co_u32_e32 v18, vcc, 0x100, v18
	v_mul_f64 v[36:37], v[30:31], -v[6:7]
	v_mul_f64 v[30:31], v[4:5], v[30:31]
	v_addc_co_u32_e32 v19, vcc, 0, v19, vcc
	v_fmac_f64_e32 v[36:37], v[4:5], v[28:29]
	v_fmac_f64_e32 v[30:31], v[6:7], v[28:29]
	v_add_co_u32_e32 v20, vcc, 0x80, v20
	v_cmp_ge_i64_e64 s[4:5], v[14:15], v[2:3]
	v_addc_co_u32_e32 v21, vcc, 0, v21, vcc
	s_or_b64 s[22:23], s[4:5], s[22:23]
	s_waitcnt vmcnt(0)
	v_fmac_f64_e32 v[16:17], v[36:37], v[32:33]
	v_fmac_f64_e32 v[0:1], v[30:31], v[32:33]
	v_fma_f64 v[16:17], -v[30:31], v[34:35], v[16:17]
	v_fmac_f64_e32 v[0:1], v[36:37], v[34:35]
	s_andn2_b64 exec, exec, s[22:23]
	s_cbranch_execnz .LBB124_13
; %bb.14:                               ;   in Loop: Header=BB124_11 Depth=1
	s_or_b64 exec, exec, s[22:23]
.LBB124_15:                             ;   in Loop: Header=BB124_11 Depth=1
	s_or_b64 exec, exec, s[10:11]
	v_mov_b32_dpp v2, v16 row_shr:1 row_mask:0xf bank_mask:0xf
	v_mov_b32_dpp v3, v17 row_shr:1 row_mask:0xf bank_mask:0xf
	v_add_f64 v[2:3], v[16:17], v[2:3]
	v_mov_b32_dpp v16, v0 row_shr:1 row_mask:0xf bank_mask:0xf
	v_mov_b32_dpp v17, v1 row_shr:1 row_mask:0xf bank_mask:0xf
	v_add_f64 v[0:1], v[0:1], v[16:17]
	v_mov_b32_dpp v14, v2 row_shr:2 row_mask:0xf bank_mask:0xf
	v_mov_b32_dpp v15, v3 row_shr:2 row_mask:0xf bank_mask:0xf
	;; [unrolled: 1-line block ×4, first 2 shown]
	v_add_f64 v[2:3], v[2:3], v[14:15]
	v_add_f64 v[0:1], v[0:1], v[16:17]
	s_nop 0
	v_mov_b32_dpp v14, v2 row_shr:4 row_mask:0xf bank_mask:0xe
	v_mov_b32_dpp v15, v3 row_shr:4 row_mask:0xf bank_mask:0xe
	;; [unrolled: 1-line block ×4, first 2 shown]
	v_add_f64 v[2:3], v[2:3], v[14:15]
	v_add_f64 v[16:17], v[0:1], v[16:17]
	s_nop 0
	v_mov_b32_dpp v14, v2 row_shr:8 row_mask:0xf bank_mask:0xc
	v_mov_b32_dpp v15, v3 row_shr:8 row_mask:0xf bank_mask:0xc
	;; [unrolled: 1-line block ×4, first 2 shown]
	s_and_saveexec_b64 s[4:5], s[2:3]
	s_cbranch_execz .LBB124_10
; %bb.16:                               ;   in Loop: Header=BB124_11 Depth=1
	v_add_f64 v[0:1], v[2:3], v[14:15]
	v_lshlrev_b64 v[14:15], 4, v[12:13]
	v_add_f64 v[2:3], v[16:17], v[18:19]
	v_mov_b32_e32 v16, s17
	v_add_co_u32_e32 v14, vcc, s16, v14
	v_addc_co_u32_e32 v15, vcc, v16, v15, vcc
	s_and_saveexec_b64 s[10:11], s[20:21]
	s_cbranch_execz .LBB124_9
; %bb.17:                               ;   in Loop: Header=BB124_11 Depth=1
	global_load_dwordx4 v[16:19], v[14:15], off
	s_waitcnt vmcnt(0)
	v_fmac_f64_e32 v[0:1], v[8:9], v[16:17]
	v_fmac_f64_e32 v[2:3], v[10:11], v[16:17]
	v_fma_f64 v[0:1], -v[10:11], v[18:19], v[0:1]
	v_fmac_f64_e32 v[2:3], v[8:9], v[18:19]
	s_branch .LBB124_9
.LBB124_18:
	s_endpgm
	.section	.rodata,"a",@progbits
	.p2align	6, 0x0
	.amdhsa_kernel _ZN9rocsparseL21csrmvn_general_kernelILj256ELj16Ell21rocsparse_complex_numIdES2_S2_S2_EEvbT2_NS_24const_host_device_scalarIT6_EEPKT1_S9_PKS3_PKT3_PKT4_S6_PT5_21rocsparse_index_base_b
		.amdhsa_group_segment_fixed_size 4096
		.amdhsa_private_segment_fixed_size 0
		.amdhsa_kernarg_size 360
		.amdhsa_user_sgpr_count 8
		.amdhsa_user_sgpr_private_segment_buffer 1
		.amdhsa_user_sgpr_dispatch_ptr 1
		.amdhsa_user_sgpr_queue_ptr 0
		.amdhsa_user_sgpr_kernarg_segment_ptr 1
		.amdhsa_user_sgpr_dispatch_id 0
		.amdhsa_user_sgpr_flat_scratch_init 0
		.amdhsa_user_sgpr_kernarg_preload_length 0
		.amdhsa_user_sgpr_kernarg_preload_offset 0
		.amdhsa_user_sgpr_private_segment_size 0
		.amdhsa_uses_dynamic_stack 0
		.amdhsa_system_sgpr_private_segment_wavefront_offset 0
		.amdhsa_system_sgpr_workgroup_id_x 1
		.amdhsa_system_sgpr_workgroup_id_y 0
		.amdhsa_system_sgpr_workgroup_id_z 0
		.amdhsa_system_sgpr_workgroup_info 0
		.amdhsa_system_vgpr_workitem_id 2
		.amdhsa_next_free_vgpr 38
		.amdhsa_next_free_sgpr 30
		.amdhsa_accum_offset 40
		.amdhsa_reserve_vcc 1
		.amdhsa_reserve_flat_scratch 0
		.amdhsa_float_round_mode_32 0
		.amdhsa_float_round_mode_16_64 0
		.amdhsa_float_denorm_mode_32 3
		.amdhsa_float_denorm_mode_16_64 3
		.amdhsa_dx10_clamp 1
		.amdhsa_ieee_mode 1
		.amdhsa_fp16_overflow 0
		.amdhsa_tg_split 0
		.amdhsa_exception_fp_ieee_invalid_op 0
		.amdhsa_exception_fp_denorm_src 0
		.amdhsa_exception_fp_ieee_div_zero 0
		.amdhsa_exception_fp_ieee_overflow 0
		.amdhsa_exception_fp_ieee_underflow 0
		.amdhsa_exception_fp_ieee_inexact 0
		.amdhsa_exception_int_div_zero 0
	.end_amdhsa_kernel
	.section	.text._ZN9rocsparseL21csrmvn_general_kernelILj256ELj16Ell21rocsparse_complex_numIdES2_S2_S2_EEvbT2_NS_24const_host_device_scalarIT6_EEPKT1_S9_PKS3_PKT3_PKT4_S6_PT5_21rocsparse_index_base_b,"axG",@progbits,_ZN9rocsparseL21csrmvn_general_kernelILj256ELj16Ell21rocsparse_complex_numIdES2_S2_S2_EEvbT2_NS_24const_host_device_scalarIT6_EEPKT1_S9_PKS3_PKT3_PKT4_S6_PT5_21rocsparse_index_base_b,comdat
.Lfunc_end124:
	.size	_ZN9rocsparseL21csrmvn_general_kernelILj256ELj16Ell21rocsparse_complex_numIdES2_S2_S2_EEvbT2_NS_24const_host_device_scalarIT6_EEPKT1_S9_PKS3_PKT3_PKT4_S6_PT5_21rocsparse_index_base_b, .Lfunc_end124-_ZN9rocsparseL21csrmvn_general_kernelILj256ELj16Ell21rocsparse_complex_numIdES2_S2_S2_EEvbT2_NS_24const_host_device_scalarIT6_EEPKT1_S9_PKS3_PKT3_PKT4_S6_PT5_21rocsparse_index_base_b
                                        ; -- End function
	.section	.AMDGPU.csdata,"",@progbits
; Kernel info:
; codeLenInByte = 1156
; NumSgprs: 34
; NumVgprs: 38
; NumAgprs: 0
; TotalNumVgprs: 38
; ScratchSize: 0
; MemoryBound: 0
; FloatMode: 240
; IeeeMode: 1
; LDSByteSize: 4096 bytes/workgroup (compile time only)
; SGPRBlocks: 4
; VGPRBlocks: 4
; NumSGPRsForWavesPerEU: 34
; NumVGPRsForWavesPerEU: 38
; AccumOffset: 40
; Occupancy: 8
; WaveLimiterHint : 1
; COMPUTE_PGM_RSRC2:SCRATCH_EN: 0
; COMPUTE_PGM_RSRC2:USER_SGPR: 8
; COMPUTE_PGM_RSRC2:TRAP_HANDLER: 0
; COMPUTE_PGM_RSRC2:TGID_X_EN: 1
; COMPUTE_PGM_RSRC2:TGID_Y_EN: 0
; COMPUTE_PGM_RSRC2:TGID_Z_EN: 0
; COMPUTE_PGM_RSRC2:TIDIG_COMP_CNT: 2
; COMPUTE_PGM_RSRC3_GFX90A:ACCUM_OFFSET: 9
; COMPUTE_PGM_RSRC3_GFX90A:TG_SPLIT: 0
	.section	.text._ZN9rocsparseL21csrmvn_general_kernelILj256ELj32Ell21rocsparse_complex_numIdES2_S2_S2_EEvbT2_NS_24const_host_device_scalarIT6_EEPKT1_S9_PKS3_PKT3_PKT4_S6_PT5_21rocsparse_index_base_b,"axG",@progbits,_ZN9rocsparseL21csrmvn_general_kernelILj256ELj32Ell21rocsparse_complex_numIdES2_S2_S2_EEvbT2_NS_24const_host_device_scalarIT6_EEPKT1_S9_PKS3_PKT3_PKT4_S6_PT5_21rocsparse_index_base_b,comdat
	.globl	_ZN9rocsparseL21csrmvn_general_kernelILj256ELj32Ell21rocsparse_complex_numIdES2_S2_S2_EEvbT2_NS_24const_host_device_scalarIT6_EEPKT1_S9_PKS3_PKT3_PKT4_S6_PT5_21rocsparse_index_base_b ; -- Begin function _ZN9rocsparseL21csrmvn_general_kernelILj256ELj32Ell21rocsparse_complex_numIdES2_S2_S2_EEvbT2_NS_24const_host_device_scalarIT6_EEPKT1_S9_PKS3_PKT3_PKT4_S6_PT5_21rocsparse_index_base_b
	.p2align	8
	.type	_ZN9rocsparseL21csrmvn_general_kernelILj256ELj32Ell21rocsparse_complex_numIdES2_S2_S2_EEvbT2_NS_24const_host_device_scalarIT6_EEPKT1_S9_PKS3_PKT3_PKT4_S6_PT5_21rocsparse_index_base_b,@function
_ZN9rocsparseL21csrmvn_general_kernelILj256ELj32Ell21rocsparse_complex_numIdES2_S2_S2_EEvbT2_NS_24const_host_device_scalarIT6_EEPKT1_S9_PKS3_PKT3_PKT4_S6_PT5_21rocsparse_index_base_b: ; @_ZN9rocsparseL21csrmvn_general_kernelILj256ELj32Ell21rocsparse_complex_numIdES2_S2_S2_EEvbT2_NS_24const_host_device_scalarIT6_EEPKT1_S9_PKS3_PKT3_PKT4_S6_PT5_21rocsparse_index_base_b
; %bb.0:
	s_load_dwordx2 s[24:25], s[6:7], 0x60
	s_load_dwordx8 s[12:19], s[6:7], 0x8
	s_load_dwordx4 s[20:23], s[6:7], 0x48
	s_mov_b64 s[2:3], src_shared_base
	s_load_dwordx2 s[4:5], s[4:5], 0x4
	s_waitcnt lgkmcnt(0)
	s_bitcmp1_b32 s25, 0
	s_cselect_b64 s[0:1], -1, 0
	s_and_b64 vcc, s[0:1], exec
	s_cselect_b32 s2, s3, s15
	s_lshr_b32 s4, s4, 16
	v_and_b32_e32 v1, 0x3ff, v0
	s_mul_i32 s4, s4, s5
	v_mul_lo_u32 v2, s4, v1
	v_bfe_u32 v3, v0, 10, 10
	v_mad_u32_u24 v2, v3, s5, v2
	v_bfe_u32 v0, v0, 20, 10
	v_add_lshl_u32 v0, v2, v0, 3
	v_mov_b32_e32 v6, s14
	v_add_u32_e32 v7, 0x800, v0
	v_pk_mov_b32 v[2:3], s[14:15], s[14:15] op_sel:[0,1]
	v_pk_mov_b32 v[4:5], s[20:21], s[20:21] op_sel:[0,1]
	ds_write2st64_b64 v0, v[4:5], v[2:3] offset1:4
	v_cndmask_b32_e64 v2, v6, v7, s[0:1]
	v_mov_b32_e32 v3, s2
	flat_load_dwordx2 v[4:5], v[2:3]
	s_xor_b64 s[4:5], s[0:1], -1
	v_pk_mov_b32 v[6:7], s[16:17], s[16:17] op_sel:[0,1]
	s_cbranch_vccnz .LBB125_2
; %bb.1:
	v_pk_mov_b32 v[2:3], s[14:15], s[14:15] op_sel:[0,1]
	flat_load_dwordx2 v[6:7], v[2:3] offset:8
.LBB125_2:
	s_and_b64 s[10:11], s[0:1], exec
	s_cselect_b32 s2, s3, s21
	v_mov_b32_e32 v2, s20
	v_cndmask_b32_e64 v2, v2, v0, s[0:1]
	v_mov_b32_e32 v3, s2
	flat_load_dwordx2 v[8:9], v[2:3]
	s_andn2_b64 vcc, exec, s[4:5]
	v_pk_mov_b32 v[10:11], s[22:23], s[22:23] op_sel:[0,1]
	s_cbranch_vccnz .LBB125_4
; %bb.3:
	v_pk_mov_b32 v[2:3], s[20:21], s[20:21] op_sel:[0,1]
	flat_load_dwordx2 v[10:11], v[2:3] offset:8
.LBB125_4:
	s_waitcnt vmcnt(0) lgkmcnt(0)
	v_cmp_eq_f64_e32 vcc, 0, v[4:5]
	v_cmp_eq_f64_e64 s[0:1], 0, v[6:7]
	s_and_b64 s[4:5], vcc, s[0:1]
	s_mov_b64 s[0:1], -1
	s_and_saveexec_b64 s[2:3], s[4:5]
; %bb.5:
	v_cmp_neq_f64_e32 vcc, 1.0, v[8:9]
	v_cmp_neq_f64_e64 s[0:1], 0, v[10:11]
	s_or_b64 s[0:1], vcc, s[0:1]
	s_orn2_b64 s[0:1], s[0:1], exec
; %bb.6:
	s_or_b64 exec, exec, s[2:3]
	s_and_saveexec_b64 s[2:3], s[0:1]
	s_cbranch_execz .LBB125_18
; %bb.7:
	s_load_dwordx2 s[14:15], s[6:7], 0x28
	v_lshl_or_b32 v0, s8, 8, v1
	v_lshrrev_b32_e32 v12, 5, v0
	v_mov_b32_e32 v13, 0
	v_cmp_gt_i64_e32 vcc, s[12:13], v[12:13]
	s_and_b64 exec, exec, vcc
	s_cbranch_execz .LBB125_18
; %bb.8:
	s_load_dword s0, s[6:7], 0x68
	s_load_dwordx4 s[8:11], s[6:7], 0x30
	s_load_dword s1, s[6:7], 0x0
	s_load_dwordx2 s[16:17], s[6:7], 0x58
	s_load_dwordx2 s[2:3], s[6:7], 0x40
	v_and_b32_e32 v0, 31, v1
	s_waitcnt lgkmcnt(0)
	s_lshl_b32 s25, s0, 3
	v_subrev_co_u32_e32 v22, vcc, s24, v0
	s_bitcmp1_b32 s1, 0
	v_subb_co_u32_e64 v23, s[4:5], 0, 0, vcc
	s_cselect_b64 s[0:1], -1, 0
	s_ashr_i32 s5, s24, 31
	s_mov_b32 s4, s24
	s_lshl_b64 s[4:5], s[4:5], 4
	s_sub_u32 s27, s2, s4
	s_subb_u32 s23, s3, s5
	v_cmp_neq_f64_e32 vcc, 0, v[8:9]
	v_cmp_neq_f64_e64 s[4:5], 0, v[10:11]
	s_or_b64 s[20:21], vcc, s[4:5]
	s_mov_b32 s26, 0
	s_add_u32 s28, s10, 8
	v_cmp_eq_u32_e64 s[2:3], 31, v0
	s_mov_b64 s[6:7], 0
	s_addc_u32 s29, s11, 0
	v_mov_b32_e32 v24, s19
	v_mov_b32_e32 v25, s15
	;; [unrolled: 1-line block ×4, first 2 shown]
	s_branch .LBB125_11
.LBB125_9:                              ;   in Loop: Header=BB125_11 Depth=1
	s_or_b64 exec, exec, s[10:11]
	global_store_dwordx4 v[14:15], v[0:3], off
.LBB125_10:                             ;   in Loop: Header=BB125_11 Depth=1
	s_or_b64 exec, exec, s[4:5]
	v_mov_b32_e32 v0, s26
	v_add_co_u32_e32 v12, vcc, s25, v12
	v_addc_co_u32_e32 v13, vcc, v13, v0, vcc
	v_cmp_le_i64_e32 vcc, s[12:13], v[12:13]
	s_or_b64 s[6:7], vcc, s[6:7]
	s_andn2_b64 exec, exec, s[6:7]
	s_cbranch_execz .LBB125_18
.LBB125_11:                             ; =>This Loop Header: Depth=1
                                        ;     Child Loop BB125_13 Depth 2
	v_lshlrev_b64 v[0:1], 3, v[12:13]
	v_add_co_u32_e32 v2, vcc, s14, v0
	v_addc_co_u32_e32 v3, vcc, v25, v1, vcc
	global_load_dwordx2 v[2:3], v[2:3], off
	v_add_co_u32_e32 v0, vcc, s18, v0
	v_addc_co_u32_e32 v1, vcc, v24, v1, vcc
	global_load_dwordx2 v[14:15], v[0:1], off
	v_pk_mov_b32 v[0:1], 0, 0
	v_pk_mov_b32 v[16:17], v[0:1], v[0:1] op_sel:[0,1]
	s_waitcnt vmcnt(1)
	v_subrev_co_u32_e32 v2, vcc, s24, v2
	v_subb_co_u32_e32 v3, vcc, v3, v26, vcc
	s_waitcnt vmcnt(0)
	v_add_co_u32_e32 v14, vcc, v14, v22
	v_addc_co_u32_e32 v15, vcc, v15, v23, vcc
	v_cmp_lt_i64_e32 vcc, v[14:15], v[2:3]
	s_and_saveexec_b64 s[10:11], vcc
	s_cbranch_execz .LBB125_15
; %bb.12:                               ;   in Loop: Header=BB125_11 Depth=1
	v_lshlrev_b64 v[0:1], 4, v[14:15]
	v_mov_b32_e32 v16, s29
	v_add_co_u32_e32 v18, vcc, s28, v0
	v_addc_co_u32_e32 v19, vcc, v16, v1, vcc
	v_lshlrev_b64 v[0:1], 3, v[14:15]
	v_mov_b32_e32 v16, s9
	v_add_co_u32_e32 v20, vcc, s8, v0
	v_addc_co_u32_e32 v21, vcc, v16, v1, vcc
	v_pk_mov_b32 v[0:1], 0, 0
	s_mov_b64 s[22:23], 0
	v_pk_mov_b32 v[16:17], v[0:1], v[0:1] op_sel:[0,1]
.LBB125_13:                             ;   Parent Loop BB125_11 Depth=1
                                        ; =>  This Inner Loop Header: Depth=2
	global_load_dwordx2 v[32:33], v[20:21], off
	global_load_dwordx4 v[28:31], v[18:19], off offset:-8
	s_waitcnt vmcnt(1)
	v_lshlrev_b64 v[32:33], 4, v[32:33]
	v_add_co_u32_e32 v32, vcc, s27, v32
	v_addc_co_u32_e32 v33, vcc, v27, v33, vcc
	global_load_dwordx4 v[32:35], v[32:33], off
	v_add_co_u32_e32 v14, vcc, 32, v14
	s_waitcnt vmcnt(1)
	v_xor_b32_e32 v36, 0x80000000, v31
	v_addc_co_u32_e32 v15, vcc, 0, v15, vcc
	v_cndmask_b32_e64 v31, v31, v36, s[0:1]
	v_add_co_u32_e32 v18, vcc, 0x200, v18
	v_mul_f64 v[36:37], v[30:31], -v[6:7]
	v_mul_f64 v[30:31], v[4:5], v[30:31]
	v_addc_co_u32_e32 v19, vcc, 0, v19, vcc
	v_fmac_f64_e32 v[36:37], v[4:5], v[28:29]
	v_fmac_f64_e32 v[30:31], v[6:7], v[28:29]
	v_add_co_u32_e32 v20, vcc, 0x100, v20
	v_cmp_ge_i64_e64 s[4:5], v[14:15], v[2:3]
	v_addc_co_u32_e32 v21, vcc, 0, v21, vcc
	s_or_b64 s[22:23], s[4:5], s[22:23]
	s_waitcnt vmcnt(0)
	v_fmac_f64_e32 v[16:17], v[36:37], v[32:33]
	v_fmac_f64_e32 v[0:1], v[30:31], v[32:33]
	v_fma_f64 v[16:17], -v[30:31], v[34:35], v[16:17]
	v_fmac_f64_e32 v[0:1], v[36:37], v[34:35]
	s_andn2_b64 exec, exec, s[22:23]
	s_cbranch_execnz .LBB125_13
; %bb.14:                               ;   in Loop: Header=BB125_11 Depth=1
	s_or_b64 exec, exec, s[22:23]
.LBB125_15:                             ;   in Loop: Header=BB125_11 Depth=1
	s_or_b64 exec, exec, s[10:11]
	v_mov_b32_dpp v2, v16 row_shr:1 row_mask:0xf bank_mask:0xf
	v_mov_b32_dpp v3, v17 row_shr:1 row_mask:0xf bank_mask:0xf
	v_add_f64 v[2:3], v[16:17], v[2:3]
	v_mov_b32_dpp v16, v0 row_shr:1 row_mask:0xf bank_mask:0xf
	v_mov_b32_dpp v17, v1 row_shr:1 row_mask:0xf bank_mask:0xf
	v_add_f64 v[0:1], v[0:1], v[16:17]
	v_mov_b32_dpp v14, v2 row_shr:2 row_mask:0xf bank_mask:0xf
	v_mov_b32_dpp v15, v3 row_shr:2 row_mask:0xf bank_mask:0xf
	v_mov_b32_dpp v16, v0 row_shr:2 row_mask:0xf bank_mask:0xf
	v_mov_b32_dpp v17, v1 row_shr:2 row_mask:0xf bank_mask:0xf
	v_add_f64 v[2:3], v[2:3], v[14:15]
	v_add_f64 v[0:1], v[0:1], v[16:17]
	s_nop 0
	v_mov_b32_dpp v14, v2 row_shr:4 row_mask:0xf bank_mask:0xe
	v_mov_b32_dpp v15, v3 row_shr:4 row_mask:0xf bank_mask:0xe
	v_mov_b32_dpp v16, v0 row_shr:4 row_mask:0xf bank_mask:0xe
	v_mov_b32_dpp v17, v1 row_shr:4 row_mask:0xf bank_mask:0xe
	v_add_f64 v[2:3], v[2:3], v[14:15]
	v_add_f64 v[0:1], v[0:1], v[16:17]
	s_nop 0
	v_mov_b32_dpp v14, v2 row_shr:8 row_mask:0xf bank_mask:0xc
	v_mov_b32_dpp v15, v3 row_shr:8 row_mask:0xf bank_mask:0xc
	v_mov_b32_dpp v16, v0 row_shr:8 row_mask:0xf bank_mask:0xc
	v_mov_b32_dpp v17, v1 row_shr:8 row_mask:0xf bank_mask:0xc
	v_add_f64 v[2:3], v[2:3], v[14:15]
	v_add_f64 v[16:17], v[0:1], v[16:17]
	s_nop 0
	v_mov_b32_dpp v14, v2 row_bcast:15 row_mask:0xa bank_mask:0xf
	v_mov_b32_dpp v15, v3 row_bcast:15 row_mask:0xa bank_mask:0xf
	;; [unrolled: 1-line block ×4, first 2 shown]
	s_and_saveexec_b64 s[4:5], s[2:3]
	s_cbranch_execz .LBB125_10
; %bb.16:                               ;   in Loop: Header=BB125_11 Depth=1
	v_add_f64 v[0:1], v[2:3], v[14:15]
	v_lshlrev_b64 v[14:15], 4, v[12:13]
	v_add_f64 v[2:3], v[16:17], v[18:19]
	v_mov_b32_e32 v16, s17
	v_add_co_u32_e32 v14, vcc, s16, v14
	v_addc_co_u32_e32 v15, vcc, v16, v15, vcc
	s_and_saveexec_b64 s[10:11], s[20:21]
	s_cbranch_execz .LBB125_9
; %bb.17:                               ;   in Loop: Header=BB125_11 Depth=1
	global_load_dwordx4 v[16:19], v[14:15], off
	s_waitcnt vmcnt(0)
	v_fmac_f64_e32 v[0:1], v[8:9], v[16:17]
	v_fmac_f64_e32 v[2:3], v[10:11], v[16:17]
	v_fma_f64 v[0:1], -v[10:11], v[18:19], v[0:1]
	v_fmac_f64_e32 v[2:3], v[8:9], v[18:19]
	s_branch .LBB125_9
.LBB125_18:
	s_endpgm
	.section	.rodata,"a",@progbits
	.p2align	6, 0x0
	.amdhsa_kernel _ZN9rocsparseL21csrmvn_general_kernelILj256ELj32Ell21rocsparse_complex_numIdES2_S2_S2_EEvbT2_NS_24const_host_device_scalarIT6_EEPKT1_S9_PKS3_PKT3_PKT4_S6_PT5_21rocsparse_index_base_b
		.amdhsa_group_segment_fixed_size 4096
		.amdhsa_private_segment_fixed_size 0
		.amdhsa_kernarg_size 360
		.amdhsa_user_sgpr_count 8
		.amdhsa_user_sgpr_private_segment_buffer 1
		.amdhsa_user_sgpr_dispatch_ptr 1
		.amdhsa_user_sgpr_queue_ptr 0
		.amdhsa_user_sgpr_kernarg_segment_ptr 1
		.amdhsa_user_sgpr_dispatch_id 0
		.amdhsa_user_sgpr_flat_scratch_init 0
		.amdhsa_user_sgpr_kernarg_preload_length 0
		.amdhsa_user_sgpr_kernarg_preload_offset 0
		.amdhsa_user_sgpr_private_segment_size 0
		.amdhsa_uses_dynamic_stack 0
		.amdhsa_system_sgpr_private_segment_wavefront_offset 0
		.amdhsa_system_sgpr_workgroup_id_x 1
		.amdhsa_system_sgpr_workgroup_id_y 0
		.amdhsa_system_sgpr_workgroup_id_z 0
		.amdhsa_system_sgpr_workgroup_info 0
		.amdhsa_system_vgpr_workitem_id 2
		.amdhsa_next_free_vgpr 38
		.amdhsa_next_free_sgpr 30
		.amdhsa_accum_offset 40
		.amdhsa_reserve_vcc 1
		.amdhsa_reserve_flat_scratch 0
		.amdhsa_float_round_mode_32 0
		.amdhsa_float_round_mode_16_64 0
		.amdhsa_float_denorm_mode_32 3
		.amdhsa_float_denorm_mode_16_64 3
		.amdhsa_dx10_clamp 1
		.amdhsa_ieee_mode 1
		.amdhsa_fp16_overflow 0
		.amdhsa_tg_split 0
		.amdhsa_exception_fp_ieee_invalid_op 0
		.amdhsa_exception_fp_denorm_src 0
		.amdhsa_exception_fp_ieee_div_zero 0
		.amdhsa_exception_fp_ieee_overflow 0
		.amdhsa_exception_fp_ieee_underflow 0
		.amdhsa_exception_fp_ieee_inexact 0
		.amdhsa_exception_int_div_zero 0
	.end_amdhsa_kernel
	.section	.text._ZN9rocsparseL21csrmvn_general_kernelILj256ELj32Ell21rocsparse_complex_numIdES2_S2_S2_EEvbT2_NS_24const_host_device_scalarIT6_EEPKT1_S9_PKS3_PKT3_PKT4_S6_PT5_21rocsparse_index_base_b,"axG",@progbits,_ZN9rocsparseL21csrmvn_general_kernelILj256ELj32Ell21rocsparse_complex_numIdES2_S2_S2_EEvbT2_NS_24const_host_device_scalarIT6_EEPKT1_S9_PKS3_PKT3_PKT4_S6_PT5_21rocsparse_index_base_b,comdat
.Lfunc_end125:
	.size	_ZN9rocsparseL21csrmvn_general_kernelILj256ELj32Ell21rocsparse_complex_numIdES2_S2_S2_EEvbT2_NS_24const_host_device_scalarIT6_EEPKT1_S9_PKS3_PKT3_PKT4_S6_PT5_21rocsparse_index_base_b, .Lfunc_end125-_ZN9rocsparseL21csrmvn_general_kernelILj256ELj32Ell21rocsparse_complex_numIdES2_S2_S2_EEvbT2_NS_24const_host_device_scalarIT6_EEPKT1_S9_PKS3_PKT3_PKT4_S6_PT5_21rocsparse_index_base_b
                                        ; -- End function
	.section	.AMDGPU.csdata,"",@progbits
; Kernel info:
; codeLenInByte = 1208
; NumSgprs: 34
; NumVgprs: 38
; NumAgprs: 0
; TotalNumVgprs: 38
; ScratchSize: 0
; MemoryBound: 0
; FloatMode: 240
; IeeeMode: 1
; LDSByteSize: 4096 bytes/workgroup (compile time only)
; SGPRBlocks: 4
; VGPRBlocks: 4
; NumSGPRsForWavesPerEU: 34
; NumVGPRsForWavesPerEU: 38
; AccumOffset: 40
; Occupancy: 8
; WaveLimiterHint : 1
; COMPUTE_PGM_RSRC2:SCRATCH_EN: 0
; COMPUTE_PGM_RSRC2:USER_SGPR: 8
; COMPUTE_PGM_RSRC2:TRAP_HANDLER: 0
; COMPUTE_PGM_RSRC2:TGID_X_EN: 1
; COMPUTE_PGM_RSRC2:TGID_Y_EN: 0
; COMPUTE_PGM_RSRC2:TGID_Z_EN: 0
; COMPUTE_PGM_RSRC2:TIDIG_COMP_CNT: 2
; COMPUTE_PGM_RSRC3_GFX90A:ACCUM_OFFSET: 9
; COMPUTE_PGM_RSRC3_GFX90A:TG_SPLIT: 0
	.section	.text._ZN9rocsparseL21csrmvn_general_kernelILj256ELj64Ell21rocsparse_complex_numIdES2_S2_S2_EEvbT2_NS_24const_host_device_scalarIT6_EEPKT1_S9_PKS3_PKT3_PKT4_S6_PT5_21rocsparse_index_base_b,"axG",@progbits,_ZN9rocsparseL21csrmvn_general_kernelILj256ELj64Ell21rocsparse_complex_numIdES2_S2_S2_EEvbT2_NS_24const_host_device_scalarIT6_EEPKT1_S9_PKS3_PKT3_PKT4_S6_PT5_21rocsparse_index_base_b,comdat
	.globl	_ZN9rocsparseL21csrmvn_general_kernelILj256ELj64Ell21rocsparse_complex_numIdES2_S2_S2_EEvbT2_NS_24const_host_device_scalarIT6_EEPKT1_S9_PKS3_PKT3_PKT4_S6_PT5_21rocsparse_index_base_b ; -- Begin function _ZN9rocsparseL21csrmvn_general_kernelILj256ELj64Ell21rocsparse_complex_numIdES2_S2_S2_EEvbT2_NS_24const_host_device_scalarIT6_EEPKT1_S9_PKS3_PKT3_PKT4_S6_PT5_21rocsparse_index_base_b
	.p2align	8
	.type	_ZN9rocsparseL21csrmvn_general_kernelILj256ELj64Ell21rocsparse_complex_numIdES2_S2_S2_EEvbT2_NS_24const_host_device_scalarIT6_EEPKT1_S9_PKS3_PKT3_PKT4_S6_PT5_21rocsparse_index_base_b,@function
_ZN9rocsparseL21csrmvn_general_kernelILj256ELj64Ell21rocsparse_complex_numIdES2_S2_S2_EEvbT2_NS_24const_host_device_scalarIT6_EEPKT1_S9_PKS3_PKT3_PKT4_S6_PT5_21rocsparse_index_base_b: ; @_ZN9rocsparseL21csrmvn_general_kernelILj256ELj64Ell21rocsparse_complex_numIdES2_S2_S2_EEvbT2_NS_24const_host_device_scalarIT6_EEPKT1_S9_PKS3_PKT3_PKT4_S6_PT5_21rocsparse_index_base_b
; %bb.0:
	s_load_dwordx2 s[24:25], s[6:7], 0x60
	s_load_dwordx8 s[12:19], s[6:7], 0x8
	s_load_dwordx4 s[20:23], s[6:7], 0x48
	s_mov_b64 s[2:3], src_shared_base
	s_load_dwordx2 s[4:5], s[4:5], 0x4
	s_waitcnt lgkmcnt(0)
	s_bitcmp1_b32 s25, 0
	s_cselect_b64 s[0:1], -1, 0
	s_and_b64 vcc, s[0:1], exec
	s_cselect_b32 s2, s3, s15
	s_lshr_b32 s4, s4, 16
	v_and_b32_e32 v1, 0x3ff, v0
	s_mul_i32 s4, s4, s5
	v_mul_lo_u32 v2, s4, v1
	v_bfe_u32 v3, v0, 10, 10
	v_mad_u32_u24 v2, v3, s5, v2
	v_bfe_u32 v0, v0, 20, 10
	v_add_lshl_u32 v0, v2, v0, 3
	v_mov_b32_e32 v6, s14
	v_add_u32_e32 v7, 0x800, v0
	v_pk_mov_b32 v[2:3], s[14:15], s[14:15] op_sel:[0,1]
	v_pk_mov_b32 v[4:5], s[20:21], s[20:21] op_sel:[0,1]
	ds_write2st64_b64 v0, v[4:5], v[2:3] offset1:4
	v_cndmask_b32_e64 v2, v6, v7, s[0:1]
	v_mov_b32_e32 v3, s2
	flat_load_dwordx2 v[4:5], v[2:3]
	s_xor_b64 s[4:5], s[0:1], -1
	v_pk_mov_b32 v[6:7], s[16:17], s[16:17] op_sel:[0,1]
	s_cbranch_vccnz .LBB126_2
; %bb.1:
	v_pk_mov_b32 v[2:3], s[14:15], s[14:15] op_sel:[0,1]
	flat_load_dwordx2 v[6:7], v[2:3] offset:8
.LBB126_2:
	s_and_b64 s[10:11], s[0:1], exec
	s_cselect_b32 s2, s3, s21
	v_mov_b32_e32 v2, s20
	v_cndmask_b32_e64 v2, v2, v0, s[0:1]
	v_mov_b32_e32 v3, s2
	flat_load_dwordx2 v[8:9], v[2:3]
	s_andn2_b64 vcc, exec, s[4:5]
	v_pk_mov_b32 v[10:11], s[22:23], s[22:23] op_sel:[0,1]
	s_cbranch_vccnz .LBB126_4
; %bb.3:
	v_pk_mov_b32 v[2:3], s[20:21], s[20:21] op_sel:[0,1]
	flat_load_dwordx2 v[10:11], v[2:3] offset:8
.LBB126_4:
	s_waitcnt vmcnt(0) lgkmcnt(0)
	v_cmp_eq_f64_e32 vcc, 0, v[4:5]
	v_cmp_eq_f64_e64 s[0:1], 0, v[6:7]
	s_and_b64 s[4:5], vcc, s[0:1]
	s_mov_b64 s[0:1], -1
	s_and_saveexec_b64 s[2:3], s[4:5]
; %bb.5:
	v_cmp_neq_f64_e32 vcc, 1.0, v[8:9]
	v_cmp_neq_f64_e64 s[0:1], 0, v[10:11]
	s_or_b64 s[0:1], vcc, s[0:1]
	s_orn2_b64 s[0:1], s[0:1], exec
; %bb.6:
	s_or_b64 exec, exec, s[2:3]
	s_and_saveexec_b64 s[2:3], s[0:1]
	s_cbranch_execz .LBB126_18
; %bb.7:
	s_load_dwordx2 s[14:15], s[6:7], 0x28
	v_lshl_or_b32 v0, s8, 8, v1
	v_lshrrev_b32_e32 v12, 6, v0
	v_mov_b32_e32 v13, 0
	v_cmp_gt_i64_e32 vcc, s[12:13], v[12:13]
	s_and_b64 exec, exec, vcc
	s_cbranch_execz .LBB126_18
; %bb.8:
	s_load_dword s0, s[6:7], 0x68
	s_load_dwordx4 s[8:11], s[6:7], 0x30
	s_load_dword s1, s[6:7], 0x0
	s_load_dwordx2 s[16:17], s[6:7], 0x58
	s_load_dwordx2 s[2:3], s[6:7], 0x40
	v_and_b32_e32 v0, 63, v1
	s_waitcnt lgkmcnt(0)
	s_lshl_b32 s25, s0, 2
	v_subrev_co_u32_e32 v22, vcc, s24, v0
	s_bitcmp1_b32 s1, 0
	v_subb_co_u32_e64 v23, s[4:5], 0, 0, vcc
	s_cselect_b64 s[0:1], -1, 0
	s_ashr_i32 s5, s24, 31
	s_mov_b32 s4, s24
	s_lshl_b64 s[4:5], s[4:5], 4
	s_sub_u32 s27, s2, s4
	s_subb_u32 s23, s3, s5
	v_cmp_neq_f64_e32 vcc, 0, v[8:9]
	v_cmp_neq_f64_e64 s[4:5], 0, v[10:11]
	s_or_b64 s[20:21], vcc, s[4:5]
	s_mov_b32 s26, 0
	s_add_u32 s28, s10, 8
	v_cmp_eq_u32_e64 s[2:3], 63, v0
	s_mov_b64 s[6:7], 0
	s_addc_u32 s29, s11, 0
	v_mov_b32_e32 v24, s19
	v_mov_b32_e32 v25, s15
	;; [unrolled: 1-line block ×4, first 2 shown]
	s_branch .LBB126_11
.LBB126_9:                              ;   in Loop: Header=BB126_11 Depth=1
	s_or_b64 exec, exec, s[10:11]
	global_store_dwordx4 v[14:15], v[0:3], off
.LBB126_10:                             ;   in Loop: Header=BB126_11 Depth=1
	s_or_b64 exec, exec, s[4:5]
	v_mov_b32_e32 v0, s26
	v_add_co_u32_e32 v12, vcc, s25, v12
	v_addc_co_u32_e32 v13, vcc, v13, v0, vcc
	v_cmp_le_i64_e32 vcc, s[12:13], v[12:13]
	s_or_b64 s[6:7], vcc, s[6:7]
	s_andn2_b64 exec, exec, s[6:7]
	s_cbranch_execz .LBB126_18
.LBB126_11:                             ; =>This Loop Header: Depth=1
                                        ;     Child Loop BB126_13 Depth 2
	v_lshlrev_b64 v[0:1], 3, v[12:13]
	v_add_co_u32_e32 v2, vcc, s14, v0
	v_addc_co_u32_e32 v3, vcc, v25, v1, vcc
	global_load_dwordx2 v[2:3], v[2:3], off
	v_add_co_u32_e32 v0, vcc, s18, v0
	v_addc_co_u32_e32 v1, vcc, v24, v1, vcc
	global_load_dwordx2 v[14:15], v[0:1], off
	v_pk_mov_b32 v[0:1], 0, 0
	v_pk_mov_b32 v[16:17], v[0:1], v[0:1] op_sel:[0,1]
	s_waitcnt vmcnt(1)
	v_subrev_co_u32_e32 v2, vcc, s24, v2
	v_subb_co_u32_e32 v3, vcc, v3, v26, vcc
	s_waitcnt vmcnt(0)
	v_add_co_u32_e32 v14, vcc, v14, v22
	v_addc_co_u32_e32 v15, vcc, v15, v23, vcc
	v_cmp_lt_i64_e32 vcc, v[14:15], v[2:3]
	s_and_saveexec_b64 s[10:11], vcc
	s_cbranch_execz .LBB126_15
; %bb.12:                               ;   in Loop: Header=BB126_11 Depth=1
	v_lshlrev_b64 v[0:1], 4, v[14:15]
	v_mov_b32_e32 v16, s29
	v_add_co_u32_e32 v18, vcc, s28, v0
	v_addc_co_u32_e32 v19, vcc, v16, v1, vcc
	v_lshlrev_b64 v[0:1], 3, v[14:15]
	v_mov_b32_e32 v16, s9
	v_add_co_u32_e32 v20, vcc, s8, v0
	v_addc_co_u32_e32 v21, vcc, v16, v1, vcc
	v_pk_mov_b32 v[0:1], 0, 0
	s_mov_b64 s[22:23], 0
	v_pk_mov_b32 v[16:17], v[0:1], v[0:1] op_sel:[0,1]
.LBB126_13:                             ;   Parent Loop BB126_11 Depth=1
                                        ; =>  This Inner Loop Header: Depth=2
	global_load_dwordx2 v[32:33], v[20:21], off
	global_load_dwordx4 v[28:31], v[18:19], off offset:-8
	s_waitcnt vmcnt(1)
	v_lshlrev_b64 v[32:33], 4, v[32:33]
	v_add_co_u32_e32 v32, vcc, s27, v32
	v_addc_co_u32_e32 v33, vcc, v27, v33, vcc
	global_load_dwordx4 v[32:35], v[32:33], off
	v_add_co_u32_e32 v14, vcc, 64, v14
	s_waitcnt vmcnt(1)
	v_xor_b32_e32 v36, 0x80000000, v31
	v_addc_co_u32_e32 v15, vcc, 0, v15, vcc
	v_cndmask_b32_e64 v31, v31, v36, s[0:1]
	v_add_co_u32_e32 v18, vcc, 0x400, v18
	v_mul_f64 v[36:37], v[30:31], -v[6:7]
	v_mul_f64 v[30:31], v[4:5], v[30:31]
	v_addc_co_u32_e32 v19, vcc, 0, v19, vcc
	v_fmac_f64_e32 v[36:37], v[4:5], v[28:29]
	v_fmac_f64_e32 v[30:31], v[6:7], v[28:29]
	v_add_co_u32_e32 v20, vcc, 0x200, v20
	v_cmp_ge_i64_e64 s[4:5], v[14:15], v[2:3]
	v_addc_co_u32_e32 v21, vcc, 0, v21, vcc
	s_or_b64 s[22:23], s[4:5], s[22:23]
	s_waitcnt vmcnt(0)
	v_fmac_f64_e32 v[16:17], v[36:37], v[32:33]
	v_fmac_f64_e32 v[0:1], v[30:31], v[32:33]
	v_fma_f64 v[16:17], -v[30:31], v[34:35], v[16:17]
	v_fmac_f64_e32 v[0:1], v[36:37], v[34:35]
	s_andn2_b64 exec, exec, s[22:23]
	s_cbranch_execnz .LBB126_13
; %bb.14:                               ;   in Loop: Header=BB126_11 Depth=1
	s_or_b64 exec, exec, s[22:23]
.LBB126_15:                             ;   in Loop: Header=BB126_11 Depth=1
	s_or_b64 exec, exec, s[10:11]
	v_mov_b32_dpp v2, v16 row_shr:1 row_mask:0xf bank_mask:0xf
	v_mov_b32_dpp v3, v17 row_shr:1 row_mask:0xf bank_mask:0xf
	v_add_f64 v[2:3], v[16:17], v[2:3]
	v_mov_b32_dpp v16, v0 row_shr:1 row_mask:0xf bank_mask:0xf
	v_mov_b32_dpp v17, v1 row_shr:1 row_mask:0xf bank_mask:0xf
	v_add_f64 v[0:1], v[0:1], v[16:17]
	v_mov_b32_dpp v14, v2 row_shr:2 row_mask:0xf bank_mask:0xf
	v_mov_b32_dpp v15, v3 row_shr:2 row_mask:0xf bank_mask:0xf
	v_mov_b32_dpp v16, v0 row_shr:2 row_mask:0xf bank_mask:0xf
	v_mov_b32_dpp v17, v1 row_shr:2 row_mask:0xf bank_mask:0xf
	v_add_f64 v[2:3], v[2:3], v[14:15]
	v_add_f64 v[0:1], v[0:1], v[16:17]
	s_nop 0
	v_mov_b32_dpp v14, v2 row_shr:4 row_mask:0xf bank_mask:0xe
	v_mov_b32_dpp v15, v3 row_shr:4 row_mask:0xf bank_mask:0xe
	v_mov_b32_dpp v16, v0 row_shr:4 row_mask:0xf bank_mask:0xe
	v_mov_b32_dpp v17, v1 row_shr:4 row_mask:0xf bank_mask:0xe
	v_add_f64 v[2:3], v[2:3], v[14:15]
	v_add_f64 v[0:1], v[0:1], v[16:17]
	s_nop 0
	;; [unrolled: 7-line block ×3, first 2 shown]
	v_mov_b32_dpp v14, v2 row_bcast:15 row_mask:0xa bank_mask:0xf
	v_mov_b32_dpp v15, v3 row_bcast:15 row_mask:0xa bank_mask:0xf
	v_mov_b32_dpp v16, v0 row_bcast:15 row_mask:0xa bank_mask:0xf
	v_mov_b32_dpp v17, v1 row_bcast:15 row_mask:0xa bank_mask:0xf
	v_add_f64 v[2:3], v[2:3], v[14:15]
	v_add_f64 v[16:17], v[0:1], v[16:17]
	s_nop 0
	v_mov_b32_dpp v14, v2 row_bcast:31 row_mask:0xc bank_mask:0xf
	v_mov_b32_dpp v15, v3 row_bcast:31 row_mask:0xc bank_mask:0xf
	;; [unrolled: 1-line block ×4, first 2 shown]
	s_and_saveexec_b64 s[4:5], s[2:3]
	s_cbranch_execz .LBB126_10
; %bb.16:                               ;   in Loop: Header=BB126_11 Depth=1
	v_add_f64 v[0:1], v[2:3], v[14:15]
	v_lshlrev_b64 v[14:15], 4, v[12:13]
	v_add_f64 v[2:3], v[16:17], v[18:19]
	v_mov_b32_e32 v16, s17
	v_add_co_u32_e32 v14, vcc, s16, v14
	v_addc_co_u32_e32 v15, vcc, v16, v15, vcc
	s_and_saveexec_b64 s[10:11], s[20:21]
	s_cbranch_execz .LBB126_9
; %bb.17:                               ;   in Loop: Header=BB126_11 Depth=1
	global_load_dwordx4 v[16:19], v[14:15], off
	s_waitcnt vmcnt(0)
	v_fmac_f64_e32 v[0:1], v[8:9], v[16:17]
	v_fmac_f64_e32 v[2:3], v[10:11], v[16:17]
	v_fma_f64 v[0:1], -v[10:11], v[18:19], v[0:1]
	v_fmac_f64_e32 v[2:3], v[8:9], v[18:19]
	s_branch .LBB126_9
.LBB126_18:
	s_endpgm
	.section	.rodata,"a",@progbits
	.p2align	6, 0x0
	.amdhsa_kernel _ZN9rocsparseL21csrmvn_general_kernelILj256ELj64Ell21rocsparse_complex_numIdES2_S2_S2_EEvbT2_NS_24const_host_device_scalarIT6_EEPKT1_S9_PKS3_PKT3_PKT4_S6_PT5_21rocsparse_index_base_b
		.amdhsa_group_segment_fixed_size 4096
		.amdhsa_private_segment_fixed_size 0
		.amdhsa_kernarg_size 360
		.amdhsa_user_sgpr_count 8
		.amdhsa_user_sgpr_private_segment_buffer 1
		.amdhsa_user_sgpr_dispatch_ptr 1
		.amdhsa_user_sgpr_queue_ptr 0
		.amdhsa_user_sgpr_kernarg_segment_ptr 1
		.amdhsa_user_sgpr_dispatch_id 0
		.amdhsa_user_sgpr_flat_scratch_init 0
		.amdhsa_user_sgpr_kernarg_preload_length 0
		.amdhsa_user_sgpr_kernarg_preload_offset 0
		.amdhsa_user_sgpr_private_segment_size 0
		.amdhsa_uses_dynamic_stack 0
		.amdhsa_system_sgpr_private_segment_wavefront_offset 0
		.amdhsa_system_sgpr_workgroup_id_x 1
		.amdhsa_system_sgpr_workgroup_id_y 0
		.amdhsa_system_sgpr_workgroup_id_z 0
		.amdhsa_system_sgpr_workgroup_info 0
		.amdhsa_system_vgpr_workitem_id 2
		.amdhsa_next_free_vgpr 38
		.amdhsa_next_free_sgpr 30
		.amdhsa_accum_offset 40
		.amdhsa_reserve_vcc 1
		.amdhsa_reserve_flat_scratch 0
		.amdhsa_float_round_mode_32 0
		.amdhsa_float_round_mode_16_64 0
		.amdhsa_float_denorm_mode_32 3
		.amdhsa_float_denorm_mode_16_64 3
		.amdhsa_dx10_clamp 1
		.amdhsa_ieee_mode 1
		.amdhsa_fp16_overflow 0
		.amdhsa_tg_split 0
		.amdhsa_exception_fp_ieee_invalid_op 0
		.amdhsa_exception_fp_denorm_src 0
		.amdhsa_exception_fp_ieee_div_zero 0
		.amdhsa_exception_fp_ieee_overflow 0
		.amdhsa_exception_fp_ieee_underflow 0
		.amdhsa_exception_fp_ieee_inexact 0
		.amdhsa_exception_int_div_zero 0
	.end_amdhsa_kernel
	.section	.text._ZN9rocsparseL21csrmvn_general_kernelILj256ELj64Ell21rocsparse_complex_numIdES2_S2_S2_EEvbT2_NS_24const_host_device_scalarIT6_EEPKT1_S9_PKS3_PKT3_PKT4_S6_PT5_21rocsparse_index_base_b,"axG",@progbits,_ZN9rocsparseL21csrmvn_general_kernelILj256ELj64Ell21rocsparse_complex_numIdES2_S2_S2_EEvbT2_NS_24const_host_device_scalarIT6_EEPKT1_S9_PKS3_PKT3_PKT4_S6_PT5_21rocsparse_index_base_b,comdat
.Lfunc_end126:
	.size	_ZN9rocsparseL21csrmvn_general_kernelILj256ELj64Ell21rocsparse_complex_numIdES2_S2_S2_EEvbT2_NS_24const_host_device_scalarIT6_EEPKT1_S9_PKS3_PKT3_PKT4_S6_PT5_21rocsparse_index_base_b, .Lfunc_end126-_ZN9rocsparseL21csrmvn_general_kernelILj256ELj64Ell21rocsparse_complex_numIdES2_S2_S2_EEvbT2_NS_24const_host_device_scalarIT6_EEPKT1_S9_PKS3_PKT3_PKT4_S6_PT5_21rocsparse_index_base_b
                                        ; -- End function
	.section	.AMDGPU.csdata,"",@progbits
; Kernel info:
; codeLenInByte = 1260
; NumSgprs: 34
; NumVgprs: 38
; NumAgprs: 0
; TotalNumVgprs: 38
; ScratchSize: 0
; MemoryBound: 0
; FloatMode: 240
; IeeeMode: 1
; LDSByteSize: 4096 bytes/workgroup (compile time only)
; SGPRBlocks: 4
; VGPRBlocks: 4
; NumSGPRsForWavesPerEU: 34
; NumVGPRsForWavesPerEU: 38
; AccumOffset: 40
; Occupancy: 8
; WaveLimiterHint : 1
; COMPUTE_PGM_RSRC2:SCRATCH_EN: 0
; COMPUTE_PGM_RSRC2:USER_SGPR: 8
; COMPUTE_PGM_RSRC2:TRAP_HANDLER: 0
; COMPUTE_PGM_RSRC2:TGID_X_EN: 1
; COMPUTE_PGM_RSRC2:TGID_Y_EN: 0
; COMPUTE_PGM_RSRC2:TGID_Z_EN: 0
; COMPUTE_PGM_RSRC2:TIDIG_COMP_CNT: 2
; COMPUTE_PGM_RSRC3_GFX90A:ACCUM_OFFSET: 9
; COMPUTE_PGM_RSRC3_GFX90A:TG_SPLIT: 0
	.section	.text._ZN9rocsparseL21csrmvt_general_kernelILj256ELj4Ell21rocsparse_complex_numIdES2_S2_S2_EEvbbT2_NS_24const_host_device_scalarIT6_EEPKT1_S9_PKS3_PKT3_PKT4_PT5_21rocsparse_index_base_b,"axG",@progbits,_ZN9rocsparseL21csrmvt_general_kernelILj256ELj4Ell21rocsparse_complex_numIdES2_S2_S2_EEvbbT2_NS_24const_host_device_scalarIT6_EEPKT1_S9_PKS3_PKT3_PKT4_PT5_21rocsparse_index_base_b,comdat
	.globl	_ZN9rocsparseL21csrmvt_general_kernelILj256ELj4Ell21rocsparse_complex_numIdES2_S2_S2_EEvbbT2_NS_24const_host_device_scalarIT6_EEPKT1_S9_PKS3_PKT3_PKT4_PT5_21rocsparse_index_base_b ; -- Begin function _ZN9rocsparseL21csrmvt_general_kernelILj256ELj4Ell21rocsparse_complex_numIdES2_S2_S2_EEvbbT2_NS_24const_host_device_scalarIT6_EEPKT1_S9_PKS3_PKT3_PKT4_PT5_21rocsparse_index_base_b
	.p2align	8
	.type	_ZN9rocsparseL21csrmvt_general_kernelILj256ELj4Ell21rocsparse_complex_numIdES2_S2_S2_EEvbbT2_NS_24const_host_device_scalarIT6_EEPKT1_S9_PKS3_PKT3_PKT4_PT5_21rocsparse_index_base_b,@function
_ZN9rocsparseL21csrmvt_general_kernelILj256ELj4Ell21rocsparse_complex_numIdES2_S2_S2_EEvbbT2_NS_24const_host_device_scalarIT6_EEPKT1_S9_PKS3_PKT3_PKT4_PT5_21rocsparse_index_base_b: ; @_ZN9rocsparseL21csrmvt_general_kernelILj256ELj4Ell21rocsparse_complex_numIdES2_S2_S2_EEvbbT2_NS_24const_host_device_scalarIT6_EEPKT1_S9_PKS3_PKT3_PKT4_PT5_21rocsparse_index_base_b
; %bb.0:
	s_load_dwordx2 s[10:11], s[6:7], 0x50
	s_load_dwordx2 s[0:1], s[4:5], 0x4
	s_load_dwordx8 s[12:19], s[6:7], 0x8
	v_and_b32_e32 v1, 0x3ff, v0
	v_bfe_u32 v3, v0, 10, 10
	s_waitcnt lgkmcnt(0)
	s_and_b32 s2, 1, s11
	s_lshr_b32 s0, s0, 16
	s_mul_i32 s0, s0, s1
	v_mul_lo_u32 v2, s0, v1
	s_cmp_eq_u32 s2, 1
	v_mad_u32_u24 v2, v3, s1, v2
	v_bfe_u32 v0, v0, 20, 10
	v_add_lshl_u32 v0, v2, v0, 3
	v_pk_mov_b32 v[2:3], s[14:15], s[14:15] op_sel:[0,1]
	s_cselect_b64 vcc, -1, 0
	ds_write_b64 v0, v[2:3]
	s_mov_b64 s[0:1], src_shared_base
	v_cndmask_b32_e32 v2, v2, v0, vcc
	s_and_b64 vcc, vcc, exec
	s_cselect_b32 s0, s1, s15
	v_mov_b32_e32 v3, s0
	flat_load_dwordx2 v[8:9], v[2:3]
	v_pk_mov_b32 v[10:11], s[16:17], s[16:17] op_sel:[0,1]
	s_cbranch_vccnz .LBB127_2
; %bb.1:
	v_pk_mov_b32 v[2:3], s[14:15], s[14:15] op_sel:[0,1]
	flat_load_dwordx2 v[10:11], v[2:3] offset:8
.LBB127_2:
	s_waitcnt vmcnt(0) lgkmcnt(0)
	v_cmp_neq_f64_e32 vcc, 0, v[8:9]
	v_cmp_neq_f64_e64 s[0:1], 0, v[10:11]
	s_or_b64 s[0:1], vcc, s[0:1]
	s_and_saveexec_b64 s[2:3], s[0:1]
	s_cbranch_execz .LBB127_27
; %bb.3:
	s_load_dword s0, s[6:7], 0x0
	s_load_dwordx2 s[4:5], s[6:7], 0x48
	s_load_dword s2, s[6:7], 0x58
	s_load_dwordx8 s[20:27], s[6:7], 0x28
	v_lshl_or_b32 v0, s8, 8, v1
	s_waitcnt lgkmcnt(0)
	s_and_b32 s3, s0, 1
	s_bitcmp1_b32 s0, 8
	s_cselect_b64 s[0:1], -1, 0
	s_lshl_b32 s11, s2, 6
	v_lshrrev_b32_e32 v12, 2, v0
	v_mov_b32_e32 v13, 0
	s_cmp_eq_u32 s3, 0
	v_and_b32_e32 v28, 3, v1
	v_cmp_gt_i64_e64 s[2:3], s[12:13], v[12:13]
	s_mov_b64 s[6:7], -1
	s_cbranch_scc0 .LBB127_15
; %bb.4:
	s_and_saveexec_b64 s[6:7], s[2:3]
	s_cbranch_execz .LBB127_14
; %bb.5:
	v_subrev_co_u32_e32 v29, vcc, s10, v28
	s_mov_b32 s14, 0
	v_subb_co_u32_e64 v30, s[8:9], 0, 0, vcc
	s_mov_b64 s[8:9], 0
	v_mov_b32_e32 v31, s19
	v_mov_b32_e32 v32, s21
	v_mov_b32_e32 v33, s14
	v_pk_mov_b32 v[14:15], v[12:13], v[12:13] op_sel:[0,1]
	s_branch .LBB127_7
.LBB127_6:                              ;   in Loop: Header=BB127_7 Depth=1
	s_or_b64 exec, exec, s[14:15]
	v_add_co_u32_e32 v14, vcc, s11, v14
	v_addc_co_u32_e32 v15, vcc, 0, v15, vcc
	v_cmp_le_i64_e32 vcc, s[12:13], v[14:15]
	s_or_b64 s[8:9], vcc, s[8:9]
	s_andn2_b64 exec, exec, s[8:9]
	s_cbranch_execz .LBB127_14
.LBB127_7:                              ; =>This Loop Header: Depth=1
                                        ;     Child Loop BB127_9 Depth 2
                                        ;       Child Loop BB127_10 Depth 3
                                        ;       Child Loop BB127_12 Depth 3
	v_lshlrev_b64 v[0:1], 3, v[14:15]
	v_add_co_u32_e32 v2, vcc, s20, v0
	v_addc_co_u32_e32 v3, vcc, v32, v1, vcc
	global_load_dwordx2 v[2:3], v[2:3], off
	v_add_co_u32_e32 v0, vcc, s18, v0
	v_addc_co_u32_e32 v1, vcc, v31, v1, vcc
	global_load_dwordx2 v[0:1], v[0:1], off
	s_waitcnt vmcnt(1)
	v_subrev_co_u32_e32 v16, vcc, s10, v2
	v_subb_co_u32_e32 v17, vcc, v3, v33, vcc
	s_waitcnt vmcnt(0)
	v_add_co_u32_e32 v18, vcc, v0, v29
	v_addc_co_u32_e32 v19, vcc, v1, v30, vcc
	v_cmp_lt_i64_e32 vcc, v[18:19], v[16:17]
	s_and_saveexec_b64 s[14:15], vcc
	s_cbranch_execz .LBB127_6
; %bb.8:                                ;   in Loop: Header=BB127_7 Depth=1
	v_lshlrev_b64 v[0:1], 4, v[14:15]
	v_mov_b32_e32 v2, s27
	v_add_co_u32_e32 v0, vcc, s26, v0
	v_addc_co_u32_e32 v1, vcc, v2, v1, vcc
	global_load_dwordx4 v[0:3], v[0:1], off
	s_mov_b64 s[16:17], 0
	s_waitcnt vmcnt(0)
	v_mul_f64 v[20:21], v[2:3], -v[10:11]
	v_mul_f64 v[22:23], v[8:9], v[2:3]
	v_fmac_f64_e32 v[20:21], v[8:9], v[0:1]
	v_fmac_f64_e32 v[22:23], v[10:11], v[0:1]
.LBB127_9:                              ;   Parent Loop BB127_7 Depth=1
                                        ; =>  This Loop Header: Depth=2
                                        ;       Child Loop BB127_10 Depth 3
                                        ;       Child Loop BB127_12 Depth 3
	v_lshlrev_b64 v[0:1], 3, v[18:19]
	v_mov_b32_e32 v2, s23
	v_add_co_u32_e32 v0, vcc, s22, v0
	v_addc_co_u32_e32 v1, vcc, v2, v1, vcc
	global_load_dwordx2 v[4:5], v[0:1], off
	v_lshlrev_b64 v[0:1], 4, v[18:19]
	v_mov_b32_e32 v2, s25
	v_add_co_u32_e32 v0, vcc, s24, v0
	v_addc_co_u32_e32 v1, vcc, v2, v1, vcc
	global_load_dwordx4 v[0:3], v[0:1], off
	v_mov_b32_e32 v6, s5
	s_mov_b64 s[28:29], 0
	s_waitcnt vmcnt(1)
	v_subrev_co_u32_e32 v4, vcc, s10, v4
	v_subb_co_u32_e32 v5, vcc, v5, v33, vcc
	v_lshlrev_b64 v[4:5], 4, v[4:5]
	v_add_co_u32_e32 v24, vcc, s4, v4
	v_addc_co_u32_e32 v25, vcc, v6, v5, vcc
	global_load_dwordx2 v[6:7], v[24:25], off
	s_waitcnt vmcnt(1)
	v_xor_b32_e32 v4, 0x80000000, v3
	v_cndmask_b32_e64 v3, v3, v4, s[0:1]
	v_mul_f64 v[26:27], v[2:3], -v[22:23]
	v_fmac_f64_e32 v[26:27], v[20:21], v[0:1]
.LBB127_10:                             ;   Parent Loop BB127_7 Depth=1
                                        ;     Parent Loop BB127_9 Depth=2
                                        ; =>    This Inner Loop Header: Depth=3
	s_waitcnt vmcnt(0)
	v_add_f64 v[4:5], v[6:7], v[26:27]
	global_atomic_cmpswap_x2 v[4:5], v[24:25], v[4:7], off glc
	s_waitcnt vmcnt(0)
	v_cmp_eq_u64_e32 vcc, v[4:5], v[6:7]
	s_or_b64 s[28:29], vcc, s[28:29]
	v_pk_mov_b32 v[6:7], v[4:5], v[4:5] op_sel:[0,1]
	s_andn2_b64 exec, exec, s[28:29]
	s_cbranch_execnz .LBB127_10
; %bb.11:                               ;   in Loop: Header=BB127_9 Depth=2
	s_or_b64 exec, exec, s[28:29]
	global_load_dwordx2 v[4:5], v[24:25], off offset:8
	v_mul_f64 v[6:7], v[20:21], v[2:3]
	v_fmac_f64_e32 v[6:7], v[22:23], v[0:1]
	s_mov_b64 s[28:29], 0
.LBB127_12:                             ;   Parent Loop BB127_7 Depth=1
                                        ;     Parent Loop BB127_9 Depth=2
                                        ; =>    This Inner Loop Header: Depth=3
	s_waitcnt vmcnt(0)
	v_add_f64 v[2:3], v[4:5], v[6:7]
	global_atomic_cmpswap_x2 v[0:1], v[24:25], v[2:5], off offset:8 glc
	s_waitcnt vmcnt(0)
	v_cmp_eq_u64_e32 vcc, v[0:1], v[4:5]
	s_or_b64 s[28:29], vcc, s[28:29]
	v_pk_mov_b32 v[4:5], v[0:1], v[0:1] op_sel:[0,1]
	s_andn2_b64 exec, exec, s[28:29]
	s_cbranch_execnz .LBB127_12
; %bb.13:                               ;   in Loop: Header=BB127_9 Depth=2
	s_or_b64 exec, exec, s[28:29]
	v_add_co_u32_e32 v18, vcc, 4, v18
	v_addc_co_u32_e32 v19, vcc, 0, v19, vcc
	v_cmp_ge_i64_e32 vcc, v[18:19], v[16:17]
	s_or_b64 s[16:17], vcc, s[16:17]
	s_andn2_b64 exec, exec, s[16:17]
	s_cbranch_execnz .LBB127_9
	s_branch .LBB127_6
.LBB127_14:
	s_or_b64 exec, exec, s[6:7]
	s_mov_b64 s[6:7], 0
.LBB127_15:
	s_andn2_b64 vcc, exec, s[6:7]
	s_cbranch_vccnz .LBB127_27
; %bb.16:
	s_and_b64 exec, exec, s[2:3]
	s_cbranch_execz .LBB127_27
; %bb.17:
	v_subrev_co_u32_e32 v26, vcc, s10, v28
	s_mov_b32 s6, 0
	v_subb_co_u32_e64 v27, s[2:3], 0, 0, vcc
	s_mov_b64 s[2:3], 0
	v_mov_b32_e32 v28, s19
	v_mov_b32_e32 v29, s21
	;; [unrolled: 1-line block ×3, first 2 shown]
	s_branch .LBB127_19
.LBB127_18:                             ;   in Loop: Header=BB127_19 Depth=1
	s_or_b64 exec, exec, s[6:7]
	v_add_co_u32_e32 v12, vcc, s11, v12
	v_addc_co_u32_e32 v13, vcc, 0, v13, vcc
	v_cmp_le_i64_e32 vcc, s[12:13], v[12:13]
	s_or_b64 s[2:3], vcc, s[2:3]
	s_andn2_b64 exec, exec, s[2:3]
	s_cbranch_execz .LBB127_27
.LBB127_19:                             ; =>This Loop Header: Depth=1
                                        ;     Child Loop BB127_22 Depth 2
                                        ;       Child Loop BB127_24 Depth 3
                                        ;       Child Loop BB127_26 Depth 3
	v_lshlrev_b64 v[0:1], 3, v[12:13]
	v_add_co_u32_e32 v2, vcc, s20, v0
	v_addc_co_u32_e32 v3, vcc, v29, v1, vcc
	global_load_dwordx2 v[2:3], v[2:3], off
	v_add_co_u32_e32 v0, vcc, s18, v0
	v_addc_co_u32_e32 v1, vcc, v28, v1, vcc
	global_load_dwordx2 v[0:1], v[0:1], off
	s_waitcnt vmcnt(1)
	v_subrev_co_u32_e32 v14, vcc, s10, v2
	v_subb_co_u32_e32 v15, vcc, v3, v30, vcc
	s_waitcnt vmcnt(0)
	v_add_co_u32_e32 v16, vcc, v0, v26
	v_addc_co_u32_e32 v17, vcc, v1, v27, vcc
	v_cmp_lt_i64_e32 vcc, v[16:17], v[14:15]
	s_and_saveexec_b64 s[6:7], vcc
	s_cbranch_execz .LBB127_18
; %bb.20:                               ;   in Loop: Header=BB127_19 Depth=1
	v_lshlrev_b64 v[0:1], 4, v[12:13]
	v_mov_b32_e32 v2, s27
	v_add_co_u32_e32 v0, vcc, s26, v0
	v_addc_co_u32_e32 v1, vcc, v2, v1, vcc
	global_load_dwordx4 v[0:3], v[0:1], off
	s_mov_b64 s[8:9], 0
	s_waitcnt vmcnt(0)
	v_mul_f64 v[18:19], v[2:3], -v[10:11]
	v_mul_f64 v[20:21], v[8:9], v[2:3]
	v_fmac_f64_e32 v[18:19], v[8:9], v[0:1]
	v_fmac_f64_e32 v[20:21], v[10:11], v[0:1]
	s_branch .LBB127_22
.LBB127_21:                             ;   in Loop: Header=BB127_22 Depth=2
	s_or_b64 exec, exec, s[14:15]
	v_add_co_u32_e32 v16, vcc, 4, v16
	v_addc_co_u32_e32 v17, vcc, 0, v17, vcc
	v_cmp_ge_i64_e32 vcc, v[16:17], v[14:15]
	s_or_b64 s[8:9], vcc, s[8:9]
	s_andn2_b64 exec, exec, s[8:9]
	s_cbranch_execz .LBB127_18
.LBB127_22:                             ;   Parent Loop BB127_19 Depth=1
                                        ; =>  This Loop Header: Depth=2
                                        ;       Child Loop BB127_24 Depth 3
                                        ;       Child Loop BB127_26 Depth 3
	v_lshlrev_b64 v[0:1], 3, v[16:17]
	v_mov_b32_e32 v2, s23
	v_add_co_u32_e32 v0, vcc, s22, v0
	v_addc_co_u32_e32 v1, vcc, v2, v1, vcc
	global_load_dwordx2 v[0:1], v[0:1], off
	s_waitcnt vmcnt(0)
	v_subrev_co_u32_e32 v4, vcc, s10, v0
	v_subb_co_u32_e32 v5, vcc, v1, v30, vcc
	v_cmp_ne_u64_e32 vcc, v[4:5], v[12:13]
	s_and_saveexec_b64 s[14:15], vcc
	s_cbranch_execz .LBB127_21
; %bb.23:                               ;   in Loop: Header=BB127_22 Depth=2
	v_lshlrev_b64 v[0:1], 4, v[16:17]
	v_mov_b32_e32 v2, s25
	v_add_co_u32_e32 v0, vcc, s24, v0
	v_addc_co_u32_e32 v1, vcc, v2, v1, vcc
	global_load_dwordx4 v[0:3], v[0:1], off
	v_lshlrev_b64 v[4:5], 4, v[4:5]
	v_mov_b32_e32 v6, s5
	v_add_co_u32_e32 v22, vcc, s4, v4
	v_addc_co_u32_e32 v23, vcc, v6, v5, vcc
	global_load_dwordx2 v[6:7], v[22:23], off
	s_mov_b64 s[16:17], 0
	s_waitcnt vmcnt(1)
	v_xor_b32_e32 v4, 0x80000000, v3
	v_cndmask_b32_e64 v3, v3, v4, s[0:1]
	v_mul_f64 v[24:25], v[2:3], -v[20:21]
	v_fmac_f64_e32 v[24:25], v[18:19], v[0:1]
.LBB127_24:                             ;   Parent Loop BB127_19 Depth=1
                                        ;     Parent Loop BB127_22 Depth=2
                                        ; =>    This Inner Loop Header: Depth=3
	s_waitcnt vmcnt(0)
	v_add_f64 v[4:5], v[6:7], v[24:25]
	global_atomic_cmpswap_x2 v[4:5], v[22:23], v[4:7], off glc
	s_waitcnt vmcnt(0)
	v_cmp_eq_u64_e32 vcc, v[4:5], v[6:7]
	s_or_b64 s[16:17], vcc, s[16:17]
	v_pk_mov_b32 v[6:7], v[4:5], v[4:5] op_sel:[0,1]
	s_andn2_b64 exec, exec, s[16:17]
	s_cbranch_execnz .LBB127_24
; %bb.25:                               ;   in Loop: Header=BB127_22 Depth=2
	s_or_b64 exec, exec, s[16:17]
	global_load_dwordx2 v[4:5], v[22:23], off offset:8
	v_mul_f64 v[6:7], v[18:19], v[2:3]
	v_fmac_f64_e32 v[6:7], v[20:21], v[0:1]
	s_mov_b64 s[16:17], 0
.LBB127_26:                             ;   Parent Loop BB127_19 Depth=1
                                        ;     Parent Loop BB127_22 Depth=2
                                        ; =>    This Inner Loop Header: Depth=3
	s_waitcnt vmcnt(0)
	v_add_f64 v[2:3], v[4:5], v[6:7]
	global_atomic_cmpswap_x2 v[0:1], v[22:23], v[2:5], off offset:8 glc
	s_waitcnt vmcnt(0)
	v_cmp_eq_u64_e32 vcc, v[0:1], v[4:5]
	s_or_b64 s[16:17], vcc, s[16:17]
	v_pk_mov_b32 v[4:5], v[0:1], v[0:1] op_sel:[0,1]
	s_andn2_b64 exec, exec, s[16:17]
	s_cbranch_execnz .LBB127_26
	s_branch .LBB127_21
.LBB127_27:
	s_endpgm
	.section	.rodata,"a",@progbits
	.p2align	6, 0x0
	.amdhsa_kernel _ZN9rocsparseL21csrmvt_general_kernelILj256ELj4Ell21rocsparse_complex_numIdES2_S2_S2_EEvbbT2_NS_24const_host_device_scalarIT6_EEPKT1_S9_PKS3_PKT3_PKT4_PT5_21rocsparse_index_base_b
		.amdhsa_group_segment_fixed_size 2048
		.amdhsa_private_segment_fixed_size 0
		.amdhsa_kernarg_size 344
		.amdhsa_user_sgpr_count 8
		.amdhsa_user_sgpr_private_segment_buffer 1
		.amdhsa_user_sgpr_dispatch_ptr 1
		.amdhsa_user_sgpr_queue_ptr 0
		.amdhsa_user_sgpr_kernarg_segment_ptr 1
		.amdhsa_user_sgpr_dispatch_id 0
		.amdhsa_user_sgpr_flat_scratch_init 0
		.amdhsa_user_sgpr_kernarg_preload_length 0
		.amdhsa_user_sgpr_kernarg_preload_offset 0
		.amdhsa_user_sgpr_private_segment_size 0
		.amdhsa_uses_dynamic_stack 0
		.amdhsa_system_sgpr_private_segment_wavefront_offset 0
		.amdhsa_system_sgpr_workgroup_id_x 1
		.amdhsa_system_sgpr_workgroup_id_y 0
		.amdhsa_system_sgpr_workgroup_id_z 0
		.amdhsa_system_sgpr_workgroup_info 0
		.amdhsa_system_vgpr_workitem_id 2
		.amdhsa_next_free_vgpr 34
		.amdhsa_next_free_sgpr 30
		.amdhsa_accum_offset 36
		.amdhsa_reserve_vcc 1
		.amdhsa_reserve_flat_scratch 0
		.amdhsa_float_round_mode_32 0
		.amdhsa_float_round_mode_16_64 0
		.amdhsa_float_denorm_mode_32 3
		.amdhsa_float_denorm_mode_16_64 3
		.amdhsa_dx10_clamp 1
		.amdhsa_ieee_mode 1
		.amdhsa_fp16_overflow 0
		.amdhsa_tg_split 0
		.amdhsa_exception_fp_ieee_invalid_op 0
		.amdhsa_exception_fp_denorm_src 0
		.amdhsa_exception_fp_ieee_div_zero 0
		.amdhsa_exception_fp_ieee_overflow 0
		.amdhsa_exception_fp_ieee_underflow 0
		.amdhsa_exception_fp_ieee_inexact 0
		.amdhsa_exception_int_div_zero 0
	.end_amdhsa_kernel
	.section	.text._ZN9rocsparseL21csrmvt_general_kernelILj256ELj4Ell21rocsparse_complex_numIdES2_S2_S2_EEvbbT2_NS_24const_host_device_scalarIT6_EEPKT1_S9_PKS3_PKT3_PKT4_PT5_21rocsparse_index_base_b,"axG",@progbits,_ZN9rocsparseL21csrmvt_general_kernelILj256ELj4Ell21rocsparse_complex_numIdES2_S2_S2_EEvbbT2_NS_24const_host_device_scalarIT6_EEPKT1_S9_PKS3_PKT3_PKT4_PT5_21rocsparse_index_base_b,comdat
.Lfunc_end127:
	.size	_ZN9rocsparseL21csrmvt_general_kernelILj256ELj4Ell21rocsparse_complex_numIdES2_S2_S2_EEvbbT2_NS_24const_host_device_scalarIT6_EEPKT1_S9_PKS3_PKT3_PKT4_PT5_21rocsparse_index_base_b, .Lfunc_end127-_ZN9rocsparseL21csrmvt_general_kernelILj256ELj4Ell21rocsparse_complex_numIdES2_S2_S2_EEvbbT2_NS_24const_host_device_scalarIT6_EEPKT1_S9_PKS3_PKT3_PKT4_PT5_21rocsparse_index_base_b
                                        ; -- End function
	.section	.AMDGPU.csdata,"",@progbits
; Kernel info:
; codeLenInByte = 1324
; NumSgprs: 34
; NumVgprs: 34
; NumAgprs: 0
; TotalNumVgprs: 34
; ScratchSize: 0
; MemoryBound: 0
; FloatMode: 240
; IeeeMode: 1
; LDSByteSize: 2048 bytes/workgroup (compile time only)
; SGPRBlocks: 4
; VGPRBlocks: 4
; NumSGPRsForWavesPerEU: 34
; NumVGPRsForWavesPerEU: 34
; AccumOffset: 36
; Occupancy: 8
; WaveLimiterHint : 1
; COMPUTE_PGM_RSRC2:SCRATCH_EN: 0
; COMPUTE_PGM_RSRC2:USER_SGPR: 8
; COMPUTE_PGM_RSRC2:TRAP_HANDLER: 0
; COMPUTE_PGM_RSRC2:TGID_X_EN: 1
; COMPUTE_PGM_RSRC2:TGID_Y_EN: 0
; COMPUTE_PGM_RSRC2:TGID_Z_EN: 0
; COMPUTE_PGM_RSRC2:TIDIG_COMP_CNT: 2
; COMPUTE_PGM_RSRC3_GFX90A:ACCUM_OFFSET: 8
; COMPUTE_PGM_RSRC3_GFX90A:TG_SPLIT: 0
	.section	.text._ZN9rocsparseL21csrmvt_general_kernelILj256ELj8Ell21rocsparse_complex_numIdES2_S2_S2_EEvbbT2_NS_24const_host_device_scalarIT6_EEPKT1_S9_PKS3_PKT3_PKT4_PT5_21rocsparse_index_base_b,"axG",@progbits,_ZN9rocsparseL21csrmvt_general_kernelILj256ELj8Ell21rocsparse_complex_numIdES2_S2_S2_EEvbbT2_NS_24const_host_device_scalarIT6_EEPKT1_S9_PKS3_PKT3_PKT4_PT5_21rocsparse_index_base_b,comdat
	.globl	_ZN9rocsparseL21csrmvt_general_kernelILj256ELj8Ell21rocsparse_complex_numIdES2_S2_S2_EEvbbT2_NS_24const_host_device_scalarIT6_EEPKT1_S9_PKS3_PKT3_PKT4_PT5_21rocsparse_index_base_b ; -- Begin function _ZN9rocsparseL21csrmvt_general_kernelILj256ELj8Ell21rocsparse_complex_numIdES2_S2_S2_EEvbbT2_NS_24const_host_device_scalarIT6_EEPKT1_S9_PKS3_PKT3_PKT4_PT5_21rocsparse_index_base_b
	.p2align	8
	.type	_ZN9rocsparseL21csrmvt_general_kernelILj256ELj8Ell21rocsparse_complex_numIdES2_S2_S2_EEvbbT2_NS_24const_host_device_scalarIT6_EEPKT1_S9_PKS3_PKT3_PKT4_PT5_21rocsparse_index_base_b,@function
_ZN9rocsparseL21csrmvt_general_kernelILj256ELj8Ell21rocsparse_complex_numIdES2_S2_S2_EEvbbT2_NS_24const_host_device_scalarIT6_EEPKT1_S9_PKS3_PKT3_PKT4_PT5_21rocsparse_index_base_b: ; @_ZN9rocsparseL21csrmvt_general_kernelILj256ELj8Ell21rocsparse_complex_numIdES2_S2_S2_EEvbbT2_NS_24const_host_device_scalarIT6_EEPKT1_S9_PKS3_PKT3_PKT4_PT5_21rocsparse_index_base_b
; %bb.0:
	s_load_dwordx2 s[10:11], s[6:7], 0x50
	s_load_dwordx2 s[0:1], s[4:5], 0x4
	s_load_dwordx8 s[12:19], s[6:7], 0x8
	v_and_b32_e32 v1, 0x3ff, v0
	v_bfe_u32 v3, v0, 10, 10
	s_waitcnt lgkmcnt(0)
	s_and_b32 s2, 1, s11
	s_lshr_b32 s0, s0, 16
	s_mul_i32 s0, s0, s1
	v_mul_lo_u32 v2, s0, v1
	s_cmp_eq_u32 s2, 1
	v_mad_u32_u24 v2, v3, s1, v2
	v_bfe_u32 v0, v0, 20, 10
	v_add_lshl_u32 v0, v2, v0, 3
	v_pk_mov_b32 v[2:3], s[14:15], s[14:15] op_sel:[0,1]
	s_cselect_b64 vcc, -1, 0
	ds_write_b64 v0, v[2:3]
	s_mov_b64 s[0:1], src_shared_base
	v_cndmask_b32_e32 v2, v2, v0, vcc
	s_and_b64 vcc, vcc, exec
	s_cselect_b32 s0, s1, s15
	v_mov_b32_e32 v3, s0
	flat_load_dwordx2 v[8:9], v[2:3]
	v_pk_mov_b32 v[10:11], s[16:17], s[16:17] op_sel:[0,1]
	s_cbranch_vccnz .LBB128_2
; %bb.1:
	v_pk_mov_b32 v[2:3], s[14:15], s[14:15] op_sel:[0,1]
	flat_load_dwordx2 v[10:11], v[2:3] offset:8
.LBB128_2:
	s_waitcnt vmcnt(0) lgkmcnt(0)
	v_cmp_neq_f64_e32 vcc, 0, v[8:9]
	v_cmp_neq_f64_e64 s[0:1], 0, v[10:11]
	s_or_b64 s[0:1], vcc, s[0:1]
	s_and_saveexec_b64 s[2:3], s[0:1]
	s_cbranch_execz .LBB128_27
; %bb.3:
	s_load_dword s0, s[6:7], 0x0
	s_load_dwordx2 s[4:5], s[6:7], 0x48
	s_load_dword s2, s[6:7], 0x58
	s_load_dwordx8 s[20:27], s[6:7], 0x28
	v_lshl_or_b32 v0, s8, 8, v1
	s_waitcnt lgkmcnt(0)
	s_and_b32 s3, s0, 1
	s_bitcmp1_b32 s0, 8
	s_cselect_b64 s[0:1], -1, 0
	s_lshl_b32 s11, s2, 5
	v_lshrrev_b32_e32 v12, 3, v0
	v_mov_b32_e32 v13, 0
	s_cmp_eq_u32 s3, 0
	v_and_b32_e32 v28, 7, v1
	v_cmp_gt_i64_e64 s[2:3], s[12:13], v[12:13]
	s_mov_b64 s[6:7], -1
	s_cbranch_scc0 .LBB128_15
; %bb.4:
	s_and_saveexec_b64 s[6:7], s[2:3]
	s_cbranch_execz .LBB128_14
; %bb.5:
	v_subrev_co_u32_e32 v29, vcc, s10, v28
	s_mov_b32 s14, 0
	v_subb_co_u32_e64 v30, s[8:9], 0, 0, vcc
	s_mov_b64 s[8:9], 0
	v_mov_b32_e32 v31, s19
	v_mov_b32_e32 v32, s21
	;; [unrolled: 1-line block ×3, first 2 shown]
	v_pk_mov_b32 v[14:15], v[12:13], v[12:13] op_sel:[0,1]
	s_branch .LBB128_7
.LBB128_6:                              ;   in Loop: Header=BB128_7 Depth=1
	s_or_b64 exec, exec, s[14:15]
	v_add_co_u32_e32 v14, vcc, s11, v14
	v_addc_co_u32_e32 v15, vcc, 0, v15, vcc
	v_cmp_le_i64_e32 vcc, s[12:13], v[14:15]
	s_or_b64 s[8:9], vcc, s[8:9]
	s_andn2_b64 exec, exec, s[8:9]
	s_cbranch_execz .LBB128_14
.LBB128_7:                              ; =>This Loop Header: Depth=1
                                        ;     Child Loop BB128_9 Depth 2
                                        ;       Child Loop BB128_10 Depth 3
                                        ;       Child Loop BB128_12 Depth 3
	v_lshlrev_b64 v[0:1], 3, v[14:15]
	v_add_co_u32_e32 v2, vcc, s20, v0
	v_addc_co_u32_e32 v3, vcc, v32, v1, vcc
	global_load_dwordx2 v[2:3], v[2:3], off
	v_add_co_u32_e32 v0, vcc, s18, v0
	v_addc_co_u32_e32 v1, vcc, v31, v1, vcc
	global_load_dwordx2 v[0:1], v[0:1], off
	s_waitcnt vmcnt(1)
	v_subrev_co_u32_e32 v16, vcc, s10, v2
	v_subb_co_u32_e32 v17, vcc, v3, v33, vcc
	s_waitcnt vmcnt(0)
	v_add_co_u32_e32 v18, vcc, v0, v29
	v_addc_co_u32_e32 v19, vcc, v1, v30, vcc
	v_cmp_lt_i64_e32 vcc, v[18:19], v[16:17]
	s_and_saveexec_b64 s[14:15], vcc
	s_cbranch_execz .LBB128_6
; %bb.8:                                ;   in Loop: Header=BB128_7 Depth=1
	v_lshlrev_b64 v[0:1], 4, v[14:15]
	v_mov_b32_e32 v2, s27
	v_add_co_u32_e32 v0, vcc, s26, v0
	v_addc_co_u32_e32 v1, vcc, v2, v1, vcc
	global_load_dwordx4 v[0:3], v[0:1], off
	s_mov_b64 s[16:17], 0
	s_waitcnt vmcnt(0)
	v_mul_f64 v[20:21], v[2:3], -v[10:11]
	v_mul_f64 v[22:23], v[8:9], v[2:3]
	v_fmac_f64_e32 v[20:21], v[8:9], v[0:1]
	v_fmac_f64_e32 v[22:23], v[10:11], v[0:1]
.LBB128_9:                              ;   Parent Loop BB128_7 Depth=1
                                        ; =>  This Loop Header: Depth=2
                                        ;       Child Loop BB128_10 Depth 3
                                        ;       Child Loop BB128_12 Depth 3
	v_lshlrev_b64 v[0:1], 3, v[18:19]
	v_mov_b32_e32 v2, s23
	v_add_co_u32_e32 v0, vcc, s22, v0
	v_addc_co_u32_e32 v1, vcc, v2, v1, vcc
	global_load_dwordx2 v[4:5], v[0:1], off
	v_lshlrev_b64 v[0:1], 4, v[18:19]
	v_mov_b32_e32 v2, s25
	v_add_co_u32_e32 v0, vcc, s24, v0
	v_addc_co_u32_e32 v1, vcc, v2, v1, vcc
	global_load_dwordx4 v[0:3], v[0:1], off
	v_mov_b32_e32 v6, s5
	s_mov_b64 s[28:29], 0
	s_waitcnt vmcnt(1)
	v_subrev_co_u32_e32 v4, vcc, s10, v4
	v_subb_co_u32_e32 v5, vcc, v5, v33, vcc
	v_lshlrev_b64 v[4:5], 4, v[4:5]
	v_add_co_u32_e32 v24, vcc, s4, v4
	v_addc_co_u32_e32 v25, vcc, v6, v5, vcc
	global_load_dwordx2 v[6:7], v[24:25], off
	s_waitcnt vmcnt(1)
	v_xor_b32_e32 v4, 0x80000000, v3
	v_cndmask_b32_e64 v3, v3, v4, s[0:1]
	v_mul_f64 v[26:27], v[2:3], -v[22:23]
	v_fmac_f64_e32 v[26:27], v[20:21], v[0:1]
.LBB128_10:                             ;   Parent Loop BB128_7 Depth=1
                                        ;     Parent Loop BB128_9 Depth=2
                                        ; =>    This Inner Loop Header: Depth=3
	s_waitcnt vmcnt(0)
	v_add_f64 v[4:5], v[6:7], v[26:27]
	global_atomic_cmpswap_x2 v[4:5], v[24:25], v[4:7], off glc
	s_waitcnt vmcnt(0)
	v_cmp_eq_u64_e32 vcc, v[4:5], v[6:7]
	s_or_b64 s[28:29], vcc, s[28:29]
	v_pk_mov_b32 v[6:7], v[4:5], v[4:5] op_sel:[0,1]
	s_andn2_b64 exec, exec, s[28:29]
	s_cbranch_execnz .LBB128_10
; %bb.11:                               ;   in Loop: Header=BB128_9 Depth=2
	s_or_b64 exec, exec, s[28:29]
	global_load_dwordx2 v[4:5], v[24:25], off offset:8
	v_mul_f64 v[6:7], v[20:21], v[2:3]
	v_fmac_f64_e32 v[6:7], v[22:23], v[0:1]
	s_mov_b64 s[28:29], 0
.LBB128_12:                             ;   Parent Loop BB128_7 Depth=1
                                        ;     Parent Loop BB128_9 Depth=2
                                        ; =>    This Inner Loop Header: Depth=3
	s_waitcnt vmcnt(0)
	v_add_f64 v[2:3], v[4:5], v[6:7]
	global_atomic_cmpswap_x2 v[0:1], v[24:25], v[2:5], off offset:8 glc
	s_waitcnt vmcnt(0)
	v_cmp_eq_u64_e32 vcc, v[0:1], v[4:5]
	s_or_b64 s[28:29], vcc, s[28:29]
	v_pk_mov_b32 v[4:5], v[0:1], v[0:1] op_sel:[0,1]
	s_andn2_b64 exec, exec, s[28:29]
	s_cbranch_execnz .LBB128_12
; %bb.13:                               ;   in Loop: Header=BB128_9 Depth=2
	s_or_b64 exec, exec, s[28:29]
	v_add_co_u32_e32 v18, vcc, 8, v18
	v_addc_co_u32_e32 v19, vcc, 0, v19, vcc
	v_cmp_ge_i64_e32 vcc, v[18:19], v[16:17]
	s_or_b64 s[16:17], vcc, s[16:17]
	s_andn2_b64 exec, exec, s[16:17]
	s_cbranch_execnz .LBB128_9
	s_branch .LBB128_6
.LBB128_14:
	s_or_b64 exec, exec, s[6:7]
	s_mov_b64 s[6:7], 0
.LBB128_15:
	s_andn2_b64 vcc, exec, s[6:7]
	s_cbranch_vccnz .LBB128_27
; %bb.16:
	s_and_b64 exec, exec, s[2:3]
	s_cbranch_execz .LBB128_27
; %bb.17:
	v_subrev_co_u32_e32 v26, vcc, s10, v28
	s_mov_b32 s6, 0
	v_subb_co_u32_e64 v27, s[2:3], 0, 0, vcc
	s_mov_b64 s[2:3], 0
	v_mov_b32_e32 v28, s19
	v_mov_b32_e32 v29, s21
	;; [unrolled: 1-line block ×3, first 2 shown]
	s_branch .LBB128_19
.LBB128_18:                             ;   in Loop: Header=BB128_19 Depth=1
	s_or_b64 exec, exec, s[6:7]
	v_add_co_u32_e32 v12, vcc, s11, v12
	v_addc_co_u32_e32 v13, vcc, 0, v13, vcc
	v_cmp_le_i64_e32 vcc, s[12:13], v[12:13]
	s_or_b64 s[2:3], vcc, s[2:3]
	s_andn2_b64 exec, exec, s[2:3]
	s_cbranch_execz .LBB128_27
.LBB128_19:                             ; =>This Loop Header: Depth=1
                                        ;     Child Loop BB128_22 Depth 2
                                        ;       Child Loop BB128_24 Depth 3
                                        ;       Child Loop BB128_26 Depth 3
	v_lshlrev_b64 v[0:1], 3, v[12:13]
	v_add_co_u32_e32 v2, vcc, s20, v0
	v_addc_co_u32_e32 v3, vcc, v29, v1, vcc
	global_load_dwordx2 v[2:3], v[2:3], off
	v_add_co_u32_e32 v0, vcc, s18, v0
	v_addc_co_u32_e32 v1, vcc, v28, v1, vcc
	global_load_dwordx2 v[0:1], v[0:1], off
	s_waitcnt vmcnt(1)
	v_subrev_co_u32_e32 v14, vcc, s10, v2
	v_subb_co_u32_e32 v15, vcc, v3, v30, vcc
	s_waitcnt vmcnt(0)
	v_add_co_u32_e32 v16, vcc, v0, v26
	v_addc_co_u32_e32 v17, vcc, v1, v27, vcc
	v_cmp_lt_i64_e32 vcc, v[16:17], v[14:15]
	s_and_saveexec_b64 s[6:7], vcc
	s_cbranch_execz .LBB128_18
; %bb.20:                               ;   in Loop: Header=BB128_19 Depth=1
	v_lshlrev_b64 v[0:1], 4, v[12:13]
	v_mov_b32_e32 v2, s27
	v_add_co_u32_e32 v0, vcc, s26, v0
	v_addc_co_u32_e32 v1, vcc, v2, v1, vcc
	global_load_dwordx4 v[0:3], v[0:1], off
	s_mov_b64 s[8:9], 0
	s_waitcnt vmcnt(0)
	v_mul_f64 v[18:19], v[2:3], -v[10:11]
	v_mul_f64 v[20:21], v[8:9], v[2:3]
	v_fmac_f64_e32 v[18:19], v[8:9], v[0:1]
	v_fmac_f64_e32 v[20:21], v[10:11], v[0:1]
	s_branch .LBB128_22
.LBB128_21:                             ;   in Loop: Header=BB128_22 Depth=2
	s_or_b64 exec, exec, s[14:15]
	v_add_co_u32_e32 v16, vcc, 8, v16
	v_addc_co_u32_e32 v17, vcc, 0, v17, vcc
	v_cmp_ge_i64_e32 vcc, v[16:17], v[14:15]
	s_or_b64 s[8:9], vcc, s[8:9]
	s_andn2_b64 exec, exec, s[8:9]
	s_cbranch_execz .LBB128_18
.LBB128_22:                             ;   Parent Loop BB128_19 Depth=1
                                        ; =>  This Loop Header: Depth=2
                                        ;       Child Loop BB128_24 Depth 3
                                        ;       Child Loop BB128_26 Depth 3
	v_lshlrev_b64 v[0:1], 3, v[16:17]
	v_mov_b32_e32 v2, s23
	v_add_co_u32_e32 v0, vcc, s22, v0
	v_addc_co_u32_e32 v1, vcc, v2, v1, vcc
	global_load_dwordx2 v[0:1], v[0:1], off
	s_waitcnt vmcnt(0)
	v_subrev_co_u32_e32 v4, vcc, s10, v0
	v_subb_co_u32_e32 v5, vcc, v1, v30, vcc
	v_cmp_ne_u64_e32 vcc, v[4:5], v[12:13]
	s_and_saveexec_b64 s[14:15], vcc
	s_cbranch_execz .LBB128_21
; %bb.23:                               ;   in Loop: Header=BB128_22 Depth=2
	v_lshlrev_b64 v[0:1], 4, v[16:17]
	v_mov_b32_e32 v2, s25
	v_add_co_u32_e32 v0, vcc, s24, v0
	v_addc_co_u32_e32 v1, vcc, v2, v1, vcc
	global_load_dwordx4 v[0:3], v[0:1], off
	v_lshlrev_b64 v[4:5], 4, v[4:5]
	v_mov_b32_e32 v6, s5
	v_add_co_u32_e32 v22, vcc, s4, v4
	v_addc_co_u32_e32 v23, vcc, v6, v5, vcc
	global_load_dwordx2 v[6:7], v[22:23], off
	s_mov_b64 s[16:17], 0
	s_waitcnt vmcnt(1)
	v_xor_b32_e32 v4, 0x80000000, v3
	v_cndmask_b32_e64 v3, v3, v4, s[0:1]
	v_mul_f64 v[24:25], v[2:3], -v[20:21]
	v_fmac_f64_e32 v[24:25], v[18:19], v[0:1]
.LBB128_24:                             ;   Parent Loop BB128_19 Depth=1
                                        ;     Parent Loop BB128_22 Depth=2
                                        ; =>    This Inner Loop Header: Depth=3
	s_waitcnt vmcnt(0)
	v_add_f64 v[4:5], v[6:7], v[24:25]
	global_atomic_cmpswap_x2 v[4:5], v[22:23], v[4:7], off glc
	s_waitcnt vmcnt(0)
	v_cmp_eq_u64_e32 vcc, v[4:5], v[6:7]
	s_or_b64 s[16:17], vcc, s[16:17]
	v_pk_mov_b32 v[6:7], v[4:5], v[4:5] op_sel:[0,1]
	s_andn2_b64 exec, exec, s[16:17]
	s_cbranch_execnz .LBB128_24
; %bb.25:                               ;   in Loop: Header=BB128_22 Depth=2
	s_or_b64 exec, exec, s[16:17]
	global_load_dwordx2 v[4:5], v[22:23], off offset:8
	v_mul_f64 v[6:7], v[18:19], v[2:3]
	v_fmac_f64_e32 v[6:7], v[20:21], v[0:1]
	s_mov_b64 s[16:17], 0
.LBB128_26:                             ;   Parent Loop BB128_19 Depth=1
                                        ;     Parent Loop BB128_22 Depth=2
                                        ; =>    This Inner Loop Header: Depth=3
	s_waitcnt vmcnt(0)
	v_add_f64 v[2:3], v[4:5], v[6:7]
	global_atomic_cmpswap_x2 v[0:1], v[22:23], v[2:5], off offset:8 glc
	s_waitcnt vmcnt(0)
	v_cmp_eq_u64_e32 vcc, v[0:1], v[4:5]
	s_or_b64 s[16:17], vcc, s[16:17]
	v_pk_mov_b32 v[4:5], v[0:1], v[0:1] op_sel:[0,1]
	s_andn2_b64 exec, exec, s[16:17]
	s_cbranch_execnz .LBB128_26
	s_branch .LBB128_21
.LBB128_27:
	s_endpgm
	.section	.rodata,"a",@progbits
	.p2align	6, 0x0
	.amdhsa_kernel _ZN9rocsparseL21csrmvt_general_kernelILj256ELj8Ell21rocsparse_complex_numIdES2_S2_S2_EEvbbT2_NS_24const_host_device_scalarIT6_EEPKT1_S9_PKS3_PKT3_PKT4_PT5_21rocsparse_index_base_b
		.amdhsa_group_segment_fixed_size 2048
		.amdhsa_private_segment_fixed_size 0
		.amdhsa_kernarg_size 344
		.amdhsa_user_sgpr_count 8
		.amdhsa_user_sgpr_private_segment_buffer 1
		.amdhsa_user_sgpr_dispatch_ptr 1
		.amdhsa_user_sgpr_queue_ptr 0
		.amdhsa_user_sgpr_kernarg_segment_ptr 1
		.amdhsa_user_sgpr_dispatch_id 0
		.amdhsa_user_sgpr_flat_scratch_init 0
		.amdhsa_user_sgpr_kernarg_preload_length 0
		.amdhsa_user_sgpr_kernarg_preload_offset 0
		.amdhsa_user_sgpr_private_segment_size 0
		.amdhsa_uses_dynamic_stack 0
		.amdhsa_system_sgpr_private_segment_wavefront_offset 0
		.amdhsa_system_sgpr_workgroup_id_x 1
		.amdhsa_system_sgpr_workgroup_id_y 0
		.amdhsa_system_sgpr_workgroup_id_z 0
		.amdhsa_system_sgpr_workgroup_info 0
		.amdhsa_system_vgpr_workitem_id 2
		.amdhsa_next_free_vgpr 34
		.amdhsa_next_free_sgpr 30
		.amdhsa_accum_offset 36
		.amdhsa_reserve_vcc 1
		.amdhsa_reserve_flat_scratch 0
		.amdhsa_float_round_mode_32 0
		.amdhsa_float_round_mode_16_64 0
		.amdhsa_float_denorm_mode_32 3
		.amdhsa_float_denorm_mode_16_64 3
		.amdhsa_dx10_clamp 1
		.amdhsa_ieee_mode 1
		.amdhsa_fp16_overflow 0
		.amdhsa_tg_split 0
		.amdhsa_exception_fp_ieee_invalid_op 0
		.amdhsa_exception_fp_denorm_src 0
		.amdhsa_exception_fp_ieee_div_zero 0
		.amdhsa_exception_fp_ieee_overflow 0
		.amdhsa_exception_fp_ieee_underflow 0
		.amdhsa_exception_fp_ieee_inexact 0
		.amdhsa_exception_int_div_zero 0
	.end_amdhsa_kernel
	.section	.text._ZN9rocsparseL21csrmvt_general_kernelILj256ELj8Ell21rocsparse_complex_numIdES2_S2_S2_EEvbbT2_NS_24const_host_device_scalarIT6_EEPKT1_S9_PKS3_PKT3_PKT4_PT5_21rocsparse_index_base_b,"axG",@progbits,_ZN9rocsparseL21csrmvt_general_kernelILj256ELj8Ell21rocsparse_complex_numIdES2_S2_S2_EEvbbT2_NS_24const_host_device_scalarIT6_EEPKT1_S9_PKS3_PKT3_PKT4_PT5_21rocsparse_index_base_b,comdat
.Lfunc_end128:
	.size	_ZN9rocsparseL21csrmvt_general_kernelILj256ELj8Ell21rocsparse_complex_numIdES2_S2_S2_EEvbbT2_NS_24const_host_device_scalarIT6_EEPKT1_S9_PKS3_PKT3_PKT4_PT5_21rocsparse_index_base_b, .Lfunc_end128-_ZN9rocsparseL21csrmvt_general_kernelILj256ELj8Ell21rocsparse_complex_numIdES2_S2_S2_EEvbbT2_NS_24const_host_device_scalarIT6_EEPKT1_S9_PKS3_PKT3_PKT4_PT5_21rocsparse_index_base_b
                                        ; -- End function
	.section	.AMDGPU.csdata,"",@progbits
; Kernel info:
; codeLenInByte = 1324
; NumSgprs: 34
; NumVgprs: 34
; NumAgprs: 0
; TotalNumVgprs: 34
; ScratchSize: 0
; MemoryBound: 0
; FloatMode: 240
; IeeeMode: 1
; LDSByteSize: 2048 bytes/workgroup (compile time only)
; SGPRBlocks: 4
; VGPRBlocks: 4
; NumSGPRsForWavesPerEU: 34
; NumVGPRsForWavesPerEU: 34
; AccumOffset: 36
; Occupancy: 8
; WaveLimiterHint : 1
; COMPUTE_PGM_RSRC2:SCRATCH_EN: 0
; COMPUTE_PGM_RSRC2:USER_SGPR: 8
; COMPUTE_PGM_RSRC2:TRAP_HANDLER: 0
; COMPUTE_PGM_RSRC2:TGID_X_EN: 1
; COMPUTE_PGM_RSRC2:TGID_Y_EN: 0
; COMPUTE_PGM_RSRC2:TGID_Z_EN: 0
; COMPUTE_PGM_RSRC2:TIDIG_COMP_CNT: 2
; COMPUTE_PGM_RSRC3_GFX90A:ACCUM_OFFSET: 8
; COMPUTE_PGM_RSRC3_GFX90A:TG_SPLIT: 0
	.section	.text._ZN9rocsparseL21csrmvt_general_kernelILj256ELj16Ell21rocsparse_complex_numIdES2_S2_S2_EEvbbT2_NS_24const_host_device_scalarIT6_EEPKT1_S9_PKS3_PKT3_PKT4_PT5_21rocsparse_index_base_b,"axG",@progbits,_ZN9rocsparseL21csrmvt_general_kernelILj256ELj16Ell21rocsparse_complex_numIdES2_S2_S2_EEvbbT2_NS_24const_host_device_scalarIT6_EEPKT1_S9_PKS3_PKT3_PKT4_PT5_21rocsparse_index_base_b,comdat
	.globl	_ZN9rocsparseL21csrmvt_general_kernelILj256ELj16Ell21rocsparse_complex_numIdES2_S2_S2_EEvbbT2_NS_24const_host_device_scalarIT6_EEPKT1_S9_PKS3_PKT3_PKT4_PT5_21rocsparse_index_base_b ; -- Begin function _ZN9rocsparseL21csrmvt_general_kernelILj256ELj16Ell21rocsparse_complex_numIdES2_S2_S2_EEvbbT2_NS_24const_host_device_scalarIT6_EEPKT1_S9_PKS3_PKT3_PKT4_PT5_21rocsparse_index_base_b
	.p2align	8
	.type	_ZN9rocsparseL21csrmvt_general_kernelILj256ELj16Ell21rocsparse_complex_numIdES2_S2_S2_EEvbbT2_NS_24const_host_device_scalarIT6_EEPKT1_S9_PKS3_PKT3_PKT4_PT5_21rocsparse_index_base_b,@function
_ZN9rocsparseL21csrmvt_general_kernelILj256ELj16Ell21rocsparse_complex_numIdES2_S2_S2_EEvbbT2_NS_24const_host_device_scalarIT6_EEPKT1_S9_PKS3_PKT3_PKT4_PT5_21rocsparse_index_base_b: ; @_ZN9rocsparseL21csrmvt_general_kernelILj256ELj16Ell21rocsparse_complex_numIdES2_S2_S2_EEvbbT2_NS_24const_host_device_scalarIT6_EEPKT1_S9_PKS3_PKT3_PKT4_PT5_21rocsparse_index_base_b
; %bb.0:
	s_load_dwordx2 s[10:11], s[6:7], 0x50
	s_load_dwordx2 s[0:1], s[4:5], 0x4
	s_load_dwordx8 s[12:19], s[6:7], 0x8
	v_and_b32_e32 v1, 0x3ff, v0
	v_bfe_u32 v3, v0, 10, 10
	s_waitcnt lgkmcnt(0)
	s_and_b32 s2, 1, s11
	s_lshr_b32 s0, s0, 16
	s_mul_i32 s0, s0, s1
	v_mul_lo_u32 v2, s0, v1
	s_cmp_eq_u32 s2, 1
	v_mad_u32_u24 v2, v3, s1, v2
	v_bfe_u32 v0, v0, 20, 10
	v_add_lshl_u32 v0, v2, v0, 3
	v_pk_mov_b32 v[2:3], s[14:15], s[14:15] op_sel:[0,1]
	s_cselect_b64 vcc, -1, 0
	ds_write_b64 v0, v[2:3]
	s_mov_b64 s[0:1], src_shared_base
	v_cndmask_b32_e32 v2, v2, v0, vcc
	s_and_b64 vcc, vcc, exec
	s_cselect_b32 s0, s1, s15
	v_mov_b32_e32 v3, s0
	flat_load_dwordx2 v[8:9], v[2:3]
	v_pk_mov_b32 v[10:11], s[16:17], s[16:17] op_sel:[0,1]
	s_cbranch_vccnz .LBB129_2
; %bb.1:
	v_pk_mov_b32 v[2:3], s[14:15], s[14:15] op_sel:[0,1]
	flat_load_dwordx2 v[10:11], v[2:3] offset:8
.LBB129_2:
	s_waitcnt vmcnt(0) lgkmcnt(0)
	v_cmp_neq_f64_e32 vcc, 0, v[8:9]
	v_cmp_neq_f64_e64 s[0:1], 0, v[10:11]
	s_or_b64 s[0:1], vcc, s[0:1]
	s_and_saveexec_b64 s[2:3], s[0:1]
	s_cbranch_execz .LBB129_27
; %bb.3:
	s_load_dword s0, s[6:7], 0x0
	s_load_dwordx2 s[4:5], s[6:7], 0x48
	s_load_dword s2, s[6:7], 0x58
	s_load_dwordx8 s[20:27], s[6:7], 0x28
	v_lshl_or_b32 v0, s8, 8, v1
	s_waitcnt lgkmcnt(0)
	s_and_b32 s3, s0, 1
	s_bitcmp1_b32 s0, 8
	s_cselect_b64 s[0:1], -1, 0
	s_lshl_b32 s11, s2, 4
	v_lshrrev_b32_e32 v12, 4, v0
	v_mov_b32_e32 v13, 0
	s_cmp_eq_u32 s3, 0
	v_and_b32_e32 v28, 15, v1
	v_cmp_gt_i64_e64 s[2:3], s[12:13], v[12:13]
	s_mov_b64 s[6:7], -1
	s_cbranch_scc0 .LBB129_15
; %bb.4:
	s_and_saveexec_b64 s[6:7], s[2:3]
	s_cbranch_execz .LBB129_14
; %bb.5:
	v_subrev_co_u32_e32 v29, vcc, s10, v28
	s_mov_b32 s14, 0
	v_subb_co_u32_e64 v30, s[8:9], 0, 0, vcc
	s_mov_b64 s[8:9], 0
	v_mov_b32_e32 v31, s19
	v_mov_b32_e32 v32, s21
	;; [unrolled: 1-line block ×3, first 2 shown]
	v_pk_mov_b32 v[14:15], v[12:13], v[12:13] op_sel:[0,1]
	s_branch .LBB129_7
.LBB129_6:                              ;   in Loop: Header=BB129_7 Depth=1
	s_or_b64 exec, exec, s[14:15]
	v_add_co_u32_e32 v14, vcc, s11, v14
	v_addc_co_u32_e32 v15, vcc, 0, v15, vcc
	v_cmp_le_i64_e32 vcc, s[12:13], v[14:15]
	s_or_b64 s[8:9], vcc, s[8:9]
	s_andn2_b64 exec, exec, s[8:9]
	s_cbranch_execz .LBB129_14
.LBB129_7:                              ; =>This Loop Header: Depth=1
                                        ;     Child Loop BB129_9 Depth 2
                                        ;       Child Loop BB129_10 Depth 3
                                        ;       Child Loop BB129_12 Depth 3
	v_lshlrev_b64 v[0:1], 3, v[14:15]
	v_add_co_u32_e32 v2, vcc, s20, v0
	v_addc_co_u32_e32 v3, vcc, v32, v1, vcc
	global_load_dwordx2 v[2:3], v[2:3], off
	v_add_co_u32_e32 v0, vcc, s18, v0
	v_addc_co_u32_e32 v1, vcc, v31, v1, vcc
	global_load_dwordx2 v[0:1], v[0:1], off
	s_waitcnt vmcnt(1)
	v_subrev_co_u32_e32 v16, vcc, s10, v2
	v_subb_co_u32_e32 v17, vcc, v3, v33, vcc
	s_waitcnt vmcnt(0)
	v_add_co_u32_e32 v18, vcc, v0, v29
	v_addc_co_u32_e32 v19, vcc, v1, v30, vcc
	v_cmp_lt_i64_e32 vcc, v[18:19], v[16:17]
	s_and_saveexec_b64 s[14:15], vcc
	s_cbranch_execz .LBB129_6
; %bb.8:                                ;   in Loop: Header=BB129_7 Depth=1
	v_lshlrev_b64 v[0:1], 4, v[14:15]
	v_mov_b32_e32 v2, s27
	v_add_co_u32_e32 v0, vcc, s26, v0
	v_addc_co_u32_e32 v1, vcc, v2, v1, vcc
	global_load_dwordx4 v[0:3], v[0:1], off
	s_mov_b64 s[16:17], 0
	s_waitcnt vmcnt(0)
	v_mul_f64 v[20:21], v[2:3], -v[10:11]
	v_mul_f64 v[22:23], v[8:9], v[2:3]
	v_fmac_f64_e32 v[20:21], v[8:9], v[0:1]
	v_fmac_f64_e32 v[22:23], v[10:11], v[0:1]
.LBB129_9:                              ;   Parent Loop BB129_7 Depth=1
                                        ; =>  This Loop Header: Depth=2
                                        ;       Child Loop BB129_10 Depth 3
                                        ;       Child Loop BB129_12 Depth 3
	v_lshlrev_b64 v[0:1], 3, v[18:19]
	v_mov_b32_e32 v2, s23
	v_add_co_u32_e32 v0, vcc, s22, v0
	v_addc_co_u32_e32 v1, vcc, v2, v1, vcc
	global_load_dwordx2 v[4:5], v[0:1], off
	v_lshlrev_b64 v[0:1], 4, v[18:19]
	v_mov_b32_e32 v2, s25
	v_add_co_u32_e32 v0, vcc, s24, v0
	v_addc_co_u32_e32 v1, vcc, v2, v1, vcc
	global_load_dwordx4 v[0:3], v[0:1], off
	v_mov_b32_e32 v6, s5
	s_mov_b64 s[28:29], 0
	s_waitcnt vmcnt(1)
	v_subrev_co_u32_e32 v4, vcc, s10, v4
	v_subb_co_u32_e32 v5, vcc, v5, v33, vcc
	v_lshlrev_b64 v[4:5], 4, v[4:5]
	v_add_co_u32_e32 v24, vcc, s4, v4
	v_addc_co_u32_e32 v25, vcc, v6, v5, vcc
	global_load_dwordx2 v[6:7], v[24:25], off
	s_waitcnt vmcnt(1)
	v_xor_b32_e32 v4, 0x80000000, v3
	v_cndmask_b32_e64 v3, v3, v4, s[0:1]
	v_mul_f64 v[26:27], v[2:3], -v[22:23]
	v_fmac_f64_e32 v[26:27], v[20:21], v[0:1]
.LBB129_10:                             ;   Parent Loop BB129_7 Depth=1
                                        ;     Parent Loop BB129_9 Depth=2
                                        ; =>    This Inner Loop Header: Depth=3
	s_waitcnt vmcnt(0)
	v_add_f64 v[4:5], v[6:7], v[26:27]
	global_atomic_cmpswap_x2 v[4:5], v[24:25], v[4:7], off glc
	s_waitcnt vmcnt(0)
	v_cmp_eq_u64_e32 vcc, v[4:5], v[6:7]
	s_or_b64 s[28:29], vcc, s[28:29]
	v_pk_mov_b32 v[6:7], v[4:5], v[4:5] op_sel:[0,1]
	s_andn2_b64 exec, exec, s[28:29]
	s_cbranch_execnz .LBB129_10
; %bb.11:                               ;   in Loop: Header=BB129_9 Depth=2
	s_or_b64 exec, exec, s[28:29]
	global_load_dwordx2 v[4:5], v[24:25], off offset:8
	v_mul_f64 v[6:7], v[20:21], v[2:3]
	v_fmac_f64_e32 v[6:7], v[22:23], v[0:1]
	s_mov_b64 s[28:29], 0
.LBB129_12:                             ;   Parent Loop BB129_7 Depth=1
                                        ;     Parent Loop BB129_9 Depth=2
                                        ; =>    This Inner Loop Header: Depth=3
	s_waitcnt vmcnt(0)
	v_add_f64 v[2:3], v[4:5], v[6:7]
	global_atomic_cmpswap_x2 v[0:1], v[24:25], v[2:5], off offset:8 glc
	s_waitcnt vmcnt(0)
	v_cmp_eq_u64_e32 vcc, v[0:1], v[4:5]
	s_or_b64 s[28:29], vcc, s[28:29]
	v_pk_mov_b32 v[4:5], v[0:1], v[0:1] op_sel:[0,1]
	s_andn2_b64 exec, exec, s[28:29]
	s_cbranch_execnz .LBB129_12
; %bb.13:                               ;   in Loop: Header=BB129_9 Depth=2
	s_or_b64 exec, exec, s[28:29]
	v_add_co_u32_e32 v18, vcc, 16, v18
	v_addc_co_u32_e32 v19, vcc, 0, v19, vcc
	v_cmp_ge_i64_e32 vcc, v[18:19], v[16:17]
	s_or_b64 s[16:17], vcc, s[16:17]
	s_andn2_b64 exec, exec, s[16:17]
	s_cbranch_execnz .LBB129_9
	s_branch .LBB129_6
.LBB129_14:
	s_or_b64 exec, exec, s[6:7]
	s_mov_b64 s[6:7], 0
.LBB129_15:
	s_andn2_b64 vcc, exec, s[6:7]
	s_cbranch_vccnz .LBB129_27
; %bb.16:
	s_and_b64 exec, exec, s[2:3]
	s_cbranch_execz .LBB129_27
; %bb.17:
	v_subrev_co_u32_e32 v26, vcc, s10, v28
	s_mov_b32 s6, 0
	v_subb_co_u32_e64 v27, s[2:3], 0, 0, vcc
	s_mov_b64 s[2:3], 0
	v_mov_b32_e32 v28, s19
	v_mov_b32_e32 v29, s21
	;; [unrolled: 1-line block ×3, first 2 shown]
	s_branch .LBB129_19
.LBB129_18:                             ;   in Loop: Header=BB129_19 Depth=1
	s_or_b64 exec, exec, s[6:7]
	v_add_co_u32_e32 v12, vcc, s11, v12
	v_addc_co_u32_e32 v13, vcc, 0, v13, vcc
	v_cmp_le_i64_e32 vcc, s[12:13], v[12:13]
	s_or_b64 s[2:3], vcc, s[2:3]
	s_andn2_b64 exec, exec, s[2:3]
	s_cbranch_execz .LBB129_27
.LBB129_19:                             ; =>This Loop Header: Depth=1
                                        ;     Child Loop BB129_22 Depth 2
                                        ;       Child Loop BB129_24 Depth 3
                                        ;       Child Loop BB129_26 Depth 3
	v_lshlrev_b64 v[0:1], 3, v[12:13]
	v_add_co_u32_e32 v2, vcc, s20, v0
	v_addc_co_u32_e32 v3, vcc, v29, v1, vcc
	global_load_dwordx2 v[2:3], v[2:3], off
	v_add_co_u32_e32 v0, vcc, s18, v0
	v_addc_co_u32_e32 v1, vcc, v28, v1, vcc
	global_load_dwordx2 v[0:1], v[0:1], off
	s_waitcnt vmcnt(1)
	v_subrev_co_u32_e32 v14, vcc, s10, v2
	v_subb_co_u32_e32 v15, vcc, v3, v30, vcc
	s_waitcnt vmcnt(0)
	v_add_co_u32_e32 v16, vcc, v0, v26
	v_addc_co_u32_e32 v17, vcc, v1, v27, vcc
	v_cmp_lt_i64_e32 vcc, v[16:17], v[14:15]
	s_and_saveexec_b64 s[6:7], vcc
	s_cbranch_execz .LBB129_18
; %bb.20:                               ;   in Loop: Header=BB129_19 Depth=1
	v_lshlrev_b64 v[0:1], 4, v[12:13]
	v_mov_b32_e32 v2, s27
	v_add_co_u32_e32 v0, vcc, s26, v0
	v_addc_co_u32_e32 v1, vcc, v2, v1, vcc
	global_load_dwordx4 v[0:3], v[0:1], off
	s_mov_b64 s[8:9], 0
	s_waitcnt vmcnt(0)
	v_mul_f64 v[18:19], v[2:3], -v[10:11]
	v_mul_f64 v[20:21], v[8:9], v[2:3]
	v_fmac_f64_e32 v[18:19], v[8:9], v[0:1]
	v_fmac_f64_e32 v[20:21], v[10:11], v[0:1]
	s_branch .LBB129_22
.LBB129_21:                             ;   in Loop: Header=BB129_22 Depth=2
	s_or_b64 exec, exec, s[14:15]
	v_add_co_u32_e32 v16, vcc, 16, v16
	v_addc_co_u32_e32 v17, vcc, 0, v17, vcc
	v_cmp_ge_i64_e32 vcc, v[16:17], v[14:15]
	s_or_b64 s[8:9], vcc, s[8:9]
	s_andn2_b64 exec, exec, s[8:9]
	s_cbranch_execz .LBB129_18
.LBB129_22:                             ;   Parent Loop BB129_19 Depth=1
                                        ; =>  This Loop Header: Depth=2
                                        ;       Child Loop BB129_24 Depth 3
                                        ;       Child Loop BB129_26 Depth 3
	v_lshlrev_b64 v[0:1], 3, v[16:17]
	v_mov_b32_e32 v2, s23
	v_add_co_u32_e32 v0, vcc, s22, v0
	v_addc_co_u32_e32 v1, vcc, v2, v1, vcc
	global_load_dwordx2 v[0:1], v[0:1], off
	s_waitcnt vmcnt(0)
	v_subrev_co_u32_e32 v4, vcc, s10, v0
	v_subb_co_u32_e32 v5, vcc, v1, v30, vcc
	v_cmp_ne_u64_e32 vcc, v[4:5], v[12:13]
	s_and_saveexec_b64 s[14:15], vcc
	s_cbranch_execz .LBB129_21
; %bb.23:                               ;   in Loop: Header=BB129_22 Depth=2
	v_lshlrev_b64 v[0:1], 4, v[16:17]
	v_mov_b32_e32 v2, s25
	v_add_co_u32_e32 v0, vcc, s24, v0
	v_addc_co_u32_e32 v1, vcc, v2, v1, vcc
	global_load_dwordx4 v[0:3], v[0:1], off
	v_lshlrev_b64 v[4:5], 4, v[4:5]
	v_mov_b32_e32 v6, s5
	v_add_co_u32_e32 v22, vcc, s4, v4
	v_addc_co_u32_e32 v23, vcc, v6, v5, vcc
	global_load_dwordx2 v[6:7], v[22:23], off
	s_mov_b64 s[16:17], 0
	s_waitcnt vmcnt(1)
	v_xor_b32_e32 v4, 0x80000000, v3
	v_cndmask_b32_e64 v3, v3, v4, s[0:1]
	v_mul_f64 v[24:25], v[2:3], -v[20:21]
	v_fmac_f64_e32 v[24:25], v[18:19], v[0:1]
.LBB129_24:                             ;   Parent Loop BB129_19 Depth=1
                                        ;     Parent Loop BB129_22 Depth=2
                                        ; =>    This Inner Loop Header: Depth=3
	s_waitcnt vmcnt(0)
	v_add_f64 v[4:5], v[6:7], v[24:25]
	global_atomic_cmpswap_x2 v[4:5], v[22:23], v[4:7], off glc
	s_waitcnt vmcnt(0)
	v_cmp_eq_u64_e32 vcc, v[4:5], v[6:7]
	s_or_b64 s[16:17], vcc, s[16:17]
	v_pk_mov_b32 v[6:7], v[4:5], v[4:5] op_sel:[0,1]
	s_andn2_b64 exec, exec, s[16:17]
	s_cbranch_execnz .LBB129_24
; %bb.25:                               ;   in Loop: Header=BB129_22 Depth=2
	s_or_b64 exec, exec, s[16:17]
	global_load_dwordx2 v[4:5], v[22:23], off offset:8
	v_mul_f64 v[6:7], v[18:19], v[2:3]
	v_fmac_f64_e32 v[6:7], v[20:21], v[0:1]
	s_mov_b64 s[16:17], 0
.LBB129_26:                             ;   Parent Loop BB129_19 Depth=1
                                        ;     Parent Loop BB129_22 Depth=2
                                        ; =>    This Inner Loop Header: Depth=3
	s_waitcnt vmcnt(0)
	v_add_f64 v[2:3], v[4:5], v[6:7]
	global_atomic_cmpswap_x2 v[0:1], v[22:23], v[2:5], off offset:8 glc
	s_waitcnt vmcnt(0)
	v_cmp_eq_u64_e32 vcc, v[0:1], v[4:5]
	s_or_b64 s[16:17], vcc, s[16:17]
	v_pk_mov_b32 v[4:5], v[0:1], v[0:1] op_sel:[0,1]
	s_andn2_b64 exec, exec, s[16:17]
	s_cbranch_execnz .LBB129_26
	s_branch .LBB129_21
.LBB129_27:
	s_endpgm
	.section	.rodata,"a",@progbits
	.p2align	6, 0x0
	.amdhsa_kernel _ZN9rocsparseL21csrmvt_general_kernelILj256ELj16Ell21rocsparse_complex_numIdES2_S2_S2_EEvbbT2_NS_24const_host_device_scalarIT6_EEPKT1_S9_PKS3_PKT3_PKT4_PT5_21rocsparse_index_base_b
		.amdhsa_group_segment_fixed_size 2048
		.amdhsa_private_segment_fixed_size 0
		.amdhsa_kernarg_size 344
		.amdhsa_user_sgpr_count 8
		.amdhsa_user_sgpr_private_segment_buffer 1
		.amdhsa_user_sgpr_dispatch_ptr 1
		.amdhsa_user_sgpr_queue_ptr 0
		.amdhsa_user_sgpr_kernarg_segment_ptr 1
		.amdhsa_user_sgpr_dispatch_id 0
		.amdhsa_user_sgpr_flat_scratch_init 0
		.amdhsa_user_sgpr_kernarg_preload_length 0
		.amdhsa_user_sgpr_kernarg_preload_offset 0
		.amdhsa_user_sgpr_private_segment_size 0
		.amdhsa_uses_dynamic_stack 0
		.amdhsa_system_sgpr_private_segment_wavefront_offset 0
		.amdhsa_system_sgpr_workgroup_id_x 1
		.amdhsa_system_sgpr_workgroup_id_y 0
		.amdhsa_system_sgpr_workgroup_id_z 0
		.amdhsa_system_sgpr_workgroup_info 0
		.amdhsa_system_vgpr_workitem_id 2
		.amdhsa_next_free_vgpr 34
		.amdhsa_next_free_sgpr 30
		.amdhsa_accum_offset 36
		.amdhsa_reserve_vcc 1
		.amdhsa_reserve_flat_scratch 0
		.amdhsa_float_round_mode_32 0
		.amdhsa_float_round_mode_16_64 0
		.amdhsa_float_denorm_mode_32 3
		.amdhsa_float_denorm_mode_16_64 3
		.amdhsa_dx10_clamp 1
		.amdhsa_ieee_mode 1
		.amdhsa_fp16_overflow 0
		.amdhsa_tg_split 0
		.amdhsa_exception_fp_ieee_invalid_op 0
		.amdhsa_exception_fp_denorm_src 0
		.amdhsa_exception_fp_ieee_div_zero 0
		.amdhsa_exception_fp_ieee_overflow 0
		.amdhsa_exception_fp_ieee_underflow 0
		.amdhsa_exception_fp_ieee_inexact 0
		.amdhsa_exception_int_div_zero 0
	.end_amdhsa_kernel
	.section	.text._ZN9rocsparseL21csrmvt_general_kernelILj256ELj16Ell21rocsparse_complex_numIdES2_S2_S2_EEvbbT2_NS_24const_host_device_scalarIT6_EEPKT1_S9_PKS3_PKT3_PKT4_PT5_21rocsparse_index_base_b,"axG",@progbits,_ZN9rocsparseL21csrmvt_general_kernelILj256ELj16Ell21rocsparse_complex_numIdES2_S2_S2_EEvbbT2_NS_24const_host_device_scalarIT6_EEPKT1_S9_PKS3_PKT3_PKT4_PT5_21rocsparse_index_base_b,comdat
.Lfunc_end129:
	.size	_ZN9rocsparseL21csrmvt_general_kernelILj256ELj16Ell21rocsparse_complex_numIdES2_S2_S2_EEvbbT2_NS_24const_host_device_scalarIT6_EEPKT1_S9_PKS3_PKT3_PKT4_PT5_21rocsparse_index_base_b, .Lfunc_end129-_ZN9rocsparseL21csrmvt_general_kernelILj256ELj16Ell21rocsparse_complex_numIdES2_S2_S2_EEvbbT2_NS_24const_host_device_scalarIT6_EEPKT1_S9_PKS3_PKT3_PKT4_PT5_21rocsparse_index_base_b
                                        ; -- End function
	.section	.AMDGPU.csdata,"",@progbits
; Kernel info:
; codeLenInByte = 1324
; NumSgprs: 34
; NumVgprs: 34
; NumAgprs: 0
; TotalNumVgprs: 34
; ScratchSize: 0
; MemoryBound: 0
; FloatMode: 240
; IeeeMode: 1
; LDSByteSize: 2048 bytes/workgroup (compile time only)
; SGPRBlocks: 4
; VGPRBlocks: 4
; NumSGPRsForWavesPerEU: 34
; NumVGPRsForWavesPerEU: 34
; AccumOffset: 36
; Occupancy: 8
; WaveLimiterHint : 1
; COMPUTE_PGM_RSRC2:SCRATCH_EN: 0
; COMPUTE_PGM_RSRC2:USER_SGPR: 8
; COMPUTE_PGM_RSRC2:TRAP_HANDLER: 0
; COMPUTE_PGM_RSRC2:TGID_X_EN: 1
; COMPUTE_PGM_RSRC2:TGID_Y_EN: 0
; COMPUTE_PGM_RSRC2:TGID_Z_EN: 0
; COMPUTE_PGM_RSRC2:TIDIG_COMP_CNT: 2
; COMPUTE_PGM_RSRC3_GFX90A:ACCUM_OFFSET: 8
; COMPUTE_PGM_RSRC3_GFX90A:TG_SPLIT: 0
	.section	.text._ZN9rocsparseL21csrmvt_general_kernelILj256ELj32Ell21rocsparse_complex_numIdES2_S2_S2_EEvbbT2_NS_24const_host_device_scalarIT6_EEPKT1_S9_PKS3_PKT3_PKT4_PT5_21rocsparse_index_base_b,"axG",@progbits,_ZN9rocsparseL21csrmvt_general_kernelILj256ELj32Ell21rocsparse_complex_numIdES2_S2_S2_EEvbbT2_NS_24const_host_device_scalarIT6_EEPKT1_S9_PKS3_PKT3_PKT4_PT5_21rocsparse_index_base_b,comdat
	.globl	_ZN9rocsparseL21csrmvt_general_kernelILj256ELj32Ell21rocsparse_complex_numIdES2_S2_S2_EEvbbT2_NS_24const_host_device_scalarIT6_EEPKT1_S9_PKS3_PKT3_PKT4_PT5_21rocsparse_index_base_b ; -- Begin function _ZN9rocsparseL21csrmvt_general_kernelILj256ELj32Ell21rocsparse_complex_numIdES2_S2_S2_EEvbbT2_NS_24const_host_device_scalarIT6_EEPKT1_S9_PKS3_PKT3_PKT4_PT5_21rocsparse_index_base_b
	.p2align	8
	.type	_ZN9rocsparseL21csrmvt_general_kernelILj256ELj32Ell21rocsparse_complex_numIdES2_S2_S2_EEvbbT2_NS_24const_host_device_scalarIT6_EEPKT1_S9_PKS3_PKT3_PKT4_PT5_21rocsparse_index_base_b,@function
_ZN9rocsparseL21csrmvt_general_kernelILj256ELj32Ell21rocsparse_complex_numIdES2_S2_S2_EEvbbT2_NS_24const_host_device_scalarIT6_EEPKT1_S9_PKS3_PKT3_PKT4_PT5_21rocsparse_index_base_b: ; @_ZN9rocsparseL21csrmvt_general_kernelILj256ELj32Ell21rocsparse_complex_numIdES2_S2_S2_EEvbbT2_NS_24const_host_device_scalarIT6_EEPKT1_S9_PKS3_PKT3_PKT4_PT5_21rocsparse_index_base_b
; %bb.0:
	s_load_dwordx2 s[10:11], s[6:7], 0x50
	s_load_dwordx2 s[0:1], s[4:5], 0x4
	s_load_dwordx8 s[12:19], s[6:7], 0x8
	v_and_b32_e32 v1, 0x3ff, v0
	v_bfe_u32 v3, v0, 10, 10
	s_waitcnt lgkmcnt(0)
	s_and_b32 s2, 1, s11
	s_lshr_b32 s0, s0, 16
	s_mul_i32 s0, s0, s1
	v_mul_lo_u32 v2, s0, v1
	s_cmp_eq_u32 s2, 1
	v_mad_u32_u24 v2, v3, s1, v2
	v_bfe_u32 v0, v0, 20, 10
	v_add_lshl_u32 v0, v2, v0, 3
	v_pk_mov_b32 v[2:3], s[14:15], s[14:15] op_sel:[0,1]
	s_cselect_b64 vcc, -1, 0
	ds_write_b64 v0, v[2:3]
	s_mov_b64 s[0:1], src_shared_base
	v_cndmask_b32_e32 v2, v2, v0, vcc
	s_and_b64 vcc, vcc, exec
	s_cselect_b32 s0, s1, s15
	v_mov_b32_e32 v3, s0
	flat_load_dwordx2 v[8:9], v[2:3]
	v_pk_mov_b32 v[10:11], s[16:17], s[16:17] op_sel:[0,1]
	s_cbranch_vccnz .LBB130_2
; %bb.1:
	v_pk_mov_b32 v[2:3], s[14:15], s[14:15] op_sel:[0,1]
	flat_load_dwordx2 v[10:11], v[2:3] offset:8
.LBB130_2:
	s_waitcnt vmcnt(0) lgkmcnt(0)
	v_cmp_neq_f64_e32 vcc, 0, v[8:9]
	v_cmp_neq_f64_e64 s[0:1], 0, v[10:11]
	s_or_b64 s[0:1], vcc, s[0:1]
	s_and_saveexec_b64 s[2:3], s[0:1]
	s_cbranch_execz .LBB130_27
; %bb.3:
	s_load_dword s0, s[6:7], 0x0
	s_load_dwordx2 s[4:5], s[6:7], 0x48
	s_load_dword s2, s[6:7], 0x58
	s_load_dwordx8 s[20:27], s[6:7], 0x28
	v_lshl_or_b32 v0, s8, 8, v1
	s_waitcnt lgkmcnt(0)
	s_and_b32 s3, s0, 1
	s_bitcmp1_b32 s0, 8
	s_cselect_b64 s[0:1], -1, 0
	s_lshl_b32 s11, s2, 3
	v_lshrrev_b32_e32 v12, 5, v0
	v_mov_b32_e32 v13, 0
	s_cmp_eq_u32 s3, 0
	v_and_b32_e32 v28, 31, v1
	v_cmp_gt_i64_e64 s[2:3], s[12:13], v[12:13]
	s_mov_b64 s[6:7], -1
	s_cbranch_scc0 .LBB130_15
; %bb.4:
	s_and_saveexec_b64 s[6:7], s[2:3]
	s_cbranch_execz .LBB130_14
; %bb.5:
	v_subrev_co_u32_e32 v29, vcc, s10, v28
	s_mov_b32 s14, 0
	v_subb_co_u32_e64 v30, s[8:9], 0, 0, vcc
	s_mov_b64 s[8:9], 0
	v_mov_b32_e32 v31, s19
	v_mov_b32_e32 v32, s21
	;; [unrolled: 1-line block ×3, first 2 shown]
	v_pk_mov_b32 v[14:15], v[12:13], v[12:13] op_sel:[0,1]
	s_branch .LBB130_7
.LBB130_6:                              ;   in Loop: Header=BB130_7 Depth=1
	s_or_b64 exec, exec, s[14:15]
	v_add_co_u32_e32 v14, vcc, s11, v14
	v_addc_co_u32_e32 v15, vcc, 0, v15, vcc
	v_cmp_le_i64_e32 vcc, s[12:13], v[14:15]
	s_or_b64 s[8:9], vcc, s[8:9]
	s_andn2_b64 exec, exec, s[8:9]
	s_cbranch_execz .LBB130_14
.LBB130_7:                              ; =>This Loop Header: Depth=1
                                        ;     Child Loop BB130_9 Depth 2
                                        ;       Child Loop BB130_10 Depth 3
                                        ;       Child Loop BB130_12 Depth 3
	v_lshlrev_b64 v[0:1], 3, v[14:15]
	v_add_co_u32_e32 v2, vcc, s20, v0
	v_addc_co_u32_e32 v3, vcc, v32, v1, vcc
	global_load_dwordx2 v[2:3], v[2:3], off
	v_add_co_u32_e32 v0, vcc, s18, v0
	v_addc_co_u32_e32 v1, vcc, v31, v1, vcc
	global_load_dwordx2 v[0:1], v[0:1], off
	s_waitcnt vmcnt(1)
	v_subrev_co_u32_e32 v16, vcc, s10, v2
	v_subb_co_u32_e32 v17, vcc, v3, v33, vcc
	s_waitcnt vmcnt(0)
	v_add_co_u32_e32 v18, vcc, v0, v29
	v_addc_co_u32_e32 v19, vcc, v1, v30, vcc
	v_cmp_lt_i64_e32 vcc, v[18:19], v[16:17]
	s_and_saveexec_b64 s[14:15], vcc
	s_cbranch_execz .LBB130_6
; %bb.8:                                ;   in Loop: Header=BB130_7 Depth=1
	v_lshlrev_b64 v[0:1], 4, v[14:15]
	v_mov_b32_e32 v2, s27
	v_add_co_u32_e32 v0, vcc, s26, v0
	v_addc_co_u32_e32 v1, vcc, v2, v1, vcc
	global_load_dwordx4 v[0:3], v[0:1], off
	s_mov_b64 s[16:17], 0
	s_waitcnt vmcnt(0)
	v_mul_f64 v[20:21], v[2:3], -v[10:11]
	v_mul_f64 v[22:23], v[8:9], v[2:3]
	v_fmac_f64_e32 v[20:21], v[8:9], v[0:1]
	v_fmac_f64_e32 v[22:23], v[10:11], v[0:1]
.LBB130_9:                              ;   Parent Loop BB130_7 Depth=1
                                        ; =>  This Loop Header: Depth=2
                                        ;       Child Loop BB130_10 Depth 3
                                        ;       Child Loop BB130_12 Depth 3
	v_lshlrev_b64 v[0:1], 3, v[18:19]
	v_mov_b32_e32 v2, s23
	v_add_co_u32_e32 v0, vcc, s22, v0
	v_addc_co_u32_e32 v1, vcc, v2, v1, vcc
	global_load_dwordx2 v[4:5], v[0:1], off
	v_lshlrev_b64 v[0:1], 4, v[18:19]
	v_mov_b32_e32 v2, s25
	v_add_co_u32_e32 v0, vcc, s24, v0
	v_addc_co_u32_e32 v1, vcc, v2, v1, vcc
	global_load_dwordx4 v[0:3], v[0:1], off
	v_mov_b32_e32 v6, s5
	s_mov_b64 s[28:29], 0
	s_waitcnt vmcnt(1)
	v_subrev_co_u32_e32 v4, vcc, s10, v4
	v_subb_co_u32_e32 v5, vcc, v5, v33, vcc
	v_lshlrev_b64 v[4:5], 4, v[4:5]
	v_add_co_u32_e32 v24, vcc, s4, v4
	v_addc_co_u32_e32 v25, vcc, v6, v5, vcc
	global_load_dwordx2 v[6:7], v[24:25], off
	s_waitcnt vmcnt(1)
	v_xor_b32_e32 v4, 0x80000000, v3
	v_cndmask_b32_e64 v3, v3, v4, s[0:1]
	v_mul_f64 v[26:27], v[2:3], -v[22:23]
	v_fmac_f64_e32 v[26:27], v[20:21], v[0:1]
.LBB130_10:                             ;   Parent Loop BB130_7 Depth=1
                                        ;     Parent Loop BB130_9 Depth=2
                                        ; =>    This Inner Loop Header: Depth=3
	s_waitcnt vmcnt(0)
	v_add_f64 v[4:5], v[6:7], v[26:27]
	global_atomic_cmpswap_x2 v[4:5], v[24:25], v[4:7], off glc
	s_waitcnt vmcnt(0)
	v_cmp_eq_u64_e32 vcc, v[4:5], v[6:7]
	s_or_b64 s[28:29], vcc, s[28:29]
	v_pk_mov_b32 v[6:7], v[4:5], v[4:5] op_sel:[0,1]
	s_andn2_b64 exec, exec, s[28:29]
	s_cbranch_execnz .LBB130_10
; %bb.11:                               ;   in Loop: Header=BB130_9 Depth=2
	s_or_b64 exec, exec, s[28:29]
	global_load_dwordx2 v[4:5], v[24:25], off offset:8
	v_mul_f64 v[6:7], v[20:21], v[2:3]
	v_fmac_f64_e32 v[6:7], v[22:23], v[0:1]
	s_mov_b64 s[28:29], 0
.LBB130_12:                             ;   Parent Loop BB130_7 Depth=1
                                        ;     Parent Loop BB130_9 Depth=2
                                        ; =>    This Inner Loop Header: Depth=3
	s_waitcnt vmcnt(0)
	v_add_f64 v[2:3], v[4:5], v[6:7]
	global_atomic_cmpswap_x2 v[0:1], v[24:25], v[2:5], off offset:8 glc
	s_waitcnt vmcnt(0)
	v_cmp_eq_u64_e32 vcc, v[0:1], v[4:5]
	s_or_b64 s[28:29], vcc, s[28:29]
	v_pk_mov_b32 v[4:5], v[0:1], v[0:1] op_sel:[0,1]
	s_andn2_b64 exec, exec, s[28:29]
	s_cbranch_execnz .LBB130_12
; %bb.13:                               ;   in Loop: Header=BB130_9 Depth=2
	s_or_b64 exec, exec, s[28:29]
	v_add_co_u32_e32 v18, vcc, 32, v18
	v_addc_co_u32_e32 v19, vcc, 0, v19, vcc
	v_cmp_ge_i64_e32 vcc, v[18:19], v[16:17]
	s_or_b64 s[16:17], vcc, s[16:17]
	s_andn2_b64 exec, exec, s[16:17]
	s_cbranch_execnz .LBB130_9
	s_branch .LBB130_6
.LBB130_14:
	s_or_b64 exec, exec, s[6:7]
	s_mov_b64 s[6:7], 0
.LBB130_15:
	s_andn2_b64 vcc, exec, s[6:7]
	s_cbranch_vccnz .LBB130_27
; %bb.16:
	s_and_b64 exec, exec, s[2:3]
	s_cbranch_execz .LBB130_27
; %bb.17:
	v_subrev_co_u32_e32 v26, vcc, s10, v28
	s_mov_b32 s6, 0
	v_subb_co_u32_e64 v27, s[2:3], 0, 0, vcc
	s_mov_b64 s[2:3], 0
	v_mov_b32_e32 v28, s19
	v_mov_b32_e32 v29, s21
	;; [unrolled: 1-line block ×3, first 2 shown]
	s_branch .LBB130_19
.LBB130_18:                             ;   in Loop: Header=BB130_19 Depth=1
	s_or_b64 exec, exec, s[6:7]
	v_add_co_u32_e32 v12, vcc, s11, v12
	v_addc_co_u32_e32 v13, vcc, 0, v13, vcc
	v_cmp_le_i64_e32 vcc, s[12:13], v[12:13]
	s_or_b64 s[2:3], vcc, s[2:3]
	s_andn2_b64 exec, exec, s[2:3]
	s_cbranch_execz .LBB130_27
.LBB130_19:                             ; =>This Loop Header: Depth=1
                                        ;     Child Loop BB130_22 Depth 2
                                        ;       Child Loop BB130_24 Depth 3
                                        ;       Child Loop BB130_26 Depth 3
	v_lshlrev_b64 v[0:1], 3, v[12:13]
	v_add_co_u32_e32 v2, vcc, s20, v0
	v_addc_co_u32_e32 v3, vcc, v29, v1, vcc
	global_load_dwordx2 v[2:3], v[2:3], off
	v_add_co_u32_e32 v0, vcc, s18, v0
	v_addc_co_u32_e32 v1, vcc, v28, v1, vcc
	global_load_dwordx2 v[0:1], v[0:1], off
	s_waitcnt vmcnt(1)
	v_subrev_co_u32_e32 v14, vcc, s10, v2
	v_subb_co_u32_e32 v15, vcc, v3, v30, vcc
	s_waitcnt vmcnt(0)
	v_add_co_u32_e32 v16, vcc, v0, v26
	v_addc_co_u32_e32 v17, vcc, v1, v27, vcc
	v_cmp_lt_i64_e32 vcc, v[16:17], v[14:15]
	s_and_saveexec_b64 s[6:7], vcc
	s_cbranch_execz .LBB130_18
; %bb.20:                               ;   in Loop: Header=BB130_19 Depth=1
	v_lshlrev_b64 v[0:1], 4, v[12:13]
	v_mov_b32_e32 v2, s27
	v_add_co_u32_e32 v0, vcc, s26, v0
	v_addc_co_u32_e32 v1, vcc, v2, v1, vcc
	global_load_dwordx4 v[0:3], v[0:1], off
	s_mov_b64 s[8:9], 0
	s_waitcnt vmcnt(0)
	v_mul_f64 v[18:19], v[2:3], -v[10:11]
	v_mul_f64 v[20:21], v[8:9], v[2:3]
	v_fmac_f64_e32 v[18:19], v[8:9], v[0:1]
	v_fmac_f64_e32 v[20:21], v[10:11], v[0:1]
	s_branch .LBB130_22
.LBB130_21:                             ;   in Loop: Header=BB130_22 Depth=2
	s_or_b64 exec, exec, s[14:15]
	v_add_co_u32_e32 v16, vcc, 32, v16
	v_addc_co_u32_e32 v17, vcc, 0, v17, vcc
	v_cmp_ge_i64_e32 vcc, v[16:17], v[14:15]
	s_or_b64 s[8:9], vcc, s[8:9]
	s_andn2_b64 exec, exec, s[8:9]
	s_cbranch_execz .LBB130_18
.LBB130_22:                             ;   Parent Loop BB130_19 Depth=1
                                        ; =>  This Loop Header: Depth=2
                                        ;       Child Loop BB130_24 Depth 3
                                        ;       Child Loop BB130_26 Depth 3
	v_lshlrev_b64 v[0:1], 3, v[16:17]
	v_mov_b32_e32 v2, s23
	v_add_co_u32_e32 v0, vcc, s22, v0
	v_addc_co_u32_e32 v1, vcc, v2, v1, vcc
	global_load_dwordx2 v[0:1], v[0:1], off
	s_waitcnt vmcnt(0)
	v_subrev_co_u32_e32 v4, vcc, s10, v0
	v_subb_co_u32_e32 v5, vcc, v1, v30, vcc
	v_cmp_ne_u64_e32 vcc, v[4:5], v[12:13]
	s_and_saveexec_b64 s[14:15], vcc
	s_cbranch_execz .LBB130_21
; %bb.23:                               ;   in Loop: Header=BB130_22 Depth=2
	v_lshlrev_b64 v[0:1], 4, v[16:17]
	v_mov_b32_e32 v2, s25
	v_add_co_u32_e32 v0, vcc, s24, v0
	v_addc_co_u32_e32 v1, vcc, v2, v1, vcc
	global_load_dwordx4 v[0:3], v[0:1], off
	v_lshlrev_b64 v[4:5], 4, v[4:5]
	v_mov_b32_e32 v6, s5
	v_add_co_u32_e32 v22, vcc, s4, v4
	v_addc_co_u32_e32 v23, vcc, v6, v5, vcc
	global_load_dwordx2 v[6:7], v[22:23], off
	s_mov_b64 s[16:17], 0
	s_waitcnt vmcnt(1)
	v_xor_b32_e32 v4, 0x80000000, v3
	v_cndmask_b32_e64 v3, v3, v4, s[0:1]
	v_mul_f64 v[24:25], v[2:3], -v[20:21]
	v_fmac_f64_e32 v[24:25], v[18:19], v[0:1]
.LBB130_24:                             ;   Parent Loop BB130_19 Depth=1
                                        ;     Parent Loop BB130_22 Depth=2
                                        ; =>    This Inner Loop Header: Depth=3
	s_waitcnt vmcnt(0)
	v_add_f64 v[4:5], v[6:7], v[24:25]
	global_atomic_cmpswap_x2 v[4:5], v[22:23], v[4:7], off glc
	s_waitcnt vmcnt(0)
	v_cmp_eq_u64_e32 vcc, v[4:5], v[6:7]
	s_or_b64 s[16:17], vcc, s[16:17]
	v_pk_mov_b32 v[6:7], v[4:5], v[4:5] op_sel:[0,1]
	s_andn2_b64 exec, exec, s[16:17]
	s_cbranch_execnz .LBB130_24
; %bb.25:                               ;   in Loop: Header=BB130_22 Depth=2
	s_or_b64 exec, exec, s[16:17]
	global_load_dwordx2 v[4:5], v[22:23], off offset:8
	v_mul_f64 v[6:7], v[18:19], v[2:3]
	v_fmac_f64_e32 v[6:7], v[20:21], v[0:1]
	s_mov_b64 s[16:17], 0
.LBB130_26:                             ;   Parent Loop BB130_19 Depth=1
                                        ;     Parent Loop BB130_22 Depth=2
                                        ; =>    This Inner Loop Header: Depth=3
	s_waitcnt vmcnt(0)
	v_add_f64 v[2:3], v[4:5], v[6:7]
	global_atomic_cmpswap_x2 v[0:1], v[22:23], v[2:5], off offset:8 glc
	s_waitcnt vmcnt(0)
	v_cmp_eq_u64_e32 vcc, v[0:1], v[4:5]
	s_or_b64 s[16:17], vcc, s[16:17]
	v_pk_mov_b32 v[4:5], v[0:1], v[0:1] op_sel:[0,1]
	s_andn2_b64 exec, exec, s[16:17]
	s_cbranch_execnz .LBB130_26
	s_branch .LBB130_21
.LBB130_27:
	s_endpgm
	.section	.rodata,"a",@progbits
	.p2align	6, 0x0
	.amdhsa_kernel _ZN9rocsparseL21csrmvt_general_kernelILj256ELj32Ell21rocsparse_complex_numIdES2_S2_S2_EEvbbT2_NS_24const_host_device_scalarIT6_EEPKT1_S9_PKS3_PKT3_PKT4_PT5_21rocsparse_index_base_b
		.amdhsa_group_segment_fixed_size 2048
		.amdhsa_private_segment_fixed_size 0
		.amdhsa_kernarg_size 344
		.amdhsa_user_sgpr_count 8
		.amdhsa_user_sgpr_private_segment_buffer 1
		.amdhsa_user_sgpr_dispatch_ptr 1
		.amdhsa_user_sgpr_queue_ptr 0
		.amdhsa_user_sgpr_kernarg_segment_ptr 1
		.amdhsa_user_sgpr_dispatch_id 0
		.amdhsa_user_sgpr_flat_scratch_init 0
		.amdhsa_user_sgpr_kernarg_preload_length 0
		.amdhsa_user_sgpr_kernarg_preload_offset 0
		.amdhsa_user_sgpr_private_segment_size 0
		.amdhsa_uses_dynamic_stack 0
		.amdhsa_system_sgpr_private_segment_wavefront_offset 0
		.amdhsa_system_sgpr_workgroup_id_x 1
		.amdhsa_system_sgpr_workgroup_id_y 0
		.amdhsa_system_sgpr_workgroup_id_z 0
		.amdhsa_system_sgpr_workgroup_info 0
		.amdhsa_system_vgpr_workitem_id 2
		.amdhsa_next_free_vgpr 34
		.amdhsa_next_free_sgpr 30
		.amdhsa_accum_offset 36
		.amdhsa_reserve_vcc 1
		.amdhsa_reserve_flat_scratch 0
		.amdhsa_float_round_mode_32 0
		.amdhsa_float_round_mode_16_64 0
		.amdhsa_float_denorm_mode_32 3
		.amdhsa_float_denorm_mode_16_64 3
		.amdhsa_dx10_clamp 1
		.amdhsa_ieee_mode 1
		.amdhsa_fp16_overflow 0
		.amdhsa_tg_split 0
		.amdhsa_exception_fp_ieee_invalid_op 0
		.amdhsa_exception_fp_denorm_src 0
		.amdhsa_exception_fp_ieee_div_zero 0
		.amdhsa_exception_fp_ieee_overflow 0
		.amdhsa_exception_fp_ieee_underflow 0
		.amdhsa_exception_fp_ieee_inexact 0
		.amdhsa_exception_int_div_zero 0
	.end_amdhsa_kernel
	.section	.text._ZN9rocsparseL21csrmvt_general_kernelILj256ELj32Ell21rocsparse_complex_numIdES2_S2_S2_EEvbbT2_NS_24const_host_device_scalarIT6_EEPKT1_S9_PKS3_PKT3_PKT4_PT5_21rocsparse_index_base_b,"axG",@progbits,_ZN9rocsparseL21csrmvt_general_kernelILj256ELj32Ell21rocsparse_complex_numIdES2_S2_S2_EEvbbT2_NS_24const_host_device_scalarIT6_EEPKT1_S9_PKS3_PKT3_PKT4_PT5_21rocsparse_index_base_b,comdat
.Lfunc_end130:
	.size	_ZN9rocsparseL21csrmvt_general_kernelILj256ELj32Ell21rocsparse_complex_numIdES2_S2_S2_EEvbbT2_NS_24const_host_device_scalarIT6_EEPKT1_S9_PKS3_PKT3_PKT4_PT5_21rocsparse_index_base_b, .Lfunc_end130-_ZN9rocsparseL21csrmvt_general_kernelILj256ELj32Ell21rocsparse_complex_numIdES2_S2_S2_EEvbbT2_NS_24const_host_device_scalarIT6_EEPKT1_S9_PKS3_PKT3_PKT4_PT5_21rocsparse_index_base_b
                                        ; -- End function
	.section	.AMDGPU.csdata,"",@progbits
; Kernel info:
; codeLenInByte = 1324
; NumSgprs: 34
; NumVgprs: 34
; NumAgprs: 0
; TotalNumVgprs: 34
; ScratchSize: 0
; MemoryBound: 0
; FloatMode: 240
; IeeeMode: 1
; LDSByteSize: 2048 bytes/workgroup (compile time only)
; SGPRBlocks: 4
; VGPRBlocks: 4
; NumSGPRsForWavesPerEU: 34
; NumVGPRsForWavesPerEU: 34
; AccumOffset: 36
; Occupancy: 8
; WaveLimiterHint : 1
; COMPUTE_PGM_RSRC2:SCRATCH_EN: 0
; COMPUTE_PGM_RSRC2:USER_SGPR: 8
; COMPUTE_PGM_RSRC2:TRAP_HANDLER: 0
; COMPUTE_PGM_RSRC2:TGID_X_EN: 1
; COMPUTE_PGM_RSRC2:TGID_Y_EN: 0
; COMPUTE_PGM_RSRC2:TGID_Z_EN: 0
; COMPUTE_PGM_RSRC2:TIDIG_COMP_CNT: 2
; COMPUTE_PGM_RSRC3_GFX90A:ACCUM_OFFSET: 8
; COMPUTE_PGM_RSRC3_GFX90A:TG_SPLIT: 0
	.section	.text._ZN9rocsparseL21csrmvt_general_kernelILj256ELj64Ell21rocsparse_complex_numIdES2_S2_S2_EEvbbT2_NS_24const_host_device_scalarIT6_EEPKT1_S9_PKS3_PKT3_PKT4_PT5_21rocsparse_index_base_b,"axG",@progbits,_ZN9rocsparseL21csrmvt_general_kernelILj256ELj64Ell21rocsparse_complex_numIdES2_S2_S2_EEvbbT2_NS_24const_host_device_scalarIT6_EEPKT1_S9_PKS3_PKT3_PKT4_PT5_21rocsparse_index_base_b,comdat
	.globl	_ZN9rocsparseL21csrmvt_general_kernelILj256ELj64Ell21rocsparse_complex_numIdES2_S2_S2_EEvbbT2_NS_24const_host_device_scalarIT6_EEPKT1_S9_PKS3_PKT3_PKT4_PT5_21rocsparse_index_base_b ; -- Begin function _ZN9rocsparseL21csrmvt_general_kernelILj256ELj64Ell21rocsparse_complex_numIdES2_S2_S2_EEvbbT2_NS_24const_host_device_scalarIT6_EEPKT1_S9_PKS3_PKT3_PKT4_PT5_21rocsparse_index_base_b
	.p2align	8
	.type	_ZN9rocsparseL21csrmvt_general_kernelILj256ELj64Ell21rocsparse_complex_numIdES2_S2_S2_EEvbbT2_NS_24const_host_device_scalarIT6_EEPKT1_S9_PKS3_PKT3_PKT4_PT5_21rocsparse_index_base_b,@function
_ZN9rocsparseL21csrmvt_general_kernelILj256ELj64Ell21rocsparse_complex_numIdES2_S2_S2_EEvbbT2_NS_24const_host_device_scalarIT6_EEPKT1_S9_PKS3_PKT3_PKT4_PT5_21rocsparse_index_base_b: ; @_ZN9rocsparseL21csrmvt_general_kernelILj256ELj64Ell21rocsparse_complex_numIdES2_S2_S2_EEvbbT2_NS_24const_host_device_scalarIT6_EEPKT1_S9_PKS3_PKT3_PKT4_PT5_21rocsparse_index_base_b
; %bb.0:
	s_load_dwordx2 s[10:11], s[6:7], 0x50
	s_load_dwordx2 s[0:1], s[4:5], 0x4
	s_load_dwordx8 s[12:19], s[6:7], 0x8
	v_and_b32_e32 v1, 0x3ff, v0
	v_bfe_u32 v3, v0, 10, 10
	s_waitcnt lgkmcnt(0)
	s_and_b32 s2, 1, s11
	s_lshr_b32 s0, s0, 16
	s_mul_i32 s0, s0, s1
	v_mul_lo_u32 v2, s0, v1
	s_cmp_eq_u32 s2, 1
	v_mad_u32_u24 v2, v3, s1, v2
	v_bfe_u32 v0, v0, 20, 10
	v_add_lshl_u32 v0, v2, v0, 3
	v_pk_mov_b32 v[2:3], s[14:15], s[14:15] op_sel:[0,1]
	s_cselect_b64 vcc, -1, 0
	ds_write_b64 v0, v[2:3]
	s_mov_b64 s[0:1], src_shared_base
	v_cndmask_b32_e32 v2, v2, v0, vcc
	s_and_b64 vcc, vcc, exec
	s_cselect_b32 s0, s1, s15
	v_mov_b32_e32 v3, s0
	flat_load_dwordx2 v[8:9], v[2:3]
	v_pk_mov_b32 v[10:11], s[16:17], s[16:17] op_sel:[0,1]
	s_cbranch_vccnz .LBB131_2
; %bb.1:
	v_pk_mov_b32 v[2:3], s[14:15], s[14:15] op_sel:[0,1]
	flat_load_dwordx2 v[10:11], v[2:3] offset:8
.LBB131_2:
	s_waitcnt vmcnt(0) lgkmcnt(0)
	v_cmp_neq_f64_e32 vcc, 0, v[8:9]
	v_cmp_neq_f64_e64 s[0:1], 0, v[10:11]
	s_or_b64 s[0:1], vcc, s[0:1]
	s_and_saveexec_b64 s[2:3], s[0:1]
	s_cbranch_execz .LBB131_27
; %bb.3:
	s_load_dword s0, s[6:7], 0x0
	s_load_dwordx2 s[4:5], s[6:7], 0x48
	s_load_dword s2, s[6:7], 0x58
	s_load_dwordx8 s[20:27], s[6:7], 0x28
	v_lshl_or_b32 v0, s8, 8, v1
	s_waitcnt lgkmcnt(0)
	s_and_b32 s3, s0, 1
	s_bitcmp1_b32 s0, 8
	s_cselect_b64 s[0:1], -1, 0
	s_lshl_b32 s11, s2, 2
	v_lshrrev_b32_e32 v12, 6, v0
	v_mov_b32_e32 v13, 0
	s_cmp_eq_u32 s3, 0
	v_and_b32_e32 v28, 63, v1
	v_cmp_gt_i64_e64 s[2:3], s[12:13], v[12:13]
	s_mov_b64 s[6:7], -1
	s_cbranch_scc0 .LBB131_15
; %bb.4:
	s_and_saveexec_b64 s[6:7], s[2:3]
	s_cbranch_execz .LBB131_14
; %bb.5:
	v_subrev_co_u32_e32 v29, vcc, s10, v28
	s_mov_b32 s14, 0
	v_subb_co_u32_e64 v30, s[8:9], 0, 0, vcc
	s_mov_b64 s[8:9], 0
	v_mov_b32_e32 v31, s19
	v_mov_b32_e32 v32, s21
	;; [unrolled: 1-line block ×3, first 2 shown]
	v_pk_mov_b32 v[14:15], v[12:13], v[12:13] op_sel:[0,1]
	s_branch .LBB131_7
.LBB131_6:                              ;   in Loop: Header=BB131_7 Depth=1
	s_or_b64 exec, exec, s[14:15]
	v_add_co_u32_e32 v14, vcc, s11, v14
	v_addc_co_u32_e32 v15, vcc, 0, v15, vcc
	v_cmp_le_i64_e32 vcc, s[12:13], v[14:15]
	s_or_b64 s[8:9], vcc, s[8:9]
	s_andn2_b64 exec, exec, s[8:9]
	s_cbranch_execz .LBB131_14
.LBB131_7:                              ; =>This Loop Header: Depth=1
                                        ;     Child Loop BB131_9 Depth 2
                                        ;       Child Loop BB131_10 Depth 3
                                        ;       Child Loop BB131_12 Depth 3
	v_lshlrev_b64 v[0:1], 3, v[14:15]
	v_add_co_u32_e32 v2, vcc, s20, v0
	v_addc_co_u32_e32 v3, vcc, v32, v1, vcc
	global_load_dwordx2 v[2:3], v[2:3], off
	v_add_co_u32_e32 v0, vcc, s18, v0
	v_addc_co_u32_e32 v1, vcc, v31, v1, vcc
	global_load_dwordx2 v[0:1], v[0:1], off
	s_waitcnt vmcnt(1)
	v_subrev_co_u32_e32 v16, vcc, s10, v2
	v_subb_co_u32_e32 v17, vcc, v3, v33, vcc
	s_waitcnt vmcnt(0)
	v_add_co_u32_e32 v18, vcc, v0, v29
	v_addc_co_u32_e32 v19, vcc, v1, v30, vcc
	v_cmp_lt_i64_e32 vcc, v[18:19], v[16:17]
	s_and_saveexec_b64 s[14:15], vcc
	s_cbranch_execz .LBB131_6
; %bb.8:                                ;   in Loop: Header=BB131_7 Depth=1
	v_lshlrev_b64 v[0:1], 4, v[14:15]
	v_mov_b32_e32 v2, s27
	v_add_co_u32_e32 v0, vcc, s26, v0
	v_addc_co_u32_e32 v1, vcc, v2, v1, vcc
	global_load_dwordx4 v[0:3], v[0:1], off
	s_mov_b64 s[16:17], 0
	s_waitcnt vmcnt(0)
	v_mul_f64 v[20:21], v[2:3], -v[10:11]
	v_mul_f64 v[22:23], v[8:9], v[2:3]
	v_fmac_f64_e32 v[20:21], v[8:9], v[0:1]
	v_fmac_f64_e32 v[22:23], v[10:11], v[0:1]
.LBB131_9:                              ;   Parent Loop BB131_7 Depth=1
                                        ; =>  This Loop Header: Depth=2
                                        ;       Child Loop BB131_10 Depth 3
                                        ;       Child Loop BB131_12 Depth 3
	v_lshlrev_b64 v[0:1], 3, v[18:19]
	v_mov_b32_e32 v2, s23
	v_add_co_u32_e32 v0, vcc, s22, v0
	v_addc_co_u32_e32 v1, vcc, v2, v1, vcc
	global_load_dwordx2 v[4:5], v[0:1], off
	v_lshlrev_b64 v[0:1], 4, v[18:19]
	v_mov_b32_e32 v2, s25
	v_add_co_u32_e32 v0, vcc, s24, v0
	v_addc_co_u32_e32 v1, vcc, v2, v1, vcc
	global_load_dwordx4 v[0:3], v[0:1], off
	v_mov_b32_e32 v6, s5
	s_mov_b64 s[28:29], 0
	s_waitcnt vmcnt(1)
	v_subrev_co_u32_e32 v4, vcc, s10, v4
	v_subb_co_u32_e32 v5, vcc, v5, v33, vcc
	v_lshlrev_b64 v[4:5], 4, v[4:5]
	v_add_co_u32_e32 v24, vcc, s4, v4
	v_addc_co_u32_e32 v25, vcc, v6, v5, vcc
	global_load_dwordx2 v[6:7], v[24:25], off
	s_waitcnt vmcnt(1)
	v_xor_b32_e32 v4, 0x80000000, v3
	v_cndmask_b32_e64 v3, v3, v4, s[0:1]
	v_mul_f64 v[26:27], v[2:3], -v[22:23]
	v_fmac_f64_e32 v[26:27], v[20:21], v[0:1]
.LBB131_10:                             ;   Parent Loop BB131_7 Depth=1
                                        ;     Parent Loop BB131_9 Depth=2
                                        ; =>    This Inner Loop Header: Depth=3
	s_waitcnt vmcnt(0)
	v_add_f64 v[4:5], v[6:7], v[26:27]
	global_atomic_cmpswap_x2 v[4:5], v[24:25], v[4:7], off glc
	s_waitcnt vmcnt(0)
	v_cmp_eq_u64_e32 vcc, v[4:5], v[6:7]
	s_or_b64 s[28:29], vcc, s[28:29]
	v_pk_mov_b32 v[6:7], v[4:5], v[4:5] op_sel:[0,1]
	s_andn2_b64 exec, exec, s[28:29]
	s_cbranch_execnz .LBB131_10
; %bb.11:                               ;   in Loop: Header=BB131_9 Depth=2
	s_or_b64 exec, exec, s[28:29]
	global_load_dwordx2 v[4:5], v[24:25], off offset:8
	v_mul_f64 v[6:7], v[20:21], v[2:3]
	v_fmac_f64_e32 v[6:7], v[22:23], v[0:1]
	s_mov_b64 s[28:29], 0
.LBB131_12:                             ;   Parent Loop BB131_7 Depth=1
                                        ;     Parent Loop BB131_9 Depth=2
                                        ; =>    This Inner Loop Header: Depth=3
	s_waitcnt vmcnt(0)
	v_add_f64 v[2:3], v[4:5], v[6:7]
	global_atomic_cmpswap_x2 v[0:1], v[24:25], v[2:5], off offset:8 glc
	s_waitcnt vmcnt(0)
	v_cmp_eq_u64_e32 vcc, v[0:1], v[4:5]
	s_or_b64 s[28:29], vcc, s[28:29]
	v_pk_mov_b32 v[4:5], v[0:1], v[0:1] op_sel:[0,1]
	s_andn2_b64 exec, exec, s[28:29]
	s_cbranch_execnz .LBB131_12
; %bb.13:                               ;   in Loop: Header=BB131_9 Depth=2
	s_or_b64 exec, exec, s[28:29]
	v_add_co_u32_e32 v18, vcc, 64, v18
	v_addc_co_u32_e32 v19, vcc, 0, v19, vcc
	v_cmp_ge_i64_e32 vcc, v[18:19], v[16:17]
	s_or_b64 s[16:17], vcc, s[16:17]
	s_andn2_b64 exec, exec, s[16:17]
	s_cbranch_execnz .LBB131_9
	s_branch .LBB131_6
.LBB131_14:
	s_or_b64 exec, exec, s[6:7]
	s_mov_b64 s[6:7], 0
.LBB131_15:
	s_andn2_b64 vcc, exec, s[6:7]
	s_cbranch_vccnz .LBB131_27
; %bb.16:
	s_and_b64 exec, exec, s[2:3]
	s_cbranch_execz .LBB131_27
; %bb.17:
	v_subrev_co_u32_e32 v26, vcc, s10, v28
	s_mov_b32 s6, 0
	v_subb_co_u32_e64 v27, s[2:3], 0, 0, vcc
	s_mov_b64 s[2:3], 0
	v_mov_b32_e32 v28, s19
	v_mov_b32_e32 v29, s21
	;; [unrolled: 1-line block ×3, first 2 shown]
	s_branch .LBB131_19
.LBB131_18:                             ;   in Loop: Header=BB131_19 Depth=1
	s_or_b64 exec, exec, s[6:7]
	v_add_co_u32_e32 v12, vcc, s11, v12
	v_addc_co_u32_e32 v13, vcc, 0, v13, vcc
	v_cmp_le_i64_e32 vcc, s[12:13], v[12:13]
	s_or_b64 s[2:3], vcc, s[2:3]
	s_andn2_b64 exec, exec, s[2:3]
	s_cbranch_execz .LBB131_27
.LBB131_19:                             ; =>This Loop Header: Depth=1
                                        ;     Child Loop BB131_22 Depth 2
                                        ;       Child Loop BB131_24 Depth 3
                                        ;       Child Loop BB131_26 Depth 3
	v_lshlrev_b64 v[0:1], 3, v[12:13]
	v_add_co_u32_e32 v2, vcc, s20, v0
	v_addc_co_u32_e32 v3, vcc, v29, v1, vcc
	global_load_dwordx2 v[2:3], v[2:3], off
	v_add_co_u32_e32 v0, vcc, s18, v0
	v_addc_co_u32_e32 v1, vcc, v28, v1, vcc
	global_load_dwordx2 v[0:1], v[0:1], off
	s_waitcnt vmcnt(1)
	v_subrev_co_u32_e32 v14, vcc, s10, v2
	v_subb_co_u32_e32 v15, vcc, v3, v30, vcc
	s_waitcnt vmcnt(0)
	v_add_co_u32_e32 v16, vcc, v0, v26
	v_addc_co_u32_e32 v17, vcc, v1, v27, vcc
	v_cmp_lt_i64_e32 vcc, v[16:17], v[14:15]
	s_and_saveexec_b64 s[6:7], vcc
	s_cbranch_execz .LBB131_18
; %bb.20:                               ;   in Loop: Header=BB131_19 Depth=1
	v_lshlrev_b64 v[0:1], 4, v[12:13]
	v_mov_b32_e32 v2, s27
	v_add_co_u32_e32 v0, vcc, s26, v0
	v_addc_co_u32_e32 v1, vcc, v2, v1, vcc
	global_load_dwordx4 v[0:3], v[0:1], off
	s_mov_b64 s[8:9], 0
	s_waitcnt vmcnt(0)
	v_mul_f64 v[18:19], v[2:3], -v[10:11]
	v_mul_f64 v[20:21], v[8:9], v[2:3]
	v_fmac_f64_e32 v[18:19], v[8:9], v[0:1]
	v_fmac_f64_e32 v[20:21], v[10:11], v[0:1]
	s_branch .LBB131_22
.LBB131_21:                             ;   in Loop: Header=BB131_22 Depth=2
	s_or_b64 exec, exec, s[14:15]
	v_add_co_u32_e32 v16, vcc, 64, v16
	v_addc_co_u32_e32 v17, vcc, 0, v17, vcc
	v_cmp_ge_i64_e32 vcc, v[16:17], v[14:15]
	s_or_b64 s[8:9], vcc, s[8:9]
	s_andn2_b64 exec, exec, s[8:9]
	s_cbranch_execz .LBB131_18
.LBB131_22:                             ;   Parent Loop BB131_19 Depth=1
                                        ; =>  This Loop Header: Depth=2
                                        ;       Child Loop BB131_24 Depth 3
                                        ;       Child Loop BB131_26 Depth 3
	v_lshlrev_b64 v[0:1], 3, v[16:17]
	v_mov_b32_e32 v2, s23
	v_add_co_u32_e32 v0, vcc, s22, v0
	v_addc_co_u32_e32 v1, vcc, v2, v1, vcc
	global_load_dwordx2 v[0:1], v[0:1], off
	s_waitcnt vmcnt(0)
	v_subrev_co_u32_e32 v4, vcc, s10, v0
	v_subb_co_u32_e32 v5, vcc, v1, v30, vcc
	v_cmp_ne_u64_e32 vcc, v[4:5], v[12:13]
	s_and_saveexec_b64 s[14:15], vcc
	s_cbranch_execz .LBB131_21
; %bb.23:                               ;   in Loop: Header=BB131_22 Depth=2
	v_lshlrev_b64 v[0:1], 4, v[16:17]
	v_mov_b32_e32 v2, s25
	v_add_co_u32_e32 v0, vcc, s24, v0
	v_addc_co_u32_e32 v1, vcc, v2, v1, vcc
	global_load_dwordx4 v[0:3], v[0:1], off
	v_lshlrev_b64 v[4:5], 4, v[4:5]
	v_mov_b32_e32 v6, s5
	v_add_co_u32_e32 v22, vcc, s4, v4
	v_addc_co_u32_e32 v23, vcc, v6, v5, vcc
	global_load_dwordx2 v[6:7], v[22:23], off
	s_mov_b64 s[16:17], 0
	s_waitcnt vmcnt(1)
	v_xor_b32_e32 v4, 0x80000000, v3
	v_cndmask_b32_e64 v3, v3, v4, s[0:1]
	v_mul_f64 v[24:25], v[2:3], -v[20:21]
	v_fmac_f64_e32 v[24:25], v[18:19], v[0:1]
.LBB131_24:                             ;   Parent Loop BB131_19 Depth=1
                                        ;     Parent Loop BB131_22 Depth=2
                                        ; =>    This Inner Loop Header: Depth=3
	s_waitcnt vmcnt(0)
	v_add_f64 v[4:5], v[6:7], v[24:25]
	global_atomic_cmpswap_x2 v[4:5], v[22:23], v[4:7], off glc
	s_waitcnt vmcnt(0)
	v_cmp_eq_u64_e32 vcc, v[4:5], v[6:7]
	s_or_b64 s[16:17], vcc, s[16:17]
	v_pk_mov_b32 v[6:7], v[4:5], v[4:5] op_sel:[0,1]
	s_andn2_b64 exec, exec, s[16:17]
	s_cbranch_execnz .LBB131_24
; %bb.25:                               ;   in Loop: Header=BB131_22 Depth=2
	s_or_b64 exec, exec, s[16:17]
	global_load_dwordx2 v[4:5], v[22:23], off offset:8
	v_mul_f64 v[6:7], v[18:19], v[2:3]
	v_fmac_f64_e32 v[6:7], v[20:21], v[0:1]
	s_mov_b64 s[16:17], 0
.LBB131_26:                             ;   Parent Loop BB131_19 Depth=1
                                        ;     Parent Loop BB131_22 Depth=2
                                        ; =>    This Inner Loop Header: Depth=3
	s_waitcnt vmcnt(0)
	v_add_f64 v[2:3], v[4:5], v[6:7]
	global_atomic_cmpswap_x2 v[0:1], v[22:23], v[2:5], off offset:8 glc
	s_waitcnt vmcnt(0)
	v_cmp_eq_u64_e32 vcc, v[0:1], v[4:5]
	s_or_b64 s[16:17], vcc, s[16:17]
	v_pk_mov_b32 v[4:5], v[0:1], v[0:1] op_sel:[0,1]
	s_andn2_b64 exec, exec, s[16:17]
	s_cbranch_execnz .LBB131_26
	s_branch .LBB131_21
.LBB131_27:
	s_endpgm
	.section	.rodata,"a",@progbits
	.p2align	6, 0x0
	.amdhsa_kernel _ZN9rocsparseL21csrmvt_general_kernelILj256ELj64Ell21rocsparse_complex_numIdES2_S2_S2_EEvbbT2_NS_24const_host_device_scalarIT6_EEPKT1_S9_PKS3_PKT3_PKT4_PT5_21rocsparse_index_base_b
		.amdhsa_group_segment_fixed_size 2048
		.amdhsa_private_segment_fixed_size 0
		.amdhsa_kernarg_size 344
		.amdhsa_user_sgpr_count 8
		.amdhsa_user_sgpr_private_segment_buffer 1
		.amdhsa_user_sgpr_dispatch_ptr 1
		.amdhsa_user_sgpr_queue_ptr 0
		.amdhsa_user_sgpr_kernarg_segment_ptr 1
		.amdhsa_user_sgpr_dispatch_id 0
		.amdhsa_user_sgpr_flat_scratch_init 0
		.amdhsa_user_sgpr_kernarg_preload_length 0
		.amdhsa_user_sgpr_kernarg_preload_offset 0
		.amdhsa_user_sgpr_private_segment_size 0
		.amdhsa_uses_dynamic_stack 0
		.amdhsa_system_sgpr_private_segment_wavefront_offset 0
		.amdhsa_system_sgpr_workgroup_id_x 1
		.amdhsa_system_sgpr_workgroup_id_y 0
		.amdhsa_system_sgpr_workgroup_id_z 0
		.amdhsa_system_sgpr_workgroup_info 0
		.amdhsa_system_vgpr_workitem_id 2
		.amdhsa_next_free_vgpr 34
		.amdhsa_next_free_sgpr 30
		.amdhsa_accum_offset 36
		.amdhsa_reserve_vcc 1
		.amdhsa_reserve_flat_scratch 0
		.amdhsa_float_round_mode_32 0
		.amdhsa_float_round_mode_16_64 0
		.amdhsa_float_denorm_mode_32 3
		.amdhsa_float_denorm_mode_16_64 3
		.amdhsa_dx10_clamp 1
		.amdhsa_ieee_mode 1
		.amdhsa_fp16_overflow 0
		.amdhsa_tg_split 0
		.amdhsa_exception_fp_ieee_invalid_op 0
		.amdhsa_exception_fp_denorm_src 0
		.amdhsa_exception_fp_ieee_div_zero 0
		.amdhsa_exception_fp_ieee_overflow 0
		.amdhsa_exception_fp_ieee_underflow 0
		.amdhsa_exception_fp_ieee_inexact 0
		.amdhsa_exception_int_div_zero 0
	.end_amdhsa_kernel
	.section	.text._ZN9rocsparseL21csrmvt_general_kernelILj256ELj64Ell21rocsparse_complex_numIdES2_S2_S2_EEvbbT2_NS_24const_host_device_scalarIT6_EEPKT1_S9_PKS3_PKT3_PKT4_PT5_21rocsparse_index_base_b,"axG",@progbits,_ZN9rocsparseL21csrmvt_general_kernelILj256ELj64Ell21rocsparse_complex_numIdES2_S2_S2_EEvbbT2_NS_24const_host_device_scalarIT6_EEPKT1_S9_PKS3_PKT3_PKT4_PT5_21rocsparse_index_base_b,comdat
.Lfunc_end131:
	.size	_ZN9rocsparseL21csrmvt_general_kernelILj256ELj64Ell21rocsparse_complex_numIdES2_S2_S2_EEvbbT2_NS_24const_host_device_scalarIT6_EEPKT1_S9_PKS3_PKT3_PKT4_PT5_21rocsparse_index_base_b, .Lfunc_end131-_ZN9rocsparseL21csrmvt_general_kernelILj256ELj64Ell21rocsparse_complex_numIdES2_S2_S2_EEvbbT2_NS_24const_host_device_scalarIT6_EEPKT1_S9_PKS3_PKT3_PKT4_PT5_21rocsparse_index_base_b
                                        ; -- End function
	.section	.AMDGPU.csdata,"",@progbits
; Kernel info:
; codeLenInByte = 1324
; NumSgprs: 34
; NumVgprs: 34
; NumAgprs: 0
; TotalNumVgprs: 34
; ScratchSize: 0
; MemoryBound: 0
; FloatMode: 240
; IeeeMode: 1
; LDSByteSize: 2048 bytes/workgroup (compile time only)
; SGPRBlocks: 4
; VGPRBlocks: 4
; NumSGPRsForWavesPerEU: 34
; NumVGPRsForWavesPerEU: 34
; AccumOffset: 36
; Occupancy: 8
; WaveLimiterHint : 1
; COMPUTE_PGM_RSRC2:SCRATCH_EN: 0
; COMPUTE_PGM_RSRC2:USER_SGPR: 8
; COMPUTE_PGM_RSRC2:TRAP_HANDLER: 0
; COMPUTE_PGM_RSRC2:TGID_X_EN: 1
; COMPUTE_PGM_RSRC2:TGID_Y_EN: 0
; COMPUTE_PGM_RSRC2:TGID_Z_EN: 0
; COMPUTE_PGM_RSRC2:TIDIG_COMP_CNT: 2
; COMPUTE_PGM_RSRC3_GFX90A:ACCUM_OFFSET: 8
; COMPUTE_PGM_RSRC3_GFX90A:TG_SPLIT: 0
	.section	.text._ZN9rocsparseL21csrmvn_general_kernelILj256ELj2EiiaaiiEEvbT2_NS_24const_host_device_scalarIT6_EEPKT1_S7_PKS1_PKT3_PKT4_S4_PT5_21rocsparse_index_base_b,"axG",@progbits,_ZN9rocsparseL21csrmvn_general_kernelILj256ELj2EiiaaiiEEvbT2_NS_24const_host_device_scalarIT6_EEPKT1_S7_PKS1_PKT3_PKT4_S4_PT5_21rocsparse_index_base_b,comdat
	.globl	_ZN9rocsparseL21csrmvn_general_kernelILj256ELj2EiiaaiiEEvbT2_NS_24const_host_device_scalarIT6_EEPKT1_S7_PKS1_PKT3_PKT4_S4_PT5_21rocsparse_index_base_b ; -- Begin function _ZN9rocsparseL21csrmvn_general_kernelILj256ELj2EiiaaiiEEvbT2_NS_24const_host_device_scalarIT6_EEPKT1_S7_PKS1_PKT3_PKT4_S4_PT5_21rocsparse_index_base_b
	.p2align	8
	.type	_ZN9rocsparseL21csrmvn_general_kernelILj256ELj2EiiaaiiEEvbT2_NS_24const_host_device_scalarIT6_EEPKT1_S7_PKS1_PKT3_PKT4_S4_PT5_21rocsparse_index_base_b,@function
_ZN9rocsparseL21csrmvn_general_kernelILj256ELj2EiiaaiiEEvbT2_NS_24const_host_device_scalarIT6_EEPKT1_S7_PKS1_PKT3_PKT4_S4_PT5_21rocsparse_index_base_b: ; @_ZN9rocsparseL21csrmvn_general_kernelILj256ELj2EiiaaiiEEvbT2_NS_24const_host_device_scalarIT6_EEPKT1_S7_PKS1_PKT3_PKT4_S4_PT5_21rocsparse_index_base_b
; %bb.0:
	s_load_dwordx2 s[20:21], s[4:5], 0x48
	s_load_dwordx4 s[16:19], s[4:5], 0x8
	s_mov_b64 s[8:9], -1
	s_waitcnt lgkmcnt(0)
	s_bitcmp1_b32 s21, 0
	s_cselect_b64 s[0:1], -1, 0
	s_xor_b64 s[2:3], s[0:1], -1
	s_and_b64 vcc, exec, s[2:3]
                                        ; implicit-def: $sgpr21
	s_cbranch_vccnz .LBB132_4
; %bb.1:
	s_load_dwordx2 s[0:1], s[4:5], 0x38
	s_andn2_b64 vcc, exec, s[8:9]
	s_cbranch_vccz .LBB132_5
.LBB132_2:
	s_and_b64 vcc, exec, s[2:3]
	s_cbranch_vccz .LBB132_6
.LBB132_3:
	s_waitcnt lgkmcnt(0)
	s_load_dword s30, s[0:1], 0x0
	s_cbranch_execz .LBB132_7
	s_branch .LBB132_8
.LBB132_4:
	s_load_dword s21, s[16:17], 0x0
	s_load_dwordx2 s[0:1], s[4:5], 0x38
	s_cbranch_execnz .LBB132_2
.LBB132_5:
	s_waitcnt lgkmcnt(0)
	s_mov_b32 s21, s16
	s_and_b64 vcc, exec, s[2:3]
	s_cbranch_vccnz .LBB132_3
.LBB132_6:
                                        ; implicit-def: $sgpr30
.LBB132_7:
	s_waitcnt lgkmcnt(0)
	s_mov_b32 s30, s0
.LBB132_8:
	s_waitcnt lgkmcnt(0)
	s_cmp_lg_u32 s21, 0
	s_cselect_b64 s[0:1], -1, 0
	s_cmp_lg_u32 s30, 1
	s_cselect_b64 s[2:3], -1, 0
	s_or_b64 s[0:1], s[0:1], s[2:3]
	s_andn2_b64 vcc, exec, s[0:1]
	s_cbranch_vccnz .LBB132_28
; %bb.9:
	s_load_dword s31, s[4:5], 0x4
	v_lshl_or_b32 v1, s6, 8, v0
	v_lshrrev_b32_e32 v2, 1, v1
	s_waitcnt lgkmcnt(0)
	v_cmp_gt_i32_e32 vcc, s31, v2
	s_and_saveexec_b64 s[0:1], vcc
	s_cbranch_execz .LBB132_28
; %bb.10:
	s_load_dword s0, s[4:5], 0x50
	s_load_dwordx2 s[6:7], s[4:5], 0x40
	s_load_dwordx8 s[8:15], s[4:5], 0x18
	v_and_b32_e32 v0, 1, v0
	v_subrev_u32_e32 v12, s20, v0
	s_waitcnt lgkmcnt(0)
	s_lshl_b32 s33, s0, 7
	s_ashr_i32 s0, s20, 31
	s_sub_u32 s34, s14, s20
	s_subb_u32 s35, s15, s0
	v_cmp_eq_u32_e64 s[0:1], 1, v0
	s_cmp_lg_u32 s30, 0
	v_xad_u32 v13, v0, -1, s20
	v_or_b32_e32 v0, 2, v0
	s_cselect_b64 s[14:15], -1, 0
	v_subrev_u32_e32 v14, s20, v0
	s_mov_b32 s36, s21
	s_mov_b64 s[16:17], 0
	v_mov_b32_e32 v15, s19
	v_mov_b32_e32 v16, s9
	s_branch .LBB132_13
.LBB132_11:                             ;   in Loop: Header=BB132_13 Depth=1
	global_store_dword v[0:1], v4, off
.LBB132_12:                             ;   in Loop: Header=BB132_13 Depth=1
	s_or_b64 exec, exec, s[4:5]
	v_add_u32_e32 v2, s33, v2
	v_cmp_le_i32_e32 vcc, s31, v2
	s_or_b64 s[16:17], vcc, s[16:17]
	s_andn2_b64 exec, exec, s[16:17]
	s_cbranch_execz .LBB132_28
.LBB132_13:                             ; =>This Loop Header: Depth=1
                                        ;     Child Loop BB132_17 Depth 2
                                        ;     Child Loop BB132_22 Depth 2
	v_ashrrev_i32_e32 v3, 31, v2
	v_lshlrev_b64 v[0:1], 2, v[2:3]
	v_add_co_u32_e32 v6, vcc, s18, v0
	v_addc_co_u32_e32 v7, vcc, v15, v1, vcc
	v_add_co_u32_e32 v8, vcc, s8, v0
	v_addc_co_u32_e32 v9, vcc, v16, v1, vcc
	global_load_dword v3, v[8:9], off
	global_load_dword v5, v[6:7], off
	v_mov_b32_e32 v6, 0
	s_waitcnt vmcnt(1)
	v_subrev_u32_e32 v3, s20, v3
	s_waitcnt vmcnt(0)
	v_add_u32_e32 v4, v5, v12
	v_cmp_lt_i32_e32 vcc, v4, v3
	s_and_saveexec_b64 s[22:23], vcc
	s_cbranch_execz .LBB132_25
; %bb.14:                               ;   in Loop: Header=BB132_13 Depth=1
	v_add_u32_e32 v6, v14, v5
	v_max_i32_e32 v6, v6, v3
	v_add_u32_e32 v6, v13, v6
	v_sub_u32_e32 v5, v6, v5
	v_cmp_gt_u32_e32 vcc, 26, v5
	v_cmp_lt_u32_e64 s[2:3], 25, v5
	v_mov_b32_e32 v6, 0
	s_and_saveexec_b64 s[24:25], s[2:3]
	s_cbranch_execz .LBB132_20
; %bb.15:                               ;   in Loop: Header=BB132_13 Depth=1
	v_and_b32_e32 v6, -2, v5
	v_add_u32_e32 v6, v4, v6
	v_cmp_ge_i32_e64 s[2:3], v6, v4
	s_mov_b64 s[4:5], -1
	v_mov_b32_e32 v6, 0
	s_and_saveexec_b64 s[26:27], s[2:3]
	s_cbranch_execz .LBB132_19
; %bb.16:                               ;   in Loop: Header=BB132_13 Depth=1
	v_lshrrev_b32_e32 v5, 1, v5
	v_add_u32_e32 v17, 1, v5
	v_and_b32_e32 v18, -2, v17
	v_add_u32_e32 v5, 2, v4
	s_mov_b64 s[28:29], 0
	v_mov_b32_e32 v6, 0
	v_mov_b32_e32 v19, v18
	v_pk_mov_b32 v[10:11], v[4:5], v[4:5] op_sel:[0,1]
	v_mov_b32_e32 v8, 0
.LBB132_17:                             ;   Parent Loop BB132_13 Depth=1
                                        ; =>  This Inner Loop Header: Depth=2
	v_ashrrev_i32_e32 v23, 31, v10
	v_mov_b32_e32 v22, v10
	v_lshlrev_b64 v[24:25], 2, v[22:23]
	v_ashrrev_i32_e32 v21, 31, v11
	v_mov_b32_e32 v20, v11
	v_mov_b32_e32 v5, s11
	v_add_co_u32_e64 v24, s[2:3], s10, v24
	v_lshlrev_b64 v[26:27], 2, v[20:21]
	v_addc_co_u32_e64 v25, s[2:3], v5, v25, s[2:3]
	v_add_co_u32_e64 v26, s[2:3], s10, v26
	v_addc_co_u32_e64 v27, s[2:3], v5, v27, s[2:3]
	global_load_dword v5, v[26:27], off
	global_load_dword v7, v[24:25], off
	v_mov_b32_e32 v9, s13
	v_add_co_u32_e64 v22, s[2:3], s12, v22
	v_addc_co_u32_e64 v23, s[2:3], v9, v23, s[2:3]
	v_add_co_u32_e64 v20, s[2:3], s12, v20
	v_addc_co_u32_e64 v21, s[2:3], v9, v21, s[2:3]
	v_mov_b32_e32 v25, s35
	global_load_sbyte v9, v[20:21], off
	global_load_sbyte v26, v[22:23], off
	v_mov_b32_e32 v24, s35
	v_add_u32_e32 v19, -2, v19
	v_add_u32_e32 v11, 4, v11
	v_add_u32_e32 v10, 4, v10
	s_waitcnt vmcnt(3)
	v_ashrrev_i32_e32 v21, 31, v5
	v_add_co_u32_e64 v20, s[2:3], s34, v5
	s_waitcnt vmcnt(2)
	v_ashrrev_i32_e32 v23, 31, v7
	v_add_co_u32_e64 v22, s[4:5], s34, v7
	v_addc_co_u32_e64 v21, s[2:3], v25, v21, s[2:3]
	v_addc_co_u32_e64 v23, s[4:5], v24, v23, s[4:5]
	global_load_sbyte v5, v[20:21], off
	global_load_sbyte v7, v[22:23], off
	v_cmp_eq_u32_e64 s[2:3], 0, v19
	s_waitcnt vmcnt(2)
	v_mul_lo_u32 v20, s21, v26
	v_mul_lo_u32 v9, s36, v9
	s_or_b64 s[28:29], s[2:3], s[28:29]
	s_waitcnt vmcnt(1)
	v_mad_u64_u32 v[8:9], s[2:3], v9, v5, v[8:9]
	s_waitcnt vmcnt(0)
	v_mad_u64_u32 v[6:7], s[2:3], v20, v7, v[6:7]
	s_andn2_b64 exec, exec, s[28:29]
	s_cbranch_execnz .LBB132_17
; %bb.18:                               ;   in Loop: Header=BB132_13 Depth=1
	s_or_b64 exec, exec, s[28:29]
	v_mov_b32_e32 v5, v8
	v_cmp_ne_u32_e64 s[2:3], v17, v18
	v_lshl_add_u32 v4, v18, 1, v4
	v_add_u32_e32 v6, v6, v5
	s_orn2_b64 s[4:5], s[2:3], exec
.LBB132_19:                             ;   in Loop: Header=BB132_13 Depth=1
	s_or_b64 exec, exec, s[26:27]
	s_andn2_b64 s[2:3], vcc, exec
	s_and_b64 s[4:5], s[4:5], exec
	s_or_b64 vcc, s[2:3], s[4:5]
.LBB132_20:                             ;   in Loop: Header=BB132_13 Depth=1
	s_or_b64 exec, exec, s[24:25]
	s_and_saveexec_b64 s[2:3], vcc
	s_cbranch_execz .LBB132_24
; %bb.21:                               ;   in Loop: Header=BB132_13 Depth=1
	s_mov_b64 s[4:5], 0
.LBB132_22:                             ;   Parent Loop BB132_13 Depth=1
                                        ; =>  This Inner Loop Header: Depth=2
	v_ashrrev_i32_e32 v5, 31, v4
	v_lshlrev_b64 v[8:9], 2, v[4:5]
	v_mov_b32_e32 v7, s11
	v_add_co_u32_e32 v8, vcc, s10, v8
	v_addc_co_u32_e32 v9, vcc, v7, v9, vcc
	global_load_dword v7, v[8:9], off
	v_mov_b32_e32 v9, s13
	v_add_co_u32_e32 v8, vcc, s12, v4
	v_addc_co_u32_e32 v9, vcc, v9, v5, vcc
	v_mov_b32_e32 v10, s35
	global_load_sbyte v5, v[8:9], off
	v_add_u32_e32 v4, 2, v4
	s_waitcnt vmcnt(1)
	v_ashrrev_i32_e32 v9, 31, v7
	v_add_co_u32_e32 v8, vcc, s34, v7
	v_addc_co_u32_e32 v9, vcc, v10, v9, vcc
	global_load_sbyte v7, v[8:9], off
	v_cmp_ge_i32_e32 vcc, v4, v3
	s_waitcnt vmcnt(1)
	v_mul_lo_u32 v5, s21, v5
	s_or_b64 s[4:5], vcc, s[4:5]
	s_waitcnt vmcnt(0)
	v_mad_u64_u32 v[6:7], s[24:25], v5, v7, v[6:7]
	s_andn2_b64 exec, exec, s[4:5]
	s_cbranch_execnz .LBB132_22
; %bb.23:                               ;   in Loop: Header=BB132_13 Depth=1
	s_or_b64 exec, exec, s[4:5]
.LBB132_24:                             ;   in Loop: Header=BB132_13 Depth=1
	s_or_b64 exec, exec, s[2:3]
.LBB132_25:                             ;   in Loop: Header=BB132_13 Depth=1
	s_or_b64 exec, exec, s[22:23]
	v_mov_b32_dpp v3, v6 row_shr:1 row_mask:0xf bank_mask:0xf
	s_and_saveexec_b64 s[4:5], s[0:1]
	s_cbranch_execz .LBB132_12
; %bb.26:                               ;   in Loop: Header=BB132_13 Depth=1
	v_add_u32_e32 v4, v3, v6
	v_mov_b32_e32 v3, s7
	v_add_co_u32_e64 v0, s[2:3], s6, v0
	s_andn2_b64 vcc, exec, s[14:15]
	v_addc_co_u32_e64 v1, s[2:3], v3, v1, s[2:3]
	s_cbranch_vccnz .LBB132_11
; %bb.27:                               ;   in Loop: Header=BB132_13 Depth=1
	global_load_dword v3, v[0:1], off
	s_waitcnt vmcnt(0)
	v_mad_u64_u32 v[4:5], s[2:3], v3, s30, v[4:5]
	s_branch .LBB132_11
.LBB132_28:
	s_endpgm
	.section	.rodata,"a",@progbits
	.p2align	6, 0x0
	.amdhsa_kernel _ZN9rocsparseL21csrmvn_general_kernelILj256ELj2EiiaaiiEEvbT2_NS_24const_host_device_scalarIT6_EEPKT1_S7_PKS1_PKT3_PKT4_S4_PT5_21rocsparse_index_base_b
		.amdhsa_group_segment_fixed_size 0
		.amdhsa_private_segment_fixed_size 0
		.amdhsa_kernarg_size 336
		.amdhsa_user_sgpr_count 6
		.amdhsa_user_sgpr_private_segment_buffer 1
		.amdhsa_user_sgpr_dispatch_ptr 0
		.amdhsa_user_sgpr_queue_ptr 0
		.amdhsa_user_sgpr_kernarg_segment_ptr 1
		.amdhsa_user_sgpr_dispatch_id 0
		.amdhsa_user_sgpr_flat_scratch_init 0
		.amdhsa_user_sgpr_kernarg_preload_length 0
		.amdhsa_user_sgpr_kernarg_preload_offset 0
		.amdhsa_user_sgpr_private_segment_size 0
		.amdhsa_uses_dynamic_stack 0
		.amdhsa_system_sgpr_private_segment_wavefront_offset 0
		.amdhsa_system_sgpr_workgroup_id_x 1
		.amdhsa_system_sgpr_workgroup_id_y 0
		.amdhsa_system_sgpr_workgroup_id_z 0
		.amdhsa_system_sgpr_workgroup_info 0
		.amdhsa_system_vgpr_workitem_id 0
		.amdhsa_next_free_vgpr 28
		.amdhsa_next_free_sgpr 37
		.amdhsa_accum_offset 28
		.amdhsa_reserve_vcc 1
		.amdhsa_reserve_flat_scratch 0
		.amdhsa_float_round_mode_32 0
		.amdhsa_float_round_mode_16_64 0
		.amdhsa_float_denorm_mode_32 3
		.amdhsa_float_denorm_mode_16_64 3
		.amdhsa_dx10_clamp 1
		.amdhsa_ieee_mode 1
		.amdhsa_fp16_overflow 0
		.amdhsa_tg_split 0
		.amdhsa_exception_fp_ieee_invalid_op 0
		.amdhsa_exception_fp_denorm_src 0
		.amdhsa_exception_fp_ieee_div_zero 0
		.amdhsa_exception_fp_ieee_overflow 0
		.amdhsa_exception_fp_ieee_underflow 0
		.amdhsa_exception_fp_ieee_inexact 0
		.amdhsa_exception_int_div_zero 0
	.end_amdhsa_kernel
	.section	.text._ZN9rocsparseL21csrmvn_general_kernelILj256ELj2EiiaaiiEEvbT2_NS_24const_host_device_scalarIT6_EEPKT1_S7_PKS1_PKT3_PKT4_S4_PT5_21rocsparse_index_base_b,"axG",@progbits,_ZN9rocsparseL21csrmvn_general_kernelILj256ELj2EiiaaiiEEvbT2_NS_24const_host_device_scalarIT6_EEPKT1_S7_PKS1_PKT3_PKT4_S4_PT5_21rocsparse_index_base_b,comdat
.Lfunc_end132:
	.size	_ZN9rocsparseL21csrmvn_general_kernelILj256ELj2EiiaaiiEEvbT2_NS_24const_host_device_scalarIT6_EEPKT1_S7_PKS1_PKT3_PKT4_S4_PT5_21rocsparse_index_base_b, .Lfunc_end132-_ZN9rocsparseL21csrmvn_general_kernelILj256ELj2EiiaaiiEEvbT2_NS_24const_host_device_scalarIT6_EEPKT1_S7_PKS1_PKT3_PKT4_S4_PT5_21rocsparse_index_base_b
                                        ; -- End function
	.section	.AMDGPU.csdata,"",@progbits
; Kernel info:
; codeLenInByte = 1084
; NumSgprs: 41
; NumVgprs: 28
; NumAgprs: 0
; TotalNumVgprs: 28
; ScratchSize: 0
; MemoryBound: 0
; FloatMode: 240
; IeeeMode: 1
; LDSByteSize: 0 bytes/workgroup (compile time only)
; SGPRBlocks: 5
; VGPRBlocks: 3
; NumSGPRsForWavesPerEU: 41
; NumVGPRsForWavesPerEU: 28
; AccumOffset: 28
; Occupancy: 8
; WaveLimiterHint : 1
; COMPUTE_PGM_RSRC2:SCRATCH_EN: 0
; COMPUTE_PGM_RSRC2:USER_SGPR: 6
; COMPUTE_PGM_RSRC2:TRAP_HANDLER: 0
; COMPUTE_PGM_RSRC2:TGID_X_EN: 1
; COMPUTE_PGM_RSRC2:TGID_Y_EN: 0
; COMPUTE_PGM_RSRC2:TGID_Z_EN: 0
; COMPUTE_PGM_RSRC2:TIDIG_COMP_CNT: 0
; COMPUTE_PGM_RSRC3_GFX90A:ACCUM_OFFSET: 6
; COMPUTE_PGM_RSRC3_GFX90A:TG_SPLIT: 0
	.section	.text._ZN9rocsparseL21csrmvn_general_kernelILj256ELj4EiiaaiiEEvbT2_NS_24const_host_device_scalarIT6_EEPKT1_S7_PKS1_PKT3_PKT4_S4_PT5_21rocsparse_index_base_b,"axG",@progbits,_ZN9rocsparseL21csrmvn_general_kernelILj256ELj4EiiaaiiEEvbT2_NS_24const_host_device_scalarIT6_EEPKT1_S7_PKS1_PKT3_PKT4_S4_PT5_21rocsparse_index_base_b,comdat
	.globl	_ZN9rocsparseL21csrmvn_general_kernelILj256ELj4EiiaaiiEEvbT2_NS_24const_host_device_scalarIT6_EEPKT1_S7_PKS1_PKT3_PKT4_S4_PT5_21rocsparse_index_base_b ; -- Begin function _ZN9rocsparseL21csrmvn_general_kernelILj256ELj4EiiaaiiEEvbT2_NS_24const_host_device_scalarIT6_EEPKT1_S7_PKS1_PKT3_PKT4_S4_PT5_21rocsparse_index_base_b
	.p2align	8
	.type	_ZN9rocsparseL21csrmvn_general_kernelILj256ELj4EiiaaiiEEvbT2_NS_24const_host_device_scalarIT6_EEPKT1_S7_PKS1_PKT3_PKT4_S4_PT5_21rocsparse_index_base_b,@function
_ZN9rocsparseL21csrmvn_general_kernelILj256ELj4EiiaaiiEEvbT2_NS_24const_host_device_scalarIT6_EEPKT1_S7_PKS1_PKT3_PKT4_S4_PT5_21rocsparse_index_base_b: ; @_ZN9rocsparseL21csrmvn_general_kernelILj256ELj4EiiaaiiEEvbT2_NS_24const_host_device_scalarIT6_EEPKT1_S7_PKS1_PKT3_PKT4_S4_PT5_21rocsparse_index_base_b
; %bb.0:
	s_load_dwordx2 s[20:21], s[4:5], 0x48
	s_load_dwordx4 s[16:19], s[4:5], 0x8
	s_mov_b64 s[8:9], -1
	s_waitcnt lgkmcnt(0)
	s_bitcmp1_b32 s21, 0
	s_cselect_b64 s[0:1], -1, 0
	s_xor_b64 s[2:3], s[0:1], -1
	s_and_b64 vcc, exec, s[2:3]
                                        ; implicit-def: $sgpr21
	s_cbranch_vccnz .LBB133_4
; %bb.1:
	s_load_dwordx2 s[0:1], s[4:5], 0x38
	s_andn2_b64 vcc, exec, s[8:9]
	s_cbranch_vccz .LBB133_5
.LBB133_2:
	s_and_b64 vcc, exec, s[2:3]
	s_cbranch_vccz .LBB133_6
.LBB133_3:
	s_waitcnt lgkmcnt(0)
	s_load_dword s30, s[0:1], 0x0
	s_cbranch_execz .LBB133_7
	s_branch .LBB133_8
.LBB133_4:
	s_load_dword s21, s[16:17], 0x0
	s_load_dwordx2 s[0:1], s[4:5], 0x38
	s_cbranch_execnz .LBB133_2
.LBB133_5:
	s_waitcnt lgkmcnt(0)
	s_mov_b32 s21, s16
	s_and_b64 vcc, exec, s[2:3]
	s_cbranch_vccnz .LBB133_3
.LBB133_6:
                                        ; implicit-def: $sgpr30
.LBB133_7:
	s_waitcnt lgkmcnt(0)
	s_mov_b32 s30, s0
.LBB133_8:
	s_waitcnt lgkmcnt(0)
	s_cmp_lg_u32 s21, 0
	s_cselect_b64 s[0:1], -1, 0
	s_cmp_lg_u32 s30, 1
	s_cselect_b64 s[2:3], -1, 0
	s_or_b64 s[0:1], s[0:1], s[2:3]
	s_andn2_b64 vcc, exec, s[0:1]
	s_cbranch_vccnz .LBB133_28
; %bb.9:
	s_load_dword s31, s[4:5], 0x4
	v_lshl_or_b32 v1, s6, 8, v0
	v_lshrrev_b32_e32 v2, 2, v1
	s_waitcnt lgkmcnt(0)
	v_cmp_gt_i32_e32 vcc, s31, v2
	s_and_saveexec_b64 s[0:1], vcc
	s_cbranch_execz .LBB133_28
; %bb.10:
	s_load_dword s0, s[4:5], 0x50
	s_load_dwordx2 s[6:7], s[4:5], 0x40
	s_load_dwordx8 s[8:15], s[4:5], 0x18
	v_and_b32_e32 v0, 3, v0
	v_subrev_u32_e32 v12, s20, v0
	s_waitcnt lgkmcnt(0)
	s_lshl_b32 s33, s0, 6
	s_ashr_i32 s0, s20, 31
	s_sub_u32 s34, s14, s20
	s_subb_u32 s35, s15, s0
	v_cmp_eq_u32_e64 s[0:1], 3, v0
	s_cmp_lg_u32 s30, 0
	v_xad_u32 v13, v0, -1, s20
	v_or_b32_e32 v0, 4, v0
	s_cselect_b64 s[14:15], -1, 0
	v_subrev_u32_e32 v14, s20, v0
	s_mov_b32 s36, s21
	s_mov_b64 s[16:17], 0
	v_mov_b32_e32 v15, s19
	v_mov_b32_e32 v16, s9
	s_branch .LBB133_13
.LBB133_11:                             ;   in Loop: Header=BB133_13 Depth=1
	global_store_dword v[0:1], v4, off
.LBB133_12:                             ;   in Loop: Header=BB133_13 Depth=1
	s_or_b64 exec, exec, s[4:5]
	v_add_u32_e32 v2, s33, v2
	v_cmp_le_i32_e32 vcc, s31, v2
	s_or_b64 s[16:17], vcc, s[16:17]
	s_andn2_b64 exec, exec, s[16:17]
	s_cbranch_execz .LBB133_28
.LBB133_13:                             ; =>This Loop Header: Depth=1
                                        ;     Child Loop BB133_17 Depth 2
                                        ;     Child Loop BB133_22 Depth 2
	v_ashrrev_i32_e32 v3, 31, v2
	v_lshlrev_b64 v[0:1], 2, v[2:3]
	v_add_co_u32_e32 v6, vcc, s18, v0
	v_addc_co_u32_e32 v7, vcc, v15, v1, vcc
	v_add_co_u32_e32 v8, vcc, s8, v0
	v_addc_co_u32_e32 v9, vcc, v16, v1, vcc
	global_load_dword v3, v[8:9], off
	global_load_dword v5, v[6:7], off
	v_mov_b32_e32 v6, 0
	s_waitcnt vmcnt(1)
	v_subrev_u32_e32 v3, s20, v3
	s_waitcnt vmcnt(0)
	v_add_u32_e32 v4, v5, v12
	v_cmp_lt_i32_e32 vcc, v4, v3
	s_and_saveexec_b64 s[22:23], vcc
	s_cbranch_execz .LBB133_25
; %bb.14:                               ;   in Loop: Header=BB133_13 Depth=1
	v_add_u32_e32 v6, v14, v5
	v_max_i32_e32 v6, v6, v3
	v_add_u32_e32 v6, v13, v6
	v_sub_u32_e32 v5, v6, v5
	v_cmp_gt_u32_e32 vcc, 52, v5
	v_cmp_lt_u32_e64 s[2:3], 51, v5
	v_mov_b32_e32 v6, 0
	s_and_saveexec_b64 s[24:25], s[2:3]
	s_cbranch_execz .LBB133_20
; %bb.15:                               ;   in Loop: Header=BB133_13 Depth=1
	v_and_b32_e32 v6, -4, v5
	v_add_u32_e32 v6, v4, v6
	v_cmp_ge_i32_e64 s[2:3], v6, v4
	s_mov_b64 s[4:5], -1
	v_mov_b32_e32 v6, 0
	s_and_saveexec_b64 s[26:27], s[2:3]
	s_cbranch_execz .LBB133_19
; %bb.16:                               ;   in Loop: Header=BB133_13 Depth=1
	v_lshrrev_b32_e32 v5, 2, v5
	v_add_u32_e32 v17, 1, v5
	v_and_b32_e32 v18, 0x7ffffffe, v17
	v_add_u32_e32 v5, 4, v4
	s_mov_b64 s[28:29], 0
	v_mov_b32_e32 v6, 0
	v_mov_b32_e32 v19, v18
	v_pk_mov_b32 v[10:11], v[4:5], v[4:5] op_sel:[0,1]
	v_mov_b32_e32 v8, 0
.LBB133_17:                             ;   Parent Loop BB133_13 Depth=1
                                        ; =>  This Inner Loop Header: Depth=2
	v_ashrrev_i32_e32 v23, 31, v10
	v_mov_b32_e32 v22, v10
	v_lshlrev_b64 v[24:25], 2, v[22:23]
	v_ashrrev_i32_e32 v21, 31, v11
	v_mov_b32_e32 v20, v11
	v_mov_b32_e32 v5, s11
	v_add_co_u32_e64 v24, s[2:3], s10, v24
	v_lshlrev_b64 v[26:27], 2, v[20:21]
	v_addc_co_u32_e64 v25, s[2:3], v5, v25, s[2:3]
	v_add_co_u32_e64 v26, s[2:3], s10, v26
	v_addc_co_u32_e64 v27, s[2:3], v5, v27, s[2:3]
	global_load_dword v5, v[26:27], off
	global_load_dword v7, v[24:25], off
	v_mov_b32_e32 v9, s13
	v_add_co_u32_e64 v22, s[2:3], s12, v22
	v_addc_co_u32_e64 v23, s[2:3], v9, v23, s[2:3]
	v_add_co_u32_e64 v20, s[2:3], s12, v20
	v_addc_co_u32_e64 v21, s[2:3], v9, v21, s[2:3]
	v_mov_b32_e32 v25, s35
	global_load_sbyte v9, v[20:21], off
	global_load_sbyte v26, v[22:23], off
	v_mov_b32_e32 v24, s35
	v_add_u32_e32 v19, -2, v19
	v_add_u32_e32 v11, 8, v11
	v_add_u32_e32 v10, 8, v10
	s_waitcnt vmcnt(3)
	v_ashrrev_i32_e32 v21, 31, v5
	v_add_co_u32_e64 v20, s[2:3], s34, v5
	s_waitcnt vmcnt(2)
	v_ashrrev_i32_e32 v23, 31, v7
	v_add_co_u32_e64 v22, s[4:5], s34, v7
	v_addc_co_u32_e64 v21, s[2:3], v25, v21, s[2:3]
	v_addc_co_u32_e64 v23, s[4:5], v24, v23, s[4:5]
	global_load_sbyte v5, v[20:21], off
	global_load_sbyte v7, v[22:23], off
	v_cmp_eq_u32_e64 s[2:3], 0, v19
	s_waitcnt vmcnt(2)
	v_mul_lo_u32 v20, s21, v26
	v_mul_lo_u32 v9, s36, v9
	s_or_b64 s[28:29], s[2:3], s[28:29]
	s_waitcnt vmcnt(1)
	v_mad_u64_u32 v[8:9], s[2:3], v9, v5, v[8:9]
	s_waitcnt vmcnt(0)
	v_mad_u64_u32 v[6:7], s[2:3], v20, v7, v[6:7]
	s_andn2_b64 exec, exec, s[28:29]
	s_cbranch_execnz .LBB133_17
; %bb.18:                               ;   in Loop: Header=BB133_13 Depth=1
	s_or_b64 exec, exec, s[28:29]
	v_mov_b32_e32 v5, v8
	v_cmp_ne_u32_e64 s[2:3], v17, v18
	v_lshl_add_u32 v4, v18, 2, v4
	v_add_u32_e32 v6, v6, v5
	s_orn2_b64 s[4:5], s[2:3], exec
.LBB133_19:                             ;   in Loop: Header=BB133_13 Depth=1
	s_or_b64 exec, exec, s[26:27]
	s_andn2_b64 s[2:3], vcc, exec
	s_and_b64 s[4:5], s[4:5], exec
	s_or_b64 vcc, s[2:3], s[4:5]
.LBB133_20:                             ;   in Loop: Header=BB133_13 Depth=1
	s_or_b64 exec, exec, s[24:25]
	s_and_saveexec_b64 s[2:3], vcc
	s_cbranch_execz .LBB133_24
; %bb.21:                               ;   in Loop: Header=BB133_13 Depth=1
	s_mov_b64 s[4:5], 0
.LBB133_22:                             ;   Parent Loop BB133_13 Depth=1
                                        ; =>  This Inner Loop Header: Depth=2
	v_ashrrev_i32_e32 v5, 31, v4
	v_lshlrev_b64 v[8:9], 2, v[4:5]
	v_mov_b32_e32 v7, s11
	v_add_co_u32_e32 v8, vcc, s10, v8
	v_addc_co_u32_e32 v9, vcc, v7, v9, vcc
	global_load_dword v7, v[8:9], off
	v_mov_b32_e32 v9, s13
	v_add_co_u32_e32 v8, vcc, s12, v4
	v_addc_co_u32_e32 v9, vcc, v9, v5, vcc
	v_mov_b32_e32 v10, s35
	global_load_sbyte v5, v[8:9], off
	v_add_u32_e32 v4, 4, v4
	s_waitcnt vmcnt(1)
	v_ashrrev_i32_e32 v9, 31, v7
	v_add_co_u32_e32 v8, vcc, s34, v7
	v_addc_co_u32_e32 v9, vcc, v10, v9, vcc
	global_load_sbyte v7, v[8:9], off
	v_cmp_ge_i32_e32 vcc, v4, v3
	s_waitcnt vmcnt(1)
	v_mul_lo_u32 v5, s21, v5
	s_or_b64 s[4:5], vcc, s[4:5]
	s_waitcnt vmcnt(0)
	v_mad_u64_u32 v[6:7], s[24:25], v5, v7, v[6:7]
	s_andn2_b64 exec, exec, s[4:5]
	s_cbranch_execnz .LBB133_22
; %bb.23:                               ;   in Loop: Header=BB133_13 Depth=1
	s_or_b64 exec, exec, s[4:5]
.LBB133_24:                             ;   in Loop: Header=BB133_13 Depth=1
	s_or_b64 exec, exec, s[2:3]
.LBB133_25:                             ;   in Loop: Header=BB133_13 Depth=1
	s_or_b64 exec, exec, s[22:23]
	v_mov_b32_dpp v3, v6 row_shr:1 row_mask:0xf bank_mask:0xf
	v_add_u32_e32 v3, v3, v6
	s_nop 1
	v_mov_b32_dpp v4, v3 row_shr:2 row_mask:0xf bank_mask:0xf
	s_and_saveexec_b64 s[4:5], s[0:1]
	s_cbranch_execz .LBB133_12
; %bb.26:                               ;   in Loop: Header=BB133_13 Depth=1
	v_add_u32_e32 v4, v3, v4
	v_mov_b32_e32 v3, s7
	v_add_co_u32_e64 v0, s[2:3], s6, v0
	s_andn2_b64 vcc, exec, s[14:15]
	v_addc_co_u32_e64 v1, s[2:3], v3, v1, s[2:3]
	s_cbranch_vccnz .LBB133_11
; %bb.27:                               ;   in Loop: Header=BB133_13 Depth=1
	global_load_dword v3, v[0:1], off
	s_waitcnt vmcnt(0)
	v_mad_u64_u32 v[4:5], s[2:3], v3, s30, v[4:5]
	s_branch .LBB133_11
.LBB133_28:
	s_endpgm
	.section	.rodata,"a",@progbits
	.p2align	6, 0x0
	.amdhsa_kernel _ZN9rocsparseL21csrmvn_general_kernelILj256ELj4EiiaaiiEEvbT2_NS_24const_host_device_scalarIT6_EEPKT1_S7_PKS1_PKT3_PKT4_S4_PT5_21rocsparse_index_base_b
		.amdhsa_group_segment_fixed_size 0
		.amdhsa_private_segment_fixed_size 0
		.amdhsa_kernarg_size 336
		.amdhsa_user_sgpr_count 6
		.amdhsa_user_sgpr_private_segment_buffer 1
		.amdhsa_user_sgpr_dispatch_ptr 0
		.amdhsa_user_sgpr_queue_ptr 0
		.amdhsa_user_sgpr_kernarg_segment_ptr 1
		.amdhsa_user_sgpr_dispatch_id 0
		.amdhsa_user_sgpr_flat_scratch_init 0
		.amdhsa_user_sgpr_kernarg_preload_length 0
		.amdhsa_user_sgpr_kernarg_preload_offset 0
		.amdhsa_user_sgpr_private_segment_size 0
		.amdhsa_uses_dynamic_stack 0
		.amdhsa_system_sgpr_private_segment_wavefront_offset 0
		.amdhsa_system_sgpr_workgroup_id_x 1
		.amdhsa_system_sgpr_workgroup_id_y 0
		.amdhsa_system_sgpr_workgroup_id_z 0
		.amdhsa_system_sgpr_workgroup_info 0
		.amdhsa_system_vgpr_workitem_id 0
		.amdhsa_next_free_vgpr 28
		.amdhsa_next_free_sgpr 37
		.amdhsa_accum_offset 28
		.amdhsa_reserve_vcc 1
		.amdhsa_reserve_flat_scratch 0
		.amdhsa_float_round_mode_32 0
		.amdhsa_float_round_mode_16_64 0
		.amdhsa_float_denorm_mode_32 3
		.amdhsa_float_denorm_mode_16_64 3
		.amdhsa_dx10_clamp 1
		.amdhsa_ieee_mode 1
		.amdhsa_fp16_overflow 0
		.amdhsa_tg_split 0
		.amdhsa_exception_fp_ieee_invalid_op 0
		.amdhsa_exception_fp_denorm_src 0
		.amdhsa_exception_fp_ieee_div_zero 0
		.amdhsa_exception_fp_ieee_overflow 0
		.amdhsa_exception_fp_ieee_underflow 0
		.amdhsa_exception_fp_ieee_inexact 0
		.amdhsa_exception_int_div_zero 0
	.end_amdhsa_kernel
	.section	.text._ZN9rocsparseL21csrmvn_general_kernelILj256ELj4EiiaaiiEEvbT2_NS_24const_host_device_scalarIT6_EEPKT1_S7_PKS1_PKT3_PKT4_S4_PT5_21rocsparse_index_base_b,"axG",@progbits,_ZN9rocsparseL21csrmvn_general_kernelILj256ELj4EiiaaiiEEvbT2_NS_24const_host_device_scalarIT6_EEPKT1_S7_PKS1_PKT3_PKT4_S4_PT5_21rocsparse_index_base_b,comdat
.Lfunc_end133:
	.size	_ZN9rocsparseL21csrmvn_general_kernelILj256ELj4EiiaaiiEEvbT2_NS_24const_host_device_scalarIT6_EEPKT1_S7_PKS1_PKT3_PKT4_S4_PT5_21rocsparse_index_base_b, .Lfunc_end133-_ZN9rocsparseL21csrmvn_general_kernelILj256ELj4EiiaaiiEEvbT2_NS_24const_host_device_scalarIT6_EEPKT1_S7_PKS1_PKT3_PKT4_S4_PT5_21rocsparse_index_base_b
                                        ; -- End function
	.section	.AMDGPU.csdata,"",@progbits
; Kernel info:
; codeLenInByte = 1104
; NumSgprs: 41
; NumVgprs: 28
; NumAgprs: 0
; TotalNumVgprs: 28
; ScratchSize: 0
; MemoryBound: 0
; FloatMode: 240
; IeeeMode: 1
; LDSByteSize: 0 bytes/workgroup (compile time only)
; SGPRBlocks: 5
; VGPRBlocks: 3
; NumSGPRsForWavesPerEU: 41
; NumVGPRsForWavesPerEU: 28
; AccumOffset: 28
; Occupancy: 8
; WaveLimiterHint : 1
; COMPUTE_PGM_RSRC2:SCRATCH_EN: 0
; COMPUTE_PGM_RSRC2:USER_SGPR: 6
; COMPUTE_PGM_RSRC2:TRAP_HANDLER: 0
; COMPUTE_PGM_RSRC2:TGID_X_EN: 1
; COMPUTE_PGM_RSRC2:TGID_Y_EN: 0
; COMPUTE_PGM_RSRC2:TGID_Z_EN: 0
; COMPUTE_PGM_RSRC2:TIDIG_COMP_CNT: 0
; COMPUTE_PGM_RSRC3_GFX90A:ACCUM_OFFSET: 6
; COMPUTE_PGM_RSRC3_GFX90A:TG_SPLIT: 0
	.section	.text._ZN9rocsparseL21csrmvn_general_kernelILj256ELj8EiiaaiiEEvbT2_NS_24const_host_device_scalarIT6_EEPKT1_S7_PKS1_PKT3_PKT4_S4_PT5_21rocsparse_index_base_b,"axG",@progbits,_ZN9rocsparseL21csrmvn_general_kernelILj256ELj8EiiaaiiEEvbT2_NS_24const_host_device_scalarIT6_EEPKT1_S7_PKS1_PKT3_PKT4_S4_PT5_21rocsparse_index_base_b,comdat
	.globl	_ZN9rocsparseL21csrmvn_general_kernelILj256ELj8EiiaaiiEEvbT2_NS_24const_host_device_scalarIT6_EEPKT1_S7_PKS1_PKT3_PKT4_S4_PT5_21rocsparse_index_base_b ; -- Begin function _ZN9rocsparseL21csrmvn_general_kernelILj256ELj8EiiaaiiEEvbT2_NS_24const_host_device_scalarIT6_EEPKT1_S7_PKS1_PKT3_PKT4_S4_PT5_21rocsparse_index_base_b
	.p2align	8
	.type	_ZN9rocsparseL21csrmvn_general_kernelILj256ELj8EiiaaiiEEvbT2_NS_24const_host_device_scalarIT6_EEPKT1_S7_PKS1_PKT3_PKT4_S4_PT5_21rocsparse_index_base_b,@function
_ZN9rocsparseL21csrmvn_general_kernelILj256ELj8EiiaaiiEEvbT2_NS_24const_host_device_scalarIT6_EEPKT1_S7_PKS1_PKT3_PKT4_S4_PT5_21rocsparse_index_base_b: ; @_ZN9rocsparseL21csrmvn_general_kernelILj256ELj8EiiaaiiEEvbT2_NS_24const_host_device_scalarIT6_EEPKT1_S7_PKS1_PKT3_PKT4_S4_PT5_21rocsparse_index_base_b
; %bb.0:
	s_load_dwordx2 s[20:21], s[4:5], 0x48
	s_load_dwordx4 s[16:19], s[4:5], 0x8
	s_mov_b64 s[8:9], -1
	s_waitcnt lgkmcnt(0)
	s_bitcmp1_b32 s21, 0
	s_cselect_b64 s[0:1], -1, 0
	s_xor_b64 s[2:3], s[0:1], -1
	s_and_b64 vcc, exec, s[2:3]
                                        ; implicit-def: $sgpr21
	s_cbranch_vccnz .LBB134_4
; %bb.1:
	s_load_dwordx2 s[0:1], s[4:5], 0x38
	s_andn2_b64 vcc, exec, s[8:9]
	s_cbranch_vccz .LBB134_5
.LBB134_2:
	s_and_b64 vcc, exec, s[2:3]
	s_cbranch_vccz .LBB134_6
.LBB134_3:
	s_waitcnt lgkmcnt(0)
	s_load_dword s30, s[0:1], 0x0
	s_cbranch_execz .LBB134_7
	s_branch .LBB134_8
.LBB134_4:
	s_load_dword s21, s[16:17], 0x0
	s_load_dwordx2 s[0:1], s[4:5], 0x38
	s_cbranch_execnz .LBB134_2
.LBB134_5:
	s_waitcnt lgkmcnt(0)
	s_mov_b32 s21, s16
	s_and_b64 vcc, exec, s[2:3]
	s_cbranch_vccnz .LBB134_3
.LBB134_6:
                                        ; implicit-def: $sgpr30
.LBB134_7:
	s_waitcnt lgkmcnt(0)
	s_mov_b32 s30, s0
.LBB134_8:
	s_waitcnt lgkmcnt(0)
	s_cmp_lg_u32 s21, 0
	s_cselect_b64 s[0:1], -1, 0
	s_cmp_lg_u32 s30, 1
	s_cselect_b64 s[2:3], -1, 0
	s_or_b64 s[0:1], s[0:1], s[2:3]
	s_andn2_b64 vcc, exec, s[0:1]
	s_cbranch_vccnz .LBB134_28
; %bb.9:
	s_load_dword s31, s[4:5], 0x4
	v_lshl_or_b32 v1, s6, 8, v0
	v_lshrrev_b32_e32 v2, 3, v1
	s_waitcnt lgkmcnt(0)
	v_cmp_gt_i32_e32 vcc, s31, v2
	s_and_saveexec_b64 s[0:1], vcc
	s_cbranch_execz .LBB134_28
; %bb.10:
	s_load_dword s0, s[4:5], 0x50
	s_load_dwordx2 s[6:7], s[4:5], 0x40
	s_load_dwordx8 s[8:15], s[4:5], 0x18
	v_and_b32_e32 v0, 7, v0
	v_subrev_u32_e32 v12, s20, v0
	s_waitcnt lgkmcnt(0)
	s_lshl_b32 s33, s0, 5
	s_ashr_i32 s0, s20, 31
	s_sub_u32 s34, s14, s20
	s_subb_u32 s35, s15, s0
	v_cmp_eq_u32_e64 s[0:1], 7, v0
	s_cmp_lg_u32 s30, 0
	v_xad_u32 v13, v0, -1, s20
	v_or_b32_e32 v0, 8, v0
	s_cselect_b64 s[14:15], -1, 0
	v_subrev_u32_e32 v14, s20, v0
	s_mov_b32 s36, s21
	s_mov_b64 s[16:17], 0
	v_mov_b32_e32 v15, s19
	v_mov_b32_e32 v16, s9
	s_movk_i32 s9, 0x68
	s_movk_i32 s19, 0x67
	s_branch .LBB134_13
.LBB134_11:                             ;   in Loop: Header=BB134_13 Depth=1
	global_store_dword v[0:1], v4, off
.LBB134_12:                             ;   in Loop: Header=BB134_13 Depth=1
	s_or_b64 exec, exec, s[4:5]
	v_add_u32_e32 v2, s33, v2
	v_cmp_le_i32_e32 vcc, s31, v2
	s_or_b64 s[16:17], vcc, s[16:17]
	s_andn2_b64 exec, exec, s[16:17]
	s_cbranch_execz .LBB134_28
.LBB134_13:                             ; =>This Loop Header: Depth=1
                                        ;     Child Loop BB134_17 Depth 2
                                        ;     Child Loop BB134_22 Depth 2
	v_ashrrev_i32_e32 v3, 31, v2
	v_lshlrev_b64 v[0:1], 2, v[2:3]
	v_add_co_u32_e32 v6, vcc, s18, v0
	v_addc_co_u32_e32 v7, vcc, v15, v1, vcc
	v_add_co_u32_e32 v8, vcc, s8, v0
	v_addc_co_u32_e32 v9, vcc, v16, v1, vcc
	global_load_dword v3, v[8:9], off
	global_load_dword v5, v[6:7], off
	v_mov_b32_e32 v6, 0
	s_waitcnt vmcnt(1)
	v_subrev_u32_e32 v3, s20, v3
	s_waitcnt vmcnt(0)
	v_add_u32_e32 v4, v5, v12
	v_cmp_lt_i32_e32 vcc, v4, v3
	s_and_saveexec_b64 s[22:23], vcc
	s_cbranch_execz .LBB134_25
; %bb.14:                               ;   in Loop: Header=BB134_13 Depth=1
	v_add_u32_e32 v6, v14, v5
	v_max_i32_e32 v6, v6, v3
	v_add_u32_e32 v6, v13, v6
	v_sub_u32_e32 v5, v6, v5
	v_cmp_gt_u32_e32 vcc, s9, v5
	v_cmp_lt_u32_e64 s[2:3], s19, v5
	v_mov_b32_e32 v6, 0
	s_and_saveexec_b64 s[24:25], s[2:3]
	s_cbranch_execz .LBB134_20
; %bb.15:                               ;   in Loop: Header=BB134_13 Depth=1
	v_and_b32_e32 v6, -8, v5
	v_add_u32_e32 v6, v4, v6
	v_cmp_ge_i32_e64 s[2:3], v6, v4
	s_mov_b64 s[4:5], -1
	v_mov_b32_e32 v6, 0
	s_and_saveexec_b64 s[26:27], s[2:3]
	s_cbranch_execz .LBB134_19
; %bb.16:                               ;   in Loop: Header=BB134_13 Depth=1
	v_lshrrev_b32_e32 v5, 3, v5
	v_add_u32_e32 v17, 1, v5
	v_and_b32_e32 v18, 0x3ffffffe, v17
	v_add_u32_e32 v5, 8, v4
	s_mov_b64 s[28:29], 0
	v_mov_b32_e32 v6, 0
	v_mov_b32_e32 v19, v18
	v_pk_mov_b32 v[10:11], v[4:5], v[4:5] op_sel:[0,1]
	v_mov_b32_e32 v8, 0
.LBB134_17:                             ;   Parent Loop BB134_13 Depth=1
                                        ; =>  This Inner Loop Header: Depth=2
	v_ashrrev_i32_e32 v23, 31, v10
	v_mov_b32_e32 v22, v10
	v_lshlrev_b64 v[24:25], 2, v[22:23]
	v_ashrrev_i32_e32 v21, 31, v11
	v_mov_b32_e32 v20, v11
	v_mov_b32_e32 v5, s11
	v_add_co_u32_e64 v24, s[2:3], s10, v24
	v_lshlrev_b64 v[26:27], 2, v[20:21]
	v_addc_co_u32_e64 v25, s[2:3], v5, v25, s[2:3]
	v_add_co_u32_e64 v26, s[2:3], s10, v26
	v_addc_co_u32_e64 v27, s[2:3], v5, v27, s[2:3]
	global_load_dword v5, v[26:27], off
	global_load_dword v7, v[24:25], off
	v_mov_b32_e32 v9, s13
	v_add_co_u32_e64 v22, s[2:3], s12, v22
	v_addc_co_u32_e64 v23, s[2:3], v9, v23, s[2:3]
	v_add_co_u32_e64 v20, s[2:3], s12, v20
	v_addc_co_u32_e64 v21, s[2:3], v9, v21, s[2:3]
	v_mov_b32_e32 v25, s35
	global_load_sbyte v9, v[20:21], off
	global_load_sbyte v26, v[22:23], off
	v_mov_b32_e32 v24, s35
	v_add_u32_e32 v19, -2, v19
	v_add_u32_e32 v11, 16, v11
	v_add_u32_e32 v10, 16, v10
	s_waitcnt vmcnt(3)
	v_ashrrev_i32_e32 v21, 31, v5
	v_add_co_u32_e64 v20, s[2:3], s34, v5
	s_waitcnt vmcnt(2)
	v_ashrrev_i32_e32 v23, 31, v7
	v_add_co_u32_e64 v22, s[4:5], s34, v7
	v_addc_co_u32_e64 v21, s[2:3], v25, v21, s[2:3]
	v_addc_co_u32_e64 v23, s[4:5], v24, v23, s[4:5]
	global_load_sbyte v5, v[20:21], off
	global_load_sbyte v7, v[22:23], off
	v_cmp_eq_u32_e64 s[2:3], 0, v19
	s_waitcnt vmcnt(2)
	v_mul_lo_u32 v20, s21, v26
	v_mul_lo_u32 v9, s36, v9
	s_or_b64 s[28:29], s[2:3], s[28:29]
	s_waitcnt vmcnt(1)
	v_mad_u64_u32 v[8:9], s[2:3], v9, v5, v[8:9]
	s_waitcnt vmcnt(0)
	v_mad_u64_u32 v[6:7], s[2:3], v20, v7, v[6:7]
	s_andn2_b64 exec, exec, s[28:29]
	s_cbranch_execnz .LBB134_17
; %bb.18:                               ;   in Loop: Header=BB134_13 Depth=1
	s_or_b64 exec, exec, s[28:29]
	v_mov_b32_e32 v5, v8
	v_cmp_ne_u32_e64 s[2:3], v17, v18
	v_lshl_add_u32 v4, v18, 3, v4
	v_add_u32_e32 v6, v6, v5
	s_orn2_b64 s[4:5], s[2:3], exec
.LBB134_19:                             ;   in Loop: Header=BB134_13 Depth=1
	s_or_b64 exec, exec, s[26:27]
	s_andn2_b64 s[2:3], vcc, exec
	s_and_b64 s[4:5], s[4:5], exec
	s_or_b64 vcc, s[2:3], s[4:5]
.LBB134_20:                             ;   in Loop: Header=BB134_13 Depth=1
	s_or_b64 exec, exec, s[24:25]
	s_and_saveexec_b64 s[2:3], vcc
	s_cbranch_execz .LBB134_24
; %bb.21:                               ;   in Loop: Header=BB134_13 Depth=1
	s_mov_b64 s[4:5], 0
.LBB134_22:                             ;   Parent Loop BB134_13 Depth=1
                                        ; =>  This Inner Loop Header: Depth=2
	v_ashrrev_i32_e32 v5, 31, v4
	v_lshlrev_b64 v[8:9], 2, v[4:5]
	v_mov_b32_e32 v7, s11
	v_add_co_u32_e32 v8, vcc, s10, v8
	v_addc_co_u32_e32 v9, vcc, v7, v9, vcc
	global_load_dword v7, v[8:9], off
	v_mov_b32_e32 v9, s13
	v_add_co_u32_e32 v8, vcc, s12, v4
	v_addc_co_u32_e32 v9, vcc, v9, v5, vcc
	v_mov_b32_e32 v10, s35
	global_load_sbyte v5, v[8:9], off
	v_add_u32_e32 v4, 8, v4
	s_waitcnt vmcnt(1)
	v_ashrrev_i32_e32 v9, 31, v7
	v_add_co_u32_e32 v8, vcc, s34, v7
	v_addc_co_u32_e32 v9, vcc, v10, v9, vcc
	global_load_sbyte v7, v[8:9], off
	v_cmp_ge_i32_e32 vcc, v4, v3
	s_waitcnt vmcnt(1)
	v_mul_lo_u32 v5, s21, v5
	s_or_b64 s[4:5], vcc, s[4:5]
	s_waitcnt vmcnt(0)
	v_mad_u64_u32 v[6:7], s[24:25], v5, v7, v[6:7]
	s_andn2_b64 exec, exec, s[4:5]
	s_cbranch_execnz .LBB134_22
; %bb.23:                               ;   in Loop: Header=BB134_13 Depth=1
	s_or_b64 exec, exec, s[4:5]
.LBB134_24:                             ;   in Loop: Header=BB134_13 Depth=1
	s_or_b64 exec, exec, s[2:3]
.LBB134_25:                             ;   in Loop: Header=BB134_13 Depth=1
	s_or_b64 exec, exec, s[22:23]
	v_mov_b32_dpp v3, v6 row_shr:1 row_mask:0xf bank_mask:0xf
	v_add_u32_e32 v3, v3, v6
	s_nop 1
	v_mov_b32_dpp v4, v3 row_shr:2 row_mask:0xf bank_mask:0xf
	v_add_u32_e32 v3, v3, v4
	s_nop 1
	v_mov_b32_dpp v4, v3 row_shr:4 row_mask:0xf bank_mask:0xe
	s_and_saveexec_b64 s[4:5], s[0:1]
	s_cbranch_execz .LBB134_12
; %bb.26:                               ;   in Loop: Header=BB134_13 Depth=1
	v_add_u32_e32 v4, v3, v4
	v_mov_b32_e32 v3, s7
	v_add_co_u32_e64 v0, s[2:3], s6, v0
	s_andn2_b64 vcc, exec, s[14:15]
	v_addc_co_u32_e64 v1, s[2:3], v3, v1, s[2:3]
	s_cbranch_vccnz .LBB134_11
; %bb.27:                               ;   in Loop: Header=BB134_13 Depth=1
	global_load_dword v3, v[0:1], off
	s_waitcnt vmcnt(0)
	v_mad_u64_u32 v[4:5], s[2:3], v3, s30, v[4:5]
	s_branch .LBB134_11
.LBB134_28:
	s_endpgm
	.section	.rodata,"a",@progbits
	.p2align	6, 0x0
	.amdhsa_kernel _ZN9rocsparseL21csrmvn_general_kernelILj256ELj8EiiaaiiEEvbT2_NS_24const_host_device_scalarIT6_EEPKT1_S7_PKS1_PKT3_PKT4_S4_PT5_21rocsparse_index_base_b
		.amdhsa_group_segment_fixed_size 0
		.amdhsa_private_segment_fixed_size 0
		.amdhsa_kernarg_size 336
		.amdhsa_user_sgpr_count 6
		.amdhsa_user_sgpr_private_segment_buffer 1
		.amdhsa_user_sgpr_dispatch_ptr 0
		.amdhsa_user_sgpr_queue_ptr 0
		.amdhsa_user_sgpr_kernarg_segment_ptr 1
		.amdhsa_user_sgpr_dispatch_id 0
		.amdhsa_user_sgpr_flat_scratch_init 0
		.amdhsa_user_sgpr_kernarg_preload_length 0
		.amdhsa_user_sgpr_kernarg_preload_offset 0
		.amdhsa_user_sgpr_private_segment_size 0
		.amdhsa_uses_dynamic_stack 0
		.amdhsa_system_sgpr_private_segment_wavefront_offset 0
		.amdhsa_system_sgpr_workgroup_id_x 1
		.amdhsa_system_sgpr_workgroup_id_y 0
		.amdhsa_system_sgpr_workgroup_id_z 0
		.amdhsa_system_sgpr_workgroup_info 0
		.amdhsa_system_vgpr_workitem_id 0
		.amdhsa_next_free_vgpr 28
		.amdhsa_next_free_sgpr 37
		.amdhsa_accum_offset 28
		.amdhsa_reserve_vcc 1
		.amdhsa_reserve_flat_scratch 0
		.amdhsa_float_round_mode_32 0
		.amdhsa_float_round_mode_16_64 0
		.amdhsa_float_denorm_mode_32 3
		.amdhsa_float_denorm_mode_16_64 3
		.amdhsa_dx10_clamp 1
		.amdhsa_ieee_mode 1
		.amdhsa_fp16_overflow 0
		.amdhsa_tg_split 0
		.amdhsa_exception_fp_ieee_invalid_op 0
		.amdhsa_exception_fp_denorm_src 0
		.amdhsa_exception_fp_ieee_div_zero 0
		.amdhsa_exception_fp_ieee_overflow 0
		.amdhsa_exception_fp_ieee_underflow 0
		.amdhsa_exception_fp_ieee_inexact 0
		.amdhsa_exception_int_div_zero 0
	.end_amdhsa_kernel
	.section	.text._ZN9rocsparseL21csrmvn_general_kernelILj256ELj8EiiaaiiEEvbT2_NS_24const_host_device_scalarIT6_EEPKT1_S7_PKS1_PKT3_PKT4_S4_PT5_21rocsparse_index_base_b,"axG",@progbits,_ZN9rocsparseL21csrmvn_general_kernelILj256ELj8EiiaaiiEEvbT2_NS_24const_host_device_scalarIT6_EEPKT1_S7_PKS1_PKT3_PKT4_S4_PT5_21rocsparse_index_base_b,comdat
.Lfunc_end134:
	.size	_ZN9rocsparseL21csrmvn_general_kernelILj256ELj8EiiaaiiEEvbT2_NS_24const_host_device_scalarIT6_EEPKT1_S7_PKS1_PKT3_PKT4_S4_PT5_21rocsparse_index_base_b, .Lfunc_end134-_ZN9rocsparseL21csrmvn_general_kernelILj256ELj8EiiaaiiEEvbT2_NS_24const_host_device_scalarIT6_EEPKT1_S7_PKS1_PKT3_PKT4_S4_PT5_21rocsparse_index_base_b
                                        ; -- End function
	.section	.AMDGPU.csdata,"",@progbits
; Kernel info:
; codeLenInByte = 1128
; NumSgprs: 41
; NumVgprs: 28
; NumAgprs: 0
; TotalNumVgprs: 28
; ScratchSize: 0
; MemoryBound: 0
; FloatMode: 240
; IeeeMode: 1
; LDSByteSize: 0 bytes/workgroup (compile time only)
; SGPRBlocks: 5
; VGPRBlocks: 3
; NumSGPRsForWavesPerEU: 41
; NumVGPRsForWavesPerEU: 28
; AccumOffset: 28
; Occupancy: 8
; WaveLimiterHint : 1
; COMPUTE_PGM_RSRC2:SCRATCH_EN: 0
; COMPUTE_PGM_RSRC2:USER_SGPR: 6
; COMPUTE_PGM_RSRC2:TRAP_HANDLER: 0
; COMPUTE_PGM_RSRC2:TGID_X_EN: 1
; COMPUTE_PGM_RSRC2:TGID_Y_EN: 0
; COMPUTE_PGM_RSRC2:TGID_Z_EN: 0
; COMPUTE_PGM_RSRC2:TIDIG_COMP_CNT: 0
; COMPUTE_PGM_RSRC3_GFX90A:ACCUM_OFFSET: 6
; COMPUTE_PGM_RSRC3_GFX90A:TG_SPLIT: 0
	.section	.text._ZN9rocsparseL21csrmvn_general_kernelILj256ELj16EiiaaiiEEvbT2_NS_24const_host_device_scalarIT6_EEPKT1_S7_PKS1_PKT3_PKT4_S4_PT5_21rocsparse_index_base_b,"axG",@progbits,_ZN9rocsparseL21csrmvn_general_kernelILj256ELj16EiiaaiiEEvbT2_NS_24const_host_device_scalarIT6_EEPKT1_S7_PKS1_PKT3_PKT4_S4_PT5_21rocsparse_index_base_b,comdat
	.globl	_ZN9rocsparseL21csrmvn_general_kernelILj256ELj16EiiaaiiEEvbT2_NS_24const_host_device_scalarIT6_EEPKT1_S7_PKS1_PKT3_PKT4_S4_PT5_21rocsparse_index_base_b ; -- Begin function _ZN9rocsparseL21csrmvn_general_kernelILj256ELj16EiiaaiiEEvbT2_NS_24const_host_device_scalarIT6_EEPKT1_S7_PKS1_PKT3_PKT4_S4_PT5_21rocsparse_index_base_b
	.p2align	8
	.type	_ZN9rocsparseL21csrmvn_general_kernelILj256ELj16EiiaaiiEEvbT2_NS_24const_host_device_scalarIT6_EEPKT1_S7_PKS1_PKT3_PKT4_S4_PT5_21rocsparse_index_base_b,@function
_ZN9rocsparseL21csrmvn_general_kernelILj256ELj16EiiaaiiEEvbT2_NS_24const_host_device_scalarIT6_EEPKT1_S7_PKS1_PKT3_PKT4_S4_PT5_21rocsparse_index_base_b: ; @_ZN9rocsparseL21csrmvn_general_kernelILj256ELj16EiiaaiiEEvbT2_NS_24const_host_device_scalarIT6_EEPKT1_S7_PKS1_PKT3_PKT4_S4_PT5_21rocsparse_index_base_b
; %bb.0:
	s_load_dwordx2 s[20:21], s[4:5], 0x48
	s_load_dwordx4 s[16:19], s[4:5], 0x8
	s_mov_b64 s[8:9], -1
	s_waitcnt lgkmcnt(0)
	s_bitcmp1_b32 s21, 0
	s_cselect_b64 s[0:1], -1, 0
	s_xor_b64 s[2:3], s[0:1], -1
	s_and_b64 vcc, exec, s[2:3]
                                        ; implicit-def: $sgpr21
	s_cbranch_vccnz .LBB135_4
; %bb.1:
	s_load_dwordx2 s[0:1], s[4:5], 0x38
	s_andn2_b64 vcc, exec, s[8:9]
	s_cbranch_vccz .LBB135_5
.LBB135_2:
	s_and_b64 vcc, exec, s[2:3]
	s_cbranch_vccz .LBB135_6
.LBB135_3:
	s_waitcnt lgkmcnt(0)
	s_load_dword s30, s[0:1], 0x0
	s_cbranch_execz .LBB135_7
	s_branch .LBB135_8
.LBB135_4:
	s_load_dword s21, s[16:17], 0x0
	s_load_dwordx2 s[0:1], s[4:5], 0x38
	s_cbranch_execnz .LBB135_2
.LBB135_5:
	s_waitcnt lgkmcnt(0)
	s_mov_b32 s21, s16
	s_and_b64 vcc, exec, s[2:3]
	s_cbranch_vccnz .LBB135_3
.LBB135_6:
                                        ; implicit-def: $sgpr30
.LBB135_7:
	s_waitcnt lgkmcnt(0)
	s_mov_b32 s30, s0
.LBB135_8:
	s_waitcnt lgkmcnt(0)
	s_cmp_lg_u32 s21, 0
	s_cselect_b64 s[0:1], -1, 0
	s_cmp_lg_u32 s30, 1
	s_cselect_b64 s[2:3], -1, 0
	s_or_b64 s[0:1], s[0:1], s[2:3]
	s_andn2_b64 vcc, exec, s[0:1]
	s_cbranch_vccnz .LBB135_28
; %bb.9:
	s_load_dword s31, s[4:5], 0x4
	v_lshl_or_b32 v1, s6, 8, v0
	v_lshrrev_b32_e32 v2, 4, v1
	s_waitcnt lgkmcnt(0)
	v_cmp_gt_i32_e32 vcc, s31, v2
	s_and_saveexec_b64 s[0:1], vcc
	s_cbranch_execz .LBB135_28
; %bb.10:
	s_load_dword s0, s[4:5], 0x50
	s_load_dwordx2 s[6:7], s[4:5], 0x40
	s_load_dwordx8 s[8:15], s[4:5], 0x18
	v_and_b32_e32 v0, 15, v0
	v_subrev_u32_e32 v12, s20, v0
	s_waitcnt lgkmcnt(0)
	s_lshl_b32 s33, s0, 4
	s_ashr_i32 s0, s20, 31
	s_sub_u32 s34, s14, s20
	s_subb_u32 s35, s15, s0
	v_cmp_eq_u32_e64 s[0:1], 15, v0
	s_cmp_lg_u32 s30, 0
	v_xad_u32 v13, v0, -1, s20
	v_or_b32_e32 v0, 16, v0
	s_cselect_b64 s[14:15], -1, 0
	v_subrev_u32_e32 v14, s20, v0
	s_mov_b32 s36, s21
	s_mov_b64 s[16:17], 0
	v_mov_b32_e32 v15, s19
	v_mov_b32_e32 v16, s9
	s_movk_i32 s9, 0xd0
	s_movk_i32 s19, 0xcf
	s_branch .LBB135_13
.LBB135_11:                             ;   in Loop: Header=BB135_13 Depth=1
	global_store_dword v[0:1], v4, off
.LBB135_12:                             ;   in Loop: Header=BB135_13 Depth=1
	s_or_b64 exec, exec, s[4:5]
	v_add_u32_e32 v2, s33, v2
	v_cmp_le_i32_e32 vcc, s31, v2
	s_or_b64 s[16:17], vcc, s[16:17]
	s_andn2_b64 exec, exec, s[16:17]
	s_cbranch_execz .LBB135_28
.LBB135_13:                             ; =>This Loop Header: Depth=1
                                        ;     Child Loop BB135_17 Depth 2
                                        ;     Child Loop BB135_22 Depth 2
	v_ashrrev_i32_e32 v3, 31, v2
	v_lshlrev_b64 v[0:1], 2, v[2:3]
	v_add_co_u32_e32 v6, vcc, s18, v0
	v_addc_co_u32_e32 v7, vcc, v15, v1, vcc
	v_add_co_u32_e32 v8, vcc, s8, v0
	v_addc_co_u32_e32 v9, vcc, v16, v1, vcc
	global_load_dword v3, v[8:9], off
	global_load_dword v5, v[6:7], off
	v_mov_b32_e32 v6, 0
	s_waitcnt vmcnt(1)
	v_subrev_u32_e32 v3, s20, v3
	s_waitcnt vmcnt(0)
	v_add_u32_e32 v4, v5, v12
	v_cmp_lt_i32_e32 vcc, v4, v3
	s_and_saveexec_b64 s[22:23], vcc
	s_cbranch_execz .LBB135_25
; %bb.14:                               ;   in Loop: Header=BB135_13 Depth=1
	v_add_u32_e32 v6, v14, v5
	v_max_i32_e32 v6, v6, v3
	v_add_u32_e32 v6, v13, v6
	v_sub_u32_e32 v5, v6, v5
	v_cmp_gt_u32_e32 vcc, s9, v5
	v_cmp_lt_u32_e64 s[2:3], s19, v5
	v_mov_b32_e32 v6, 0
	s_and_saveexec_b64 s[24:25], s[2:3]
	s_cbranch_execz .LBB135_20
; %bb.15:                               ;   in Loop: Header=BB135_13 Depth=1
	v_and_b32_e32 v6, -16, v5
	v_add_u32_e32 v6, v4, v6
	v_cmp_ge_i32_e64 s[2:3], v6, v4
	s_mov_b64 s[4:5], -1
	v_mov_b32_e32 v6, 0
	s_and_saveexec_b64 s[26:27], s[2:3]
	s_cbranch_execz .LBB135_19
; %bb.16:                               ;   in Loop: Header=BB135_13 Depth=1
	v_lshrrev_b32_e32 v5, 4, v5
	v_add_u32_e32 v17, 1, v5
	v_and_b32_e32 v18, 0x1ffffffe, v17
	v_add_u32_e32 v5, 16, v4
	s_mov_b64 s[28:29], 0
	v_mov_b32_e32 v6, 0
	v_mov_b32_e32 v19, v18
	v_pk_mov_b32 v[10:11], v[4:5], v[4:5] op_sel:[0,1]
	v_mov_b32_e32 v8, 0
.LBB135_17:                             ;   Parent Loop BB135_13 Depth=1
                                        ; =>  This Inner Loop Header: Depth=2
	v_ashrrev_i32_e32 v23, 31, v10
	v_mov_b32_e32 v22, v10
	v_lshlrev_b64 v[24:25], 2, v[22:23]
	v_ashrrev_i32_e32 v21, 31, v11
	v_mov_b32_e32 v20, v11
	v_mov_b32_e32 v5, s11
	v_add_co_u32_e64 v24, s[2:3], s10, v24
	v_lshlrev_b64 v[26:27], 2, v[20:21]
	v_addc_co_u32_e64 v25, s[2:3], v5, v25, s[2:3]
	v_add_co_u32_e64 v26, s[2:3], s10, v26
	v_addc_co_u32_e64 v27, s[2:3], v5, v27, s[2:3]
	global_load_dword v5, v[26:27], off
	global_load_dword v7, v[24:25], off
	v_mov_b32_e32 v9, s13
	v_add_co_u32_e64 v22, s[2:3], s12, v22
	v_addc_co_u32_e64 v23, s[2:3], v9, v23, s[2:3]
	v_add_co_u32_e64 v20, s[2:3], s12, v20
	v_addc_co_u32_e64 v21, s[2:3], v9, v21, s[2:3]
	v_mov_b32_e32 v25, s35
	global_load_sbyte v9, v[20:21], off
	global_load_sbyte v26, v[22:23], off
	v_mov_b32_e32 v24, s35
	v_add_u32_e32 v19, -2, v19
	v_add_u32_e32 v11, 32, v11
	v_add_u32_e32 v10, 32, v10
	s_waitcnt vmcnt(3)
	v_ashrrev_i32_e32 v21, 31, v5
	v_add_co_u32_e64 v20, s[2:3], s34, v5
	s_waitcnt vmcnt(2)
	v_ashrrev_i32_e32 v23, 31, v7
	v_add_co_u32_e64 v22, s[4:5], s34, v7
	v_addc_co_u32_e64 v21, s[2:3], v25, v21, s[2:3]
	v_addc_co_u32_e64 v23, s[4:5], v24, v23, s[4:5]
	global_load_sbyte v5, v[20:21], off
	global_load_sbyte v7, v[22:23], off
	v_cmp_eq_u32_e64 s[2:3], 0, v19
	s_waitcnt vmcnt(2)
	v_mul_lo_u32 v20, s21, v26
	v_mul_lo_u32 v9, s36, v9
	s_or_b64 s[28:29], s[2:3], s[28:29]
	s_waitcnt vmcnt(1)
	v_mad_u64_u32 v[8:9], s[2:3], v9, v5, v[8:9]
	s_waitcnt vmcnt(0)
	v_mad_u64_u32 v[6:7], s[2:3], v20, v7, v[6:7]
	s_andn2_b64 exec, exec, s[28:29]
	s_cbranch_execnz .LBB135_17
; %bb.18:                               ;   in Loop: Header=BB135_13 Depth=1
	s_or_b64 exec, exec, s[28:29]
	v_mov_b32_e32 v5, v8
	v_cmp_ne_u32_e64 s[2:3], v17, v18
	v_lshl_add_u32 v4, v18, 4, v4
	v_add_u32_e32 v6, v6, v5
	s_orn2_b64 s[4:5], s[2:3], exec
.LBB135_19:                             ;   in Loop: Header=BB135_13 Depth=1
	s_or_b64 exec, exec, s[26:27]
	s_andn2_b64 s[2:3], vcc, exec
	s_and_b64 s[4:5], s[4:5], exec
	s_or_b64 vcc, s[2:3], s[4:5]
.LBB135_20:                             ;   in Loop: Header=BB135_13 Depth=1
	s_or_b64 exec, exec, s[24:25]
	s_and_saveexec_b64 s[2:3], vcc
	s_cbranch_execz .LBB135_24
; %bb.21:                               ;   in Loop: Header=BB135_13 Depth=1
	s_mov_b64 s[4:5], 0
.LBB135_22:                             ;   Parent Loop BB135_13 Depth=1
                                        ; =>  This Inner Loop Header: Depth=2
	v_ashrrev_i32_e32 v5, 31, v4
	v_lshlrev_b64 v[8:9], 2, v[4:5]
	v_mov_b32_e32 v7, s11
	v_add_co_u32_e32 v8, vcc, s10, v8
	v_addc_co_u32_e32 v9, vcc, v7, v9, vcc
	global_load_dword v7, v[8:9], off
	v_mov_b32_e32 v9, s13
	v_add_co_u32_e32 v8, vcc, s12, v4
	v_addc_co_u32_e32 v9, vcc, v9, v5, vcc
	v_mov_b32_e32 v10, s35
	global_load_sbyte v5, v[8:9], off
	v_add_u32_e32 v4, 16, v4
	s_waitcnt vmcnt(1)
	v_ashrrev_i32_e32 v9, 31, v7
	v_add_co_u32_e32 v8, vcc, s34, v7
	v_addc_co_u32_e32 v9, vcc, v10, v9, vcc
	global_load_sbyte v7, v[8:9], off
	v_cmp_ge_i32_e32 vcc, v4, v3
	s_waitcnt vmcnt(1)
	v_mul_lo_u32 v5, s21, v5
	s_or_b64 s[4:5], vcc, s[4:5]
	s_waitcnt vmcnt(0)
	v_mad_u64_u32 v[6:7], s[24:25], v5, v7, v[6:7]
	s_andn2_b64 exec, exec, s[4:5]
	s_cbranch_execnz .LBB135_22
; %bb.23:                               ;   in Loop: Header=BB135_13 Depth=1
	s_or_b64 exec, exec, s[4:5]
.LBB135_24:                             ;   in Loop: Header=BB135_13 Depth=1
	s_or_b64 exec, exec, s[2:3]
.LBB135_25:                             ;   in Loop: Header=BB135_13 Depth=1
	s_or_b64 exec, exec, s[22:23]
	v_mov_b32_dpp v3, v6 row_shr:1 row_mask:0xf bank_mask:0xf
	v_add_u32_e32 v3, v3, v6
	s_nop 1
	v_mov_b32_dpp v4, v3 row_shr:2 row_mask:0xf bank_mask:0xf
	v_add_u32_e32 v3, v3, v4
	s_nop 1
	;; [unrolled: 3-line block ×3, first 2 shown]
	v_mov_b32_dpp v4, v3 row_shr:8 row_mask:0xf bank_mask:0xc
	s_and_saveexec_b64 s[4:5], s[0:1]
	s_cbranch_execz .LBB135_12
; %bb.26:                               ;   in Loop: Header=BB135_13 Depth=1
	v_add_u32_e32 v4, v3, v4
	v_mov_b32_e32 v3, s7
	v_add_co_u32_e64 v0, s[2:3], s6, v0
	s_andn2_b64 vcc, exec, s[14:15]
	v_addc_co_u32_e64 v1, s[2:3], v3, v1, s[2:3]
	s_cbranch_vccnz .LBB135_11
; %bb.27:                               ;   in Loop: Header=BB135_13 Depth=1
	global_load_dword v3, v[0:1], off
	s_waitcnt vmcnt(0)
	v_mad_u64_u32 v[4:5], s[2:3], v3, s30, v[4:5]
	s_branch .LBB135_11
.LBB135_28:
	s_endpgm
	.section	.rodata,"a",@progbits
	.p2align	6, 0x0
	.amdhsa_kernel _ZN9rocsparseL21csrmvn_general_kernelILj256ELj16EiiaaiiEEvbT2_NS_24const_host_device_scalarIT6_EEPKT1_S7_PKS1_PKT3_PKT4_S4_PT5_21rocsparse_index_base_b
		.amdhsa_group_segment_fixed_size 0
		.amdhsa_private_segment_fixed_size 0
		.amdhsa_kernarg_size 336
		.amdhsa_user_sgpr_count 6
		.amdhsa_user_sgpr_private_segment_buffer 1
		.amdhsa_user_sgpr_dispatch_ptr 0
		.amdhsa_user_sgpr_queue_ptr 0
		.amdhsa_user_sgpr_kernarg_segment_ptr 1
		.amdhsa_user_sgpr_dispatch_id 0
		.amdhsa_user_sgpr_flat_scratch_init 0
		.amdhsa_user_sgpr_kernarg_preload_length 0
		.amdhsa_user_sgpr_kernarg_preload_offset 0
		.amdhsa_user_sgpr_private_segment_size 0
		.amdhsa_uses_dynamic_stack 0
		.amdhsa_system_sgpr_private_segment_wavefront_offset 0
		.amdhsa_system_sgpr_workgroup_id_x 1
		.amdhsa_system_sgpr_workgroup_id_y 0
		.amdhsa_system_sgpr_workgroup_id_z 0
		.amdhsa_system_sgpr_workgroup_info 0
		.amdhsa_system_vgpr_workitem_id 0
		.amdhsa_next_free_vgpr 28
		.amdhsa_next_free_sgpr 37
		.amdhsa_accum_offset 28
		.amdhsa_reserve_vcc 1
		.amdhsa_reserve_flat_scratch 0
		.amdhsa_float_round_mode_32 0
		.amdhsa_float_round_mode_16_64 0
		.amdhsa_float_denorm_mode_32 3
		.amdhsa_float_denorm_mode_16_64 3
		.amdhsa_dx10_clamp 1
		.amdhsa_ieee_mode 1
		.amdhsa_fp16_overflow 0
		.amdhsa_tg_split 0
		.amdhsa_exception_fp_ieee_invalid_op 0
		.amdhsa_exception_fp_denorm_src 0
		.amdhsa_exception_fp_ieee_div_zero 0
		.amdhsa_exception_fp_ieee_overflow 0
		.amdhsa_exception_fp_ieee_underflow 0
		.amdhsa_exception_fp_ieee_inexact 0
		.amdhsa_exception_int_div_zero 0
	.end_amdhsa_kernel
	.section	.text._ZN9rocsparseL21csrmvn_general_kernelILj256ELj16EiiaaiiEEvbT2_NS_24const_host_device_scalarIT6_EEPKT1_S7_PKS1_PKT3_PKT4_S4_PT5_21rocsparse_index_base_b,"axG",@progbits,_ZN9rocsparseL21csrmvn_general_kernelILj256ELj16EiiaaiiEEvbT2_NS_24const_host_device_scalarIT6_EEPKT1_S7_PKS1_PKT3_PKT4_S4_PT5_21rocsparse_index_base_b,comdat
.Lfunc_end135:
	.size	_ZN9rocsparseL21csrmvn_general_kernelILj256ELj16EiiaaiiEEvbT2_NS_24const_host_device_scalarIT6_EEPKT1_S7_PKS1_PKT3_PKT4_S4_PT5_21rocsparse_index_base_b, .Lfunc_end135-_ZN9rocsparseL21csrmvn_general_kernelILj256ELj16EiiaaiiEEvbT2_NS_24const_host_device_scalarIT6_EEPKT1_S7_PKS1_PKT3_PKT4_S4_PT5_21rocsparse_index_base_b
                                        ; -- End function
	.section	.AMDGPU.csdata,"",@progbits
; Kernel info:
; codeLenInByte = 1144
; NumSgprs: 41
; NumVgprs: 28
; NumAgprs: 0
; TotalNumVgprs: 28
; ScratchSize: 0
; MemoryBound: 0
; FloatMode: 240
; IeeeMode: 1
; LDSByteSize: 0 bytes/workgroup (compile time only)
; SGPRBlocks: 5
; VGPRBlocks: 3
; NumSGPRsForWavesPerEU: 41
; NumVGPRsForWavesPerEU: 28
; AccumOffset: 28
; Occupancy: 8
; WaveLimiterHint : 1
; COMPUTE_PGM_RSRC2:SCRATCH_EN: 0
; COMPUTE_PGM_RSRC2:USER_SGPR: 6
; COMPUTE_PGM_RSRC2:TRAP_HANDLER: 0
; COMPUTE_PGM_RSRC2:TGID_X_EN: 1
; COMPUTE_PGM_RSRC2:TGID_Y_EN: 0
; COMPUTE_PGM_RSRC2:TGID_Z_EN: 0
; COMPUTE_PGM_RSRC2:TIDIG_COMP_CNT: 0
; COMPUTE_PGM_RSRC3_GFX90A:ACCUM_OFFSET: 6
; COMPUTE_PGM_RSRC3_GFX90A:TG_SPLIT: 0
	.section	.text._ZN9rocsparseL21csrmvn_general_kernelILj256ELj32EiiaaiiEEvbT2_NS_24const_host_device_scalarIT6_EEPKT1_S7_PKS1_PKT3_PKT4_S4_PT5_21rocsparse_index_base_b,"axG",@progbits,_ZN9rocsparseL21csrmvn_general_kernelILj256ELj32EiiaaiiEEvbT2_NS_24const_host_device_scalarIT6_EEPKT1_S7_PKS1_PKT3_PKT4_S4_PT5_21rocsparse_index_base_b,comdat
	.globl	_ZN9rocsparseL21csrmvn_general_kernelILj256ELj32EiiaaiiEEvbT2_NS_24const_host_device_scalarIT6_EEPKT1_S7_PKS1_PKT3_PKT4_S4_PT5_21rocsparse_index_base_b ; -- Begin function _ZN9rocsparseL21csrmvn_general_kernelILj256ELj32EiiaaiiEEvbT2_NS_24const_host_device_scalarIT6_EEPKT1_S7_PKS1_PKT3_PKT4_S4_PT5_21rocsparse_index_base_b
	.p2align	8
	.type	_ZN9rocsparseL21csrmvn_general_kernelILj256ELj32EiiaaiiEEvbT2_NS_24const_host_device_scalarIT6_EEPKT1_S7_PKS1_PKT3_PKT4_S4_PT5_21rocsparse_index_base_b,@function
_ZN9rocsparseL21csrmvn_general_kernelILj256ELj32EiiaaiiEEvbT2_NS_24const_host_device_scalarIT6_EEPKT1_S7_PKS1_PKT3_PKT4_S4_PT5_21rocsparse_index_base_b: ; @_ZN9rocsparseL21csrmvn_general_kernelILj256ELj32EiiaaiiEEvbT2_NS_24const_host_device_scalarIT6_EEPKT1_S7_PKS1_PKT3_PKT4_S4_PT5_21rocsparse_index_base_b
; %bb.0:
	s_load_dwordx2 s[20:21], s[4:5], 0x48
	s_load_dwordx4 s[16:19], s[4:5], 0x8
	s_mov_b64 s[8:9], -1
	s_waitcnt lgkmcnt(0)
	s_bitcmp1_b32 s21, 0
	s_cselect_b64 s[0:1], -1, 0
	s_xor_b64 s[2:3], s[0:1], -1
	s_and_b64 vcc, exec, s[2:3]
                                        ; implicit-def: $sgpr21
	s_cbranch_vccnz .LBB136_4
; %bb.1:
	s_load_dwordx2 s[0:1], s[4:5], 0x38
	s_andn2_b64 vcc, exec, s[8:9]
	s_cbranch_vccz .LBB136_5
.LBB136_2:
	s_and_b64 vcc, exec, s[2:3]
	s_cbranch_vccz .LBB136_6
.LBB136_3:
	s_waitcnt lgkmcnt(0)
	s_load_dword s30, s[0:1], 0x0
	s_cbranch_execz .LBB136_7
	s_branch .LBB136_8
.LBB136_4:
	s_load_dword s21, s[16:17], 0x0
	s_load_dwordx2 s[0:1], s[4:5], 0x38
	s_cbranch_execnz .LBB136_2
.LBB136_5:
	s_waitcnt lgkmcnt(0)
	s_mov_b32 s21, s16
	s_and_b64 vcc, exec, s[2:3]
	s_cbranch_vccnz .LBB136_3
.LBB136_6:
                                        ; implicit-def: $sgpr30
.LBB136_7:
	s_waitcnt lgkmcnt(0)
	s_mov_b32 s30, s0
.LBB136_8:
	s_waitcnt lgkmcnt(0)
	s_cmp_lg_u32 s21, 0
	s_cselect_b64 s[0:1], -1, 0
	s_cmp_lg_u32 s30, 1
	s_cselect_b64 s[2:3], -1, 0
	s_or_b64 s[0:1], s[0:1], s[2:3]
	s_andn2_b64 vcc, exec, s[0:1]
	s_cbranch_vccnz .LBB136_28
; %bb.9:
	s_load_dword s31, s[4:5], 0x4
	v_lshl_or_b32 v1, s6, 8, v0
	v_lshrrev_b32_e32 v2, 5, v1
	s_waitcnt lgkmcnt(0)
	v_cmp_gt_i32_e32 vcc, s31, v2
	s_and_saveexec_b64 s[0:1], vcc
	s_cbranch_execz .LBB136_28
; %bb.10:
	s_load_dword s0, s[4:5], 0x50
	s_load_dwordx2 s[6:7], s[4:5], 0x40
	s_load_dwordx8 s[8:15], s[4:5], 0x18
	v_and_b32_e32 v0, 31, v0
	v_subrev_u32_e32 v12, s20, v0
	s_waitcnt lgkmcnt(0)
	s_lshl_b32 s33, s0, 3
	s_ashr_i32 s0, s20, 31
	s_sub_u32 s34, s14, s20
	s_subb_u32 s35, s15, s0
	v_cmp_eq_u32_e64 s[0:1], 31, v0
	s_cmp_lg_u32 s30, 0
	v_xad_u32 v13, v0, -1, s20
	v_or_b32_e32 v0, 32, v0
	s_cselect_b64 s[14:15], -1, 0
	v_subrev_u32_e32 v14, s20, v0
	s_mov_b32 s36, s21
	s_mov_b64 s[16:17], 0
	v_mov_b32_e32 v15, s19
	v_mov_b32_e32 v16, s9
	s_movk_i32 s9, 0x1a0
	s_movk_i32 s19, 0x19f
	s_branch .LBB136_13
.LBB136_11:                             ;   in Loop: Header=BB136_13 Depth=1
	global_store_dword v[0:1], v4, off
.LBB136_12:                             ;   in Loop: Header=BB136_13 Depth=1
	s_or_b64 exec, exec, s[4:5]
	v_add_u32_e32 v2, s33, v2
	v_cmp_le_i32_e32 vcc, s31, v2
	s_or_b64 s[16:17], vcc, s[16:17]
	s_andn2_b64 exec, exec, s[16:17]
	s_cbranch_execz .LBB136_28
.LBB136_13:                             ; =>This Loop Header: Depth=1
                                        ;     Child Loop BB136_17 Depth 2
                                        ;     Child Loop BB136_22 Depth 2
	v_ashrrev_i32_e32 v3, 31, v2
	v_lshlrev_b64 v[0:1], 2, v[2:3]
	v_add_co_u32_e32 v6, vcc, s18, v0
	v_addc_co_u32_e32 v7, vcc, v15, v1, vcc
	v_add_co_u32_e32 v8, vcc, s8, v0
	v_addc_co_u32_e32 v9, vcc, v16, v1, vcc
	global_load_dword v3, v[8:9], off
	global_load_dword v5, v[6:7], off
	v_mov_b32_e32 v6, 0
	s_waitcnt vmcnt(1)
	v_subrev_u32_e32 v3, s20, v3
	s_waitcnt vmcnt(0)
	v_add_u32_e32 v4, v5, v12
	v_cmp_lt_i32_e32 vcc, v4, v3
	s_and_saveexec_b64 s[22:23], vcc
	s_cbranch_execz .LBB136_25
; %bb.14:                               ;   in Loop: Header=BB136_13 Depth=1
	v_add_u32_e32 v6, v14, v5
	v_max_i32_e32 v6, v6, v3
	v_add_u32_e32 v6, v13, v6
	v_sub_u32_e32 v5, v6, v5
	v_cmp_gt_u32_e32 vcc, s9, v5
	v_cmp_lt_u32_e64 s[2:3], s19, v5
	v_mov_b32_e32 v6, 0
	s_and_saveexec_b64 s[24:25], s[2:3]
	s_cbranch_execz .LBB136_20
; %bb.15:                               ;   in Loop: Header=BB136_13 Depth=1
	v_and_b32_e32 v6, 0xffffffe0, v5
	v_add_u32_e32 v6, v4, v6
	v_cmp_ge_i32_e64 s[2:3], v6, v4
	s_mov_b64 s[4:5], -1
	v_mov_b32_e32 v6, 0
	s_and_saveexec_b64 s[26:27], s[2:3]
	s_cbranch_execz .LBB136_19
; %bb.16:                               ;   in Loop: Header=BB136_13 Depth=1
	v_lshrrev_b32_e32 v5, 5, v5
	v_add_u32_e32 v17, 1, v5
	v_and_b32_e32 v18, 0xffffffe, v17
	v_add_u32_e32 v5, 32, v4
	s_mov_b64 s[28:29], 0
	v_mov_b32_e32 v6, 0
	v_mov_b32_e32 v19, v18
	v_pk_mov_b32 v[10:11], v[4:5], v[4:5] op_sel:[0,1]
	v_mov_b32_e32 v8, 0
.LBB136_17:                             ;   Parent Loop BB136_13 Depth=1
                                        ; =>  This Inner Loop Header: Depth=2
	v_ashrrev_i32_e32 v23, 31, v10
	v_mov_b32_e32 v22, v10
	v_lshlrev_b64 v[24:25], 2, v[22:23]
	v_ashrrev_i32_e32 v21, 31, v11
	v_mov_b32_e32 v20, v11
	v_mov_b32_e32 v5, s11
	v_add_co_u32_e64 v24, s[2:3], s10, v24
	v_lshlrev_b64 v[26:27], 2, v[20:21]
	v_addc_co_u32_e64 v25, s[2:3], v5, v25, s[2:3]
	v_add_co_u32_e64 v26, s[2:3], s10, v26
	v_addc_co_u32_e64 v27, s[2:3], v5, v27, s[2:3]
	global_load_dword v5, v[26:27], off
	global_load_dword v7, v[24:25], off
	v_mov_b32_e32 v9, s13
	v_add_co_u32_e64 v22, s[2:3], s12, v22
	v_addc_co_u32_e64 v23, s[2:3], v9, v23, s[2:3]
	v_add_co_u32_e64 v20, s[2:3], s12, v20
	v_addc_co_u32_e64 v21, s[2:3], v9, v21, s[2:3]
	v_mov_b32_e32 v25, s35
	global_load_sbyte v9, v[20:21], off
	global_load_sbyte v26, v[22:23], off
	v_mov_b32_e32 v24, s35
	v_add_u32_e32 v19, -2, v19
	v_add_u32_e32 v11, 64, v11
	v_add_u32_e32 v10, 64, v10
	s_waitcnt vmcnt(3)
	v_ashrrev_i32_e32 v21, 31, v5
	v_add_co_u32_e64 v20, s[2:3], s34, v5
	s_waitcnt vmcnt(2)
	v_ashrrev_i32_e32 v23, 31, v7
	v_add_co_u32_e64 v22, s[4:5], s34, v7
	v_addc_co_u32_e64 v21, s[2:3], v25, v21, s[2:3]
	v_addc_co_u32_e64 v23, s[4:5], v24, v23, s[4:5]
	global_load_sbyte v5, v[20:21], off
	global_load_sbyte v7, v[22:23], off
	v_cmp_eq_u32_e64 s[2:3], 0, v19
	s_waitcnt vmcnt(2)
	v_mul_lo_u32 v20, s21, v26
	v_mul_lo_u32 v9, s36, v9
	s_or_b64 s[28:29], s[2:3], s[28:29]
	s_waitcnt vmcnt(1)
	v_mad_u64_u32 v[8:9], s[2:3], v9, v5, v[8:9]
	s_waitcnt vmcnt(0)
	v_mad_u64_u32 v[6:7], s[2:3], v20, v7, v[6:7]
	s_andn2_b64 exec, exec, s[28:29]
	s_cbranch_execnz .LBB136_17
; %bb.18:                               ;   in Loop: Header=BB136_13 Depth=1
	s_or_b64 exec, exec, s[28:29]
	v_mov_b32_e32 v5, v8
	v_cmp_ne_u32_e64 s[2:3], v17, v18
	v_lshl_add_u32 v4, v18, 5, v4
	v_add_u32_e32 v6, v6, v5
	s_orn2_b64 s[4:5], s[2:3], exec
.LBB136_19:                             ;   in Loop: Header=BB136_13 Depth=1
	s_or_b64 exec, exec, s[26:27]
	s_andn2_b64 s[2:3], vcc, exec
	s_and_b64 s[4:5], s[4:5], exec
	s_or_b64 vcc, s[2:3], s[4:5]
.LBB136_20:                             ;   in Loop: Header=BB136_13 Depth=1
	s_or_b64 exec, exec, s[24:25]
	s_and_saveexec_b64 s[2:3], vcc
	s_cbranch_execz .LBB136_24
; %bb.21:                               ;   in Loop: Header=BB136_13 Depth=1
	s_mov_b64 s[4:5], 0
.LBB136_22:                             ;   Parent Loop BB136_13 Depth=1
                                        ; =>  This Inner Loop Header: Depth=2
	v_ashrrev_i32_e32 v5, 31, v4
	v_lshlrev_b64 v[8:9], 2, v[4:5]
	v_mov_b32_e32 v7, s11
	v_add_co_u32_e32 v8, vcc, s10, v8
	v_addc_co_u32_e32 v9, vcc, v7, v9, vcc
	global_load_dword v7, v[8:9], off
	v_mov_b32_e32 v9, s13
	v_add_co_u32_e32 v8, vcc, s12, v4
	v_addc_co_u32_e32 v9, vcc, v9, v5, vcc
	v_mov_b32_e32 v10, s35
	global_load_sbyte v5, v[8:9], off
	v_add_u32_e32 v4, 32, v4
	s_waitcnt vmcnt(1)
	v_ashrrev_i32_e32 v9, 31, v7
	v_add_co_u32_e32 v8, vcc, s34, v7
	v_addc_co_u32_e32 v9, vcc, v10, v9, vcc
	global_load_sbyte v7, v[8:9], off
	v_cmp_ge_i32_e32 vcc, v4, v3
	s_waitcnt vmcnt(1)
	v_mul_lo_u32 v5, s21, v5
	s_or_b64 s[4:5], vcc, s[4:5]
	s_waitcnt vmcnt(0)
	v_mad_u64_u32 v[6:7], s[24:25], v5, v7, v[6:7]
	s_andn2_b64 exec, exec, s[4:5]
	s_cbranch_execnz .LBB136_22
; %bb.23:                               ;   in Loop: Header=BB136_13 Depth=1
	s_or_b64 exec, exec, s[4:5]
.LBB136_24:                             ;   in Loop: Header=BB136_13 Depth=1
	s_or_b64 exec, exec, s[2:3]
.LBB136_25:                             ;   in Loop: Header=BB136_13 Depth=1
	s_or_b64 exec, exec, s[22:23]
	v_mov_b32_dpp v3, v6 row_shr:1 row_mask:0xf bank_mask:0xf
	v_add_u32_e32 v3, v3, v6
	s_nop 1
	v_mov_b32_dpp v4, v3 row_shr:2 row_mask:0xf bank_mask:0xf
	v_add_u32_e32 v3, v3, v4
	s_nop 1
	;; [unrolled: 3-line block ×4, first 2 shown]
	v_mov_b32_dpp v4, v3 row_bcast:15 row_mask:0xa bank_mask:0xf
	s_and_saveexec_b64 s[4:5], s[0:1]
	s_cbranch_execz .LBB136_12
; %bb.26:                               ;   in Loop: Header=BB136_13 Depth=1
	v_add_u32_e32 v4, v3, v4
	v_mov_b32_e32 v3, s7
	v_add_co_u32_e64 v0, s[2:3], s6, v0
	s_andn2_b64 vcc, exec, s[14:15]
	v_addc_co_u32_e64 v1, s[2:3], v3, v1, s[2:3]
	s_cbranch_vccnz .LBB136_11
; %bb.27:                               ;   in Loop: Header=BB136_13 Depth=1
	global_load_dword v3, v[0:1], off
	s_waitcnt vmcnt(0)
	v_mad_u64_u32 v[4:5], s[2:3], v3, s30, v[4:5]
	s_branch .LBB136_11
.LBB136_28:
	s_endpgm
	.section	.rodata,"a",@progbits
	.p2align	6, 0x0
	.amdhsa_kernel _ZN9rocsparseL21csrmvn_general_kernelILj256ELj32EiiaaiiEEvbT2_NS_24const_host_device_scalarIT6_EEPKT1_S7_PKS1_PKT3_PKT4_S4_PT5_21rocsparse_index_base_b
		.amdhsa_group_segment_fixed_size 0
		.amdhsa_private_segment_fixed_size 0
		.amdhsa_kernarg_size 336
		.amdhsa_user_sgpr_count 6
		.amdhsa_user_sgpr_private_segment_buffer 1
		.amdhsa_user_sgpr_dispatch_ptr 0
		.amdhsa_user_sgpr_queue_ptr 0
		.amdhsa_user_sgpr_kernarg_segment_ptr 1
		.amdhsa_user_sgpr_dispatch_id 0
		.amdhsa_user_sgpr_flat_scratch_init 0
		.amdhsa_user_sgpr_kernarg_preload_length 0
		.amdhsa_user_sgpr_kernarg_preload_offset 0
		.amdhsa_user_sgpr_private_segment_size 0
		.amdhsa_uses_dynamic_stack 0
		.amdhsa_system_sgpr_private_segment_wavefront_offset 0
		.amdhsa_system_sgpr_workgroup_id_x 1
		.amdhsa_system_sgpr_workgroup_id_y 0
		.amdhsa_system_sgpr_workgroup_id_z 0
		.amdhsa_system_sgpr_workgroup_info 0
		.amdhsa_system_vgpr_workitem_id 0
		.amdhsa_next_free_vgpr 28
		.amdhsa_next_free_sgpr 37
		.amdhsa_accum_offset 28
		.amdhsa_reserve_vcc 1
		.amdhsa_reserve_flat_scratch 0
		.amdhsa_float_round_mode_32 0
		.amdhsa_float_round_mode_16_64 0
		.amdhsa_float_denorm_mode_32 3
		.amdhsa_float_denorm_mode_16_64 3
		.amdhsa_dx10_clamp 1
		.amdhsa_ieee_mode 1
		.amdhsa_fp16_overflow 0
		.amdhsa_tg_split 0
		.amdhsa_exception_fp_ieee_invalid_op 0
		.amdhsa_exception_fp_denorm_src 0
		.amdhsa_exception_fp_ieee_div_zero 0
		.amdhsa_exception_fp_ieee_overflow 0
		.amdhsa_exception_fp_ieee_underflow 0
		.amdhsa_exception_fp_ieee_inexact 0
		.amdhsa_exception_int_div_zero 0
	.end_amdhsa_kernel
	.section	.text._ZN9rocsparseL21csrmvn_general_kernelILj256ELj32EiiaaiiEEvbT2_NS_24const_host_device_scalarIT6_EEPKT1_S7_PKS1_PKT3_PKT4_S4_PT5_21rocsparse_index_base_b,"axG",@progbits,_ZN9rocsparseL21csrmvn_general_kernelILj256ELj32EiiaaiiEEvbT2_NS_24const_host_device_scalarIT6_EEPKT1_S7_PKS1_PKT3_PKT4_S4_PT5_21rocsparse_index_base_b,comdat
.Lfunc_end136:
	.size	_ZN9rocsparseL21csrmvn_general_kernelILj256ELj32EiiaaiiEEvbT2_NS_24const_host_device_scalarIT6_EEPKT1_S7_PKS1_PKT3_PKT4_S4_PT5_21rocsparse_index_base_b, .Lfunc_end136-_ZN9rocsparseL21csrmvn_general_kernelILj256ELj32EiiaaiiEEvbT2_NS_24const_host_device_scalarIT6_EEPKT1_S7_PKS1_PKT3_PKT4_S4_PT5_21rocsparse_index_base_b
                                        ; -- End function
	.section	.AMDGPU.csdata,"",@progbits
; Kernel info:
; codeLenInByte = 1164
; NumSgprs: 41
; NumVgprs: 28
; NumAgprs: 0
; TotalNumVgprs: 28
; ScratchSize: 0
; MemoryBound: 0
; FloatMode: 240
; IeeeMode: 1
; LDSByteSize: 0 bytes/workgroup (compile time only)
; SGPRBlocks: 5
; VGPRBlocks: 3
; NumSGPRsForWavesPerEU: 41
; NumVGPRsForWavesPerEU: 28
; AccumOffset: 28
; Occupancy: 8
; WaveLimiterHint : 1
; COMPUTE_PGM_RSRC2:SCRATCH_EN: 0
; COMPUTE_PGM_RSRC2:USER_SGPR: 6
; COMPUTE_PGM_RSRC2:TRAP_HANDLER: 0
; COMPUTE_PGM_RSRC2:TGID_X_EN: 1
; COMPUTE_PGM_RSRC2:TGID_Y_EN: 0
; COMPUTE_PGM_RSRC2:TGID_Z_EN: 0
; COMPUTE_PGM_RSRC2:TIDIG_COMP_CNT: 0
; COMPUTE_PGM_RSRC3_GFX90A:ACCUM_OFFSET: 6
; COMPUTE_PGM_RSRC3_GFX90A:TG_SPLIT: 0
	.section	.text._ZN9rocsparseL21csrmvn_general_kernelILj256ELj64EiiaaiiEEvbT2_NS_24const_host_device_scalarIT6_EEPKT1_S7_PKS1_PKT3_PKT4_S4_PT5_21rocsparse_index_base_b,"axG",@progbits,_ZN9rocsparseL21csrmvn_general_kernelILj256ELj64EiiaaiiEEvbT2_NS_24const_host_device_scalarIT6_EEPKT1_S7_PKS1_PKT3_PKT4_S4_PT5_21rocsparse_index_base_b,comdat
	.globl	_ZN9rocsparseL21csrmvn_general_kernelILj256ELj64EiiaaiiEEvbT2_NS_24const_host_device_scalarIT6_EEPKT1_S7_PKS1_PKT3_PKT4_S4_PT5_21rocsparse_index_base_b ; -- Begin function _ZN9rocsparseL21csrmvn_general_kernelILj256ELj64EiiaaiiEEvbT2_NS_24const_host_device_scalarIT6_EEPKT1_S7_PKS1_PKT3_PKT4_S4_PT5_21rocsparse_index_base_b
	.p2align	8
	.type	_ZN9rocsparseL21csrmvn_general_kernelILj256ELj64EiiaaiiEEvbT2_NS_24const_host_device_scalarIT6_EEPKT1_S7_PKS1_PKT3_PKT4_S4_PT5_21rocsparse_index_base_b,@function
_ZN9rocsparseL21csrmvn_general_kernelILj256ELj64EiiaaiiEEvbT2_NS_24const_host_device_scalarIT6_EEPKT1_S7_PKS1_PKT3_PKT4_S4_PT5_21rocsparse_index_base_b: ; @_ZN9rocsparseL21csrmvn_general_kernelILj256ELj64EiiaaiiEEvbT2_NS_24const_host_device_scalarIT6_EEPKT1_S7_PKS1_PKT3_PKT4_S4_PT5_21rocsparse_index_base_b
; %bb.0:
	s_load_dwordx2 s[20:21], s[4:5], 0x48
	s_load_dwordx4 s[16:19], s[4:5], 0x8
	s_mov_b64 s[8:9], -1
	s_waitcnt lgkmcnt(0)
	s_bitcmp1_b32 s21, 0
	s_cselect_b64 s[0:1], -1, 0
	s_xor_b64 s[2:3], s[0:1], -1
	s_and_b64 vcc, exec, s[2:3]
                                        ; implicit-def: $sgpr21
	s_cbranch_vccnz .LBB137_4
; %bb.1:
	s_load_dwordx2 s[0:1], s[4:5], 0x38
	s_andn2_b64 vcc, exec, s[8:9]
	s_cbranch_vccz .LBB137_5
.LBB137_2:
	s_and_b64 vcc, exec, s[2:3]
	s_cbranch_vccz .LBB137_6
.LBB137_3:
	s_waitcnt lgkmcnt(0)
	s_load_dword s30, s[0:1], 0x0
	s_cbranch_execz .LBB137_7
	s_branch .LBB137_8
.LBB137_4:
	s_load_dword s21, s[16:17], 0x0
	s_load_dwordx2 s[0:1], s[4:5], 0x38
	s_cbranch_execnz .LBB137_2
.LBB137_5:
	s_waitcnt lgkmcnt(0)
	s_mov_b32 s21, s16
	s_and_b64 vcc, exec, s[2:3]
	s_cbranch_vccnz .LBB137_3
.LBB137_6:
                                        ; implicit-def: $sgpr30
.LBB137_7:
	s_waitcnt lgkmcnt(0)
	s_mov_b32 s30, s0
.LBB137_8:
	s_waitcnt lgkmcnt(0)
	s_cmp_lg_u32 s21, 0
	s_cselect_b64 s[0:1], -1, 0
	s_cmp_lg_u32 s30, 1
	s_cselect_b64 s[2:3], -1, 0
	s_or_b64 s[0:1], s[0:1], s[2:3]
	s_andn2_b64 vcc, exec, s[0:1]
	s_cbranch_vccnz .LBB137_28
; %bb.9:
	s_load_dword s31, s[4:5], 0x4
	v_lshl_or_b32 v1, s6, 8, v0
	v_lshrrev_b32_e32 v2, 6, v1
	s_waitcnt lgkmcnt(0)
	v_cmp_gt_i32_e32 vcc, s31, v2
	s_and_saveexec_b64 s[0:1], vcc
	s_cbranch_execz .LBB137_28
; %bb.10:
	s_load_dword s0, s[4:5], 0x50
	s_load_dwordx2 s[6:7], s[4:5], 0x40
	s_load_dwordx8 s[8:15], s[4:5], 0x18
	v_and_b32_e32 v0, 63, v0
	v_subrev_u32_e32 v12, s20, v0
	s_waitcnt lgkmcnt(0)
	s_lshl_b32 s33, s0, 2
	s_ashr_i32 s0, s20, 31
	s_sub_u32 s34, s14, s20
	s_subb_u32 s35, s15, s0
	v_cmp_eq_u32_e64 s[0:1], 63, v0
	s_cmp_lg_u32 s30, 0
	v_xad_u32 v13, v0, -1, s20
	v_or_b32_e32 v0, 64, v0
	s_cselect_b64 s[14:15], -1, 0
	v_subrev_u32_e32 v14, s20, v0
	s_mov_b32 s36, s21
	s_mov_b64 s[16:17], 0
	v_mov_b32_e32 v15, s19
	v_mov_b32_e32 v16, s9
	s_movk_i32 s9, 0x340
	s_movk_i32 s19, 0x33f
	s_branch .LBB137_13
.LBB137_11:                             ;   in Loop: Header=BB137_13 Depth=1
	global_store_dword v[0:1], v4, off
.LBB137_12:                             ;   in Loop: Header=BB137_13 Depth=1
	s_or_b64 exec, exec, s[4:5]
	v_add_u32_e32 v2, s33, v2
	v_cmp_le_i32_e32 vcc, s31, v2
	s_or_b64 s[16:17], vcc, s[16:17]
	s_andn2_b64 exec, exec, s[16:17]
	s_cbranch_execz .LBB137_28
.LBB137_13:                             ; =>This Loop Header: Depth=1
                                        ;     Child Loop BB137_17 Depth 2
                                        ;     Child Loop BB137_22 Depth 2
	v_ashrrev_i32_e32 v3, 31, v2
	v_lshlrev_b64 v[0:1], 2, v[2:3]
	v_add_co_u32_e32 v6, vcc, s18, v0
	v_addc_co_u32_e32 v7, vcc, v15, v1, vcc
	v_add_co_u32_e32 v8, vcc, s8, v0
	v_addc_co_u32_e32 v9, vcc, v16, v1, vcc
	global_load_dword v3, v[8:9], off
	global_load_dword v5, v[6:7], off
	v_mov_b32_e32 v6, 0
	s_waitcnt vmcnt(1)
	v_subrev_u32_e32 v3, s20, v3
	s_waitcnt vmcnt(0)
	v_add_u32_e32 v4, v5, v12
	v_cmp_lt_i32_e32 vcc, v4, v3
	s_and_saveexec_b64 s[22:23], vcc
	s_cbranch_execz .LBB137_25
; %bb.14:                               ;   in Loop: Header=BB137_13 Depth=1
	v_add_u32_e32 v6, v14, v5
	v_max_i32_e32 v6, v6, v3
	v_add_u32_e32 v6, v13, v6
	v_sub_u32_e32 v5, v6, v5
	v_cmp_gt_u32_e32 vcc, s9, v5
	v_cmp_lt_u32_e64 s[2:3], s19, v5
	v_mov_b32_e32 v6, 0
	s_and_saveexec_b64 s[24:25], s[2:3]
	s_cbranch_execz .LBB137_20
; %bb.15:                               ;   in Loop: Header=BB137_13 Depth=1
	v_and_b32_e32 v6, 0xffffffc0, v5
	v_add_u32_e32 v6, v4, v6
	v_cmp_ge_i32_e64 s[2:3], v6, v4
	s_mov_b64 s[4:5], -1
	v_mov_b32_e32 v6, 0
	s_and_saveexec_b64 s[26:27], s[2:3]
	s_cbranch_execz .LBB137_19
; %bb.16:                               ;   in Loop: Header=BB137_13 Depth=1
	v_lshrrev_b32_e32 v5, 6, v5
	v_add_u32_e32 v17, 1, v5
	v_and_b32_e32 v18, 0x7fffffe, v17
	v_add_u32_e32 v5, 64, v4
	s_mov_b64 s[28:29], 0
	v_mov_b32_e32 v6, 0
	v_mov_b32_e32 v19, v18
	v_pk_mov_b32 v[10:11], v[4:5], v[4:5] op_sel:[0,1]
	v_mov_b32_e32 v8, 0
.LBB137_17:                             ;   Parent Loop BB137_13 Depth=1
                                        ; =>  This Inner Loop Header: Depth=2
	v_ashrrev_i32_e32 v23, 31, v10
	v_mov_b32_e32 v22, v10
	v_lshlrev_b64 v[24:25], 2, v[22:23]
	v_ashrrev_i32_e32 v21, 31, v11
	v_mov_b32_e32 v20, v11
	v_mov_b32_e32 v5, s11
	v_add_co_u32_e64 v24, s[2:3], s10, v24
	v_lshlrev_b64 v[26:27], 2, v[20:21]
	v_addc_co_u32_e64 v25, s[2:3], v5, v25, s[2:3]
	v_add_co_u32_e64 v26, s[2:3], s10, v26
	v_addc_co_u32_e64 v27, s[2:3], v5, v27, s[2:3]
	global_load_dword v5, v[26:27], off
	global_load_dword v7, v[24:25], off
	v_mov_b32_e32 v9, s13
	v_add_co_u32_e64 v22, s[2:3], s12, v22
	v_addc_co_u32_e64 v23, s[2:3], v9, v23, s[2:3]
	v_add_co_u32_e64 v20, s[2:3], s12, v20
	v_addc_co_u32_e64 v21, s[2:3], v9, v21, s[2:3]
	v_mov_b32_e32 v25, s35
	global_load_sbyte v9, v[20:21], off
	global_load_sbyte v26, v[22:23], off
	v_mov_b32_e32 v24, s35
	v_add_u32_e32 v19, -2, v19
	v_add_u32_e32 v11, 0x80, v11
	v_add_u32_e32 v10, 0x80, v10
	s_waitcnt vmcnt(3)
	v_ashrrev_i32_e32 v21, 31, v5
	v_add_co_u32_e64 v20, s[2:3], s34, v5
	s_waitcnt vmcnt(2)
	v_ashrrev_i32_e32 v23, 31, v7
	v_add_co_u32_e64 v22, s[4:5], s34, v7
	v_addc_co_u32_e64 v21, s[2:3], v25, v21, s[2:3]
	v_addc_co_u32_e64 v23, s[4:5], v24, v23, s[4:5]
	global_load_sbyte v5, v[20:21], off
	global_load_sbyte v7, v[22:23], off
	v_cmp_eq_u32_e64 s[2:3], 0, v19
	s_waitcnt vmcnt(2)
	v_mul_lo_u32 v20, s21, v26
	v_mul_lo_u32 v9, s36, v9
	s_or_b64 s[28:29], s[2:3], s[28:29]
	s_waitcnt vmcnt(1)
	v_mad_u64_u32 v[8:9], s[2:3], v9, v5, v[8:9]
	s_waitcnt vmcnt(0)
	v_mad_u64_u32 v[6:7], s[2:3], v20, v7, v[6:7]
	s_andn2_b64 exec, exec, s[28:29]
	s_cbranch_execnz .LBB137_17
; %bb.18:                               ;   in Loop: Header=BB137_13 Depth=1
	s_or_b64 exec, exec, s[28:29]
	v_mov_b32_e32 v5, v8
	v_cmp_ne_u32_e64 s[2:3], v17, v18
	v_lshl_add_u32 v4, v18, 6, v4
	v_add_u32_e32 v6, v6, v5
	s_orn2_b64 s[4:5], s[2:3], exec
.LBB137_19:                             ;   in Loop: Header=BB137_13 Depth=1
	s_or_b64 exec, exec, s[26:27]
	s_andn2_b64 s[2:3], vcc, exec
	s_and_b64 s[4:5], s[4:5], exec
	s_or_b64 vcc, s[2:3], s[4:5]
.LBB137_20:                             ;   in Loop: Header=BB137_13 Depth=1
	s_or_b64 exec, exec, s[24:25]
	s_and_saveexec_b64 s[2:3], vcc
	s_cbranch_execz .LBB137_24
; %bb.21:                               ;   in Loop: Header=BB137_13 Depth=1
	s_mov_b64 s[4:5], 0
.LBB137_22:                             ;   Parent Loop BB137_13 Depth=1
                                        ; =>  This Inner Loop Header: Depth=2
	v_ashrrev_i32_e32 v5, 31, v4
	v_lshlrev_b64 v[8:9], 2, v[4:5]
	v_mov_b32_e32 v7, s11
	v_add_co_u32_e32 v8, vcc, s10, v8
	v_addc_co_u32_e32 v9, vcc, v7, v9, vcc
	global_load_dword v7, v[8:9], off
	v_mov_b32_e32 v9, s13
	v_add_co_u32_e32 v8, vcc, s12, v4
	v_addc_co_u32_e32 v9, vcc, v9, v5, vcc
	v_mov_b32_e32 v10, s35
	global_load_sbyte v5, v[8:9], off
	v_add_u32_e32 v4, 64, v4
	s_waitcnt vmcnt(1)
	v_ashrrev_i32_e32 v9, 31, v7
	v_add_co_u32_e32 v8, vcc, s34, v7
	v_addc_co_u32_e32 v9, vcc, v10, v9, vcc
	global_load_sbyte v7, v[8:9], off
	v_cmp_ge_i32_e32 vcc, v4, v3
	s_waitcnt vmcnt(1)
	v_mul_lo_u32 v5, s21, v5
	s_or_b64 s[4:5], vcc, s[4:5]
	s_waitcnt vmcnt(0)
	v_mad_u64_u32 v[6:7], s[24:25], v5, v7, v[6:7]
	s_andn2_b64 exec, exec, s[4:5]
	s_cbranch_execnz .LBB137_22
; %bb.23:                               ;   in Loop: Header=BB137_13 Depth=1
	s_or_b64 exec, exec, s[4:5]
.LBB137_24:                             ;   in Loop: Header=BB137_13 Depth=1
	s_or_b64 exec, exec, s[2:3]
.LBB137_25:                             ;   in Loop: Header=BB137_13 Depth=1
	s_or_b64 exec, exec, s[22:23]
	v_mov_b32_dpp v3, v6 row_shr:1 row_mask:0xf bank_mask:0xf
	v_add_u32_e32 v3, v3, v6
	s_nop 1
	v_mov_b32_dpp v4, v3 row_shr:2 row_mask:0xf bank_mask:0xf
	v_add_u32_e32 v3, v3, v4
	s_nop 1
	;; [unrolled: 3-line block ×4, first 2 shown]
	v_mov_b32_dpp v4, v3 row_bcast:15 row_mask:0xa bank_mask:0xf
	v_add_u32_e32 v3, v3, v4
	s_nop 1
	v_mov_b32_dpp v4, v3 row_bcast:31 row_mask:0xc bank_mask:0xf
	s_and_saveexec_b64 s[4:5], s[0:1]
	s_cbranch_execz .LBB137_12
; %bb.26:                               ;   in Loop: Header=BB137_13 Depth=1
	v_add_u32_e32 v4, v3, v4
	v_mov_b32_e32 v3, s7
	v_add_co_u32_e64 v0, s[2:3], s6, v0
	s_andn2_b64 vcc, exec, s[14:15]
	v_addc_co_u32_e64 v1, s[2:3], v3, v1, s[2:3]
	s_cbranch_vccnz .LBB137_11
; %bb.27:                               ;   in Loop: Header=BB137_13 Depth=1
	global_load_dword v3, v[0:1], off
	s_waitcnt vmcnt(0)
	v_mad_u64_u32 v[4:5], s[2:3], v3, s30, v[4:5]
	s_branch .LBB137_11
.LBB137_28:
	s_endpgm
	.section	.rodata,"a",@progbits
	.p2align	6, 0x0
	.amdhsa_kernel _ZN9rocsparseL21csrmvn_general_kernelILj256ELj64EiiaaiiEEvbT2_NS_24const_host_device_scalarIT6_EEPKT1_S7_PKS1_PKT3_PKT4_S4_PT5_21rocsparse_index_base_b
		.amdhsa_group_segment_fixed_size 0
		.amdhsa_private_segment_fixed_size 0
		.amdhsa_kernarg_size 336
		.amdhsa_user_sgpr_count 6
		.amdhsa_user_sgpr_private_segment_buffer 1
		.amdhsa_user_sgpr_dispatch_ptr 0
		.amdhsa_user_sgpr_queue_ptr 0
		.amdhsa_user_sgpr_kernarg_segment_ptr 1
		.amdhsa_user_sgpr_dispatch_id 0
		.amdhsa_user_sgpr_flat_scratch_init 0
		.amdhsa_user_sgpr_kernarg_preload_length 0
		.amdhsa_user_sgpr_kernarg_preload_offset 0
		.amdhsa_user_sgpr_private_segment_size 0
		.amdhsa_uses_dynamic_stack 0
		.amdhsa_system_sgpr_private_segment_wavefront_offset 0
		.amdhsa_system_sgpr_workgroup_id_x 1
		.amdhsa_system_sgpr_workgroup_id_y 0
		.amdhsa_system_sgpr_workgroup_id_z 0
		.amdhsa_system_sgpr_workgroup_info 0
		.amdhsa_system_vgpr_workitem_id 0
		.amdhsa_next_free_vgpr 28
		.amdhsa_next_free_sgpr 37
		.amdhsa_accum_offset 28
		.amdhsa_reserve_vcc 1
		.amdhsa_reserve_flat_scratch 0
		.amdhsa_float_round_mode_32 0
		.amdhsa_float_round_mode_16_64 0
		.amdhsa_float_denorm_mode_32 3
		.amdhsa_float_denorm_mode_16_64 3
		.amdhsa_dx10_clamp 1
		.amdhsa_ieee_mode 1
		.amdhsa_fp16_overflow 0
		.amdhsa_tg_split 0
		.amdhsa_exception_fp_ieee_invalid_op 0
		.amdhsa_exception_fp_denorm_src 0
		.amdhsa_exception_fp_ieee_div_zero 0
		.amdhsa_exception_fp_ieee_overflow 0
		.amdhsa_exception_fp_ieee_underflow 0
		.amdhsa_exception_fp_ieee_inexact 0
		.amdhsa_exception_int_div_zero 0
	.end_amdhsa_kernel
	.section	.text._ZN9rocsparseL21csrmvn_general_kernelILj256ELj64EiiaaiiEEvbT2_NS_24const_host_device_scalarIT6_EEPKT1_S7_PKS1_PKT3_PKT4_S4_PT5_21rocsparse_index_base_b,"axG",@progbits,_ZN9rocsparseL21csrmvn_general_kernelILj256ELj64EiiaaiiEEvbT2_NS_24const_host_device_scalarIT6_EEPKT1_S7_PKS1_PKT3_PKT4_S4_PT5_21rocsparse_index_base_b,comdat
.Lfunc_end137:
	.size	_ZN9rocsparseL21csrmvn_general_kernelILj256ELj64EiiaaiiEEvbT2_NS_24const_host_device_scalarIT6_EEPKT1_S7_PKS1_PKT3_PKT4_S4_PT5_21rocsparse_index_base_b, .Lfunc_end137-_ZN9rocsparseL21csrmvn_general_kernelILj256ELj64EiiaaiiEEvbT2_NS_24const_host_device_scalarIT6_EEPKT1_S7_PKS1_PKT3_PKT4_S4_PT5_21rocsparse_index_base_b
                                        ; -- End function
	.section	.AMDGPU.csdata,"",@progbits
; Kernel info:
; codeLenInByte = 1188
; NumSgprs: 41
; NumVgprs: 28
; NumAgprs: 0
; TotalNumVgprs: 28
; ScratchSize: 0
; MemoryBound: 0
; FloatMode: 240
; IeeeMode: 1
; LDSByteSize: 0 bytes/workgroup (compile time only)
; SGPRBlocks: 5
; VGPRBlocks: 3
; NumSGPRsForWavesPerEU: 41
; NumVGPRsForWavesPerEU: 28
; AccumOffset: 28
; Occupancy: 8
; WaveLimiterHint : 1
; COMPUTE_PGM_RSRC2:SCRATCH_EN: 0
; COMPUTE_PGM_RSRC2:USER_SGPR: 6
; COMPUTE_PGM_RSRC2:TRAP_HANDLER: 0
; COMPUTE_PGM_RSRC2:TGID_X_EN: 1
; COMPUTE_PGM_RSRC2:TGID_Y_EN: 0
; COMPUTE_PGM_RSRC2:TGID_Z_EN: 0
; COMPUTE_PGM_RSRC2:TIDIG_COMP_CNT: 0
; COMPUTE_PGM_RSRC3_GFX90A:ACCUM_OFFSET: 6
; COMPUTE_PGM_RSRC3_GFX90A:TG_SPLIT: 0
	.section	.text._ZN9rocsparseL21csrmvt_general_kernelILj256ELj4EiiaaiiEEvbbT2_NS_24const_host_device_scalarIT6_EEPKT1_S7_PKS1_PKT3_PKT4_PT5_21rocsparse_index_base_b,"axG",@progbits,_ZN9rocsparseL21csrmvt_general_kernelILj256ELj4EiiaaiiEEvbbT2_NS_24const_host_device_scalarIT6_EEPKT1_S7_PKS1_PKT3_PKT4_PT5_21rocsparse_index_base_b,comdat
	.globl	_ZN9rocsparseL21csrmvt_general_kernelILj256ELj4EiiaaiiEEvbbT2_NS_24const_host_device_scalarIT6_EEPKT1_S7_PKS1_PKT3_PKT4_PT5_21rocsparse_index_base_b ; -- Begin function _ZN9rocsparseL21csrmvt_general_kernelILj256ELj4EiiaaiiEEvbbT2_NS_24const_host_device_scalarIT6_EEPKT1_S7_PKS1_PKT3_PKT4_PT5_21rocsparse_index_base_b
	.p2align	8
	.type	_ZN9rocsparseL21csrmvt_general_kernelILj256ELj4EiiaaiiEEvbbT2_NS_24const_host_device_scalarIT6_EEPKT1_S7_PKS1_PKT3_PKT4_PT5_21rocsparse_index_base_b,@function
_ZN9rocsparseL21csrmvt_general_kernelILj256ELj4EiiaaiiEEvbbT2_NS_24const_host_device_scalarIT6_EEPKT1_S7_PKS1_PKT3_PKT4_PT5_21rocsparse_index_base_b: ; @_ZN9rocsparseL21csrmvt_general_kernelILj256ELj4EiiaaiiEEvbbT2_NS_24const_host_device_scalarIT6_EEPKT1_S7_PKS1_PKT3_PKT4_PT5_21rocsparse_index_base_b
; %bb.0:
	s_load_dwordx2 s[16:17], s[4:5], 0x40
	s_load_dwordx4 s[0:3], s[4:5], 0x8
	s_waitcnt lgkmcnt(0)
	s_bitcmp0_b32 s17, 0
	s_cbranch_scc0 .LBB138_2
; %bb.1:
	s_load_dword s17, s[0:1], 0x0
	s_cbranch_execz .LBB138_3
	s_branch .LBB138_4
.LBB138_2:
                                        ; implicit-def: $sgpr17
.LBB138_3:
	s_waitcnt lgkmcnt(0)
	s_mov_b32 s17, s0
.LBB138_4:
	s_waitcnt lgkmcnt(0)
	s_cmp_eq_u32 s17, 0
	s_cbranch_scc1 .LBB138_22
; %bb.5:
	s_load_dwordx2 s[18:19], s[4:5], 0x0
	s_load_dword s0, s[4:5], 0x48
	s_load_dwordx2 s[20:21], s[4:5], 0x38
	s_load_dwordx8 s[8:15], s[4:5], 0x18
	v_and_b32_e32 v1, 3, v0
	v_lshl_or_b32 v0, s6, 8, v0
	s_waitcnt lgkmcnt(0)
	s_and_b32 s1, s18, 1
	s_lshl_b32 s18, s0, 6
	v_lshrrev_b32_e32 v0, 2, v0
	s_cmp_eq_u32 s1, 0
	v_cmp_gt_i32_e64 s[0:1], s19, v0
	s_mov_b64 s[4:5], -1
	s_cbranch_scc0 .LBB138_13
; %bb.6:
	s_and_saveexec_b64 s[4:5], s[0:1]
	s_cbranch_execz .LBB138_12
; %bb.7:
	v_subrev_u32_e32 v6, s16, v1
	s_mov_b64 s[6:7], 0
	v_mov_b32_e32 v7, s3
	v_mov_b32_e32 v8, s9
	;; [unrolled: 1-line block ×3, first 2 shown]
	s_branch .LBB138_9
.LBB138_8:                              ;   in Loop: Header=BB138_9 Depth=1
	s_or_b64 exec, exec, s[22:23]
	v_add_u32_e32 v2, s18, v2
	v_cmp_le_i32_e32 vcc, s19, v2
	s_or_b64 s[6:7], vcc, s[6:7]
	s_andn2_b64 exec, exec, s[6:7]
	s_cbranch_execz .LBB138_12
.LBB138_9:                              ; =>This Loop Header: Depth=1
                                        ;     Child Loop BB138_11 Depth 2
	v_ashrrev_i32_e32 v3, 31, v2
	v_lshlrev_b64 v[4:5], 2, v[2:3]
	v_add_co_u32_e32 v10, vcc, s2, v4
	v_addc_co_u32_e32 v11, vcc, v7, v5, vcc
	v_add_co_u32_e32 v4, vcc, s8, v4
	v_addc_co_u32_e32 v5, vcc, v8, v5, vcc
	global_load_dword v9, v[4:5], off
	global_load_dword v12, v[10:11], off
	s_waitcnt vmcnt(1)
	v_subrev_u32_e32 v9, s16, v9
	s_waitcnt vmcnt(0)
	v_add_u32_e32 v4, v12, v6
	v_cmp_lt_i32_e32 vcc, v4, v9
	s_and_saveexec_b64 s[22:23], vcc
	s_cbranch_execz .LBB138_8
; %bb.10:                               ;   in Loop: Header=BB138_9 Depth=1
	v_mov_b32_e32 v5, s15
	v_add_co_u32_e32 v10, vcc, s14, v2
	v_addc_co_u32_e32 v11, vcc, v5, v3, vcc
	global_load_sbyte v3, v[10:11], off
	s_mov_b64 s[24:25], 0
	s_waitcnt vmcnt(0)
	v_mul_lo_u32 v3, s17, v3
.LBB138_11:                             ;   Parent Loop BB138_9 Depth=1
                                        ; =>  This Inner Loop Header: Depth=2
	v_ashrrev_i32_e32 v5, 31, v4
	v_lshlrev_b64 v[10:11], 2, v[4:5]
	v_mov_b32_e32 v12, s11
	v_add_co_u32_e32 v10, vcc, s10, v10
	v_addc_co_u32_e32 v11, vcc, v12, v11, vcc
	global_load_dword v12, v[10:11], off
	v_mov_b32_e32 v11, s13
	v_add_co_u32_e32 v10, vcc, s12, v4
	v_addc_co_u32_e32 v11, vcc, v11, v5, vcc
	global_load_sbyte v5, v[10:11], off
	v_mov_b32_e32 v13, s21
	v_add_u32_e32 v4, 4, v4
	s_waitcnt vmcnt(1)
	v_subrev_u32_e32 v10, s16, v12
	v_ashrrev_i32_e32 v11, 31, v10
	v_lshlrev_b64 v[10:11], 2, v[10:11]
	v_add_co_u32_e32 v10, vcc, s20, v10
	v_addc_co_u32_e32 v11, vcc, v13, v11, vcc
	s_waitcnt vmcnt(0)
	v_mul_lo_u32 v5, v3, v5
	global_atomic_add v[10:11], v5, off
	v_cmp_ge_i32_e32 vcc, v4, v9
	s_or_b64 s[24:25], vcc, s[24:25]
	s_andn2_b64 exec, exec, s[24:25]
	s_cbranch_execnz .LBB138_11
	s_branch .LBB138_8
.LBB138_12:
	s_or_b64 exec, exec, s[4:5]
	s_mov_b64 s[4:5], 0
.LBB138_13:
	s_andn2_b64 vcc, exec, s[4:5]
	s_cbranch_vccnz .LBB138_22
; %bb.14:
	s_and_saveexec_b64 s[4:5], s[0:1]
	s_cbranch_execz .LBB138_22
; %bb.15:
	v_subrev_u32_e32 v6, s16, v1
	s_mov_b64 s[0:1], 0
	v_mov_b32_e32 v7, s3
	v_mov_b32_e32 v8, s9
	s_branch .LBB138_17
.LBB138_16:                             ;   in Loop: Header=BB138_17 Depth=1
	s_or_b64 exec, exec, s[4:5]
	v_add_u32_e32 v0, s18, v0
	v_cmp_le_i32_e32 vcc, s19, v0
	s_or_b64 s[0:1], vcc, s[0:1]
	s_andn2_b64 exec, exec, s[0:1]
	s_cbranch_execz .LBB138_22
.LBB138_17:                             ; =>This Loop Header: Depth=1
                                        ;     Child Loop BB138_20 Depth 2
	v_ashrrev_i32_e32 v1, 31, v0
	v_lshlrev_b64 v[2:3], 2, v[0:1]
	v_add_co_u32_e32 v4, vcc, s2, v2
	v_addc_co_u32_e32 v5, vcc, v7, v3, vcc
	v_add_co_u32_e32 v2, vcc, s8, v2
	v_addc_co_u32_e32 v3, vcc, v8, v3, vcc
	global_load_dword v9, v[2:3], off
	global_load_dword v10, v[4:5], off
	s_waitcnt vmcnt(1)
	v_subrev_u32_e32 v9, s16, v9
	s_waitcnt vmcnt(0)
	v_add_u32_e32 v2, v10, v6
	v_cmp_lt_i32_e32 vcc, v2, v9
	s_and_saveexec_b64 s[4:5], vcc
	s_cbranch_execz .LBB138_16
; %bb.18:                               ;   in Loop: Header=BB138_17 Depth=1
	v_mov_b32_e32 v3, s15
	v_add_co_u32_e32 v4, vcc, s14, v0
	v_addc_co_u32_e32 v5, vcc, v3, v1, vcc
	global_load_sbyte v1, v[4:5], off
	s_mov_b64 s[6:7], 0
	s_waitcnt vmcnt(0)
	v_mul_lo_u32 v1, s17, v1
	s_branch .LBB138_20
.LBB138_19:                             ;   in Loop: Header=BB138_20 Depth=2
	s_or_b64 exec, exec, s[22:23]
	v_add_u32_e32 v2, 4, v2
	v_cmp_ge_i32_e32 vcc, v2, v9
	s_or_b64 s[6:7], vcc, s[6:7]
	s_andn2_b64 exec, exec, s[6:7]
	s_cbranch_execz .LBB138_16
.LBB138_20:                             ;   Parent Loop BB138_17 Depth=1
                                        ; =>  This Inner Loop Header: Depth=2
	v_ashrrev_i32_e32 v3, 31, v2
	v_lshlrev_b64 v[4:5], 2, v[2:3]
	v_mov_b32_e32 v10, s11
	v_add_co_u32_e32 v4, vcc, s10, v4
	v_addc_co_u32_e32 v5, vcc, v10, v5, vcc
	global_load_dword v4, v[4:5], off
	s_waitcnt vmcnt(0)
	v_subrev_u32_e32 v4, s16, v4
	v_cmp_ne_u32_e32 vcc, v4, v0
	s_and_saveexec_b64 s[22:23], vcc
	s_cbranch_execz .LBB138_19
; %bb.21:                               ;   in Loop: Header=BB138_20 Depth=2
	v_mov_b32_e32 v5, s13
	v_add_co_u32_e32 v10, vcc, s12, v2
	v_addc_co_u32_e32 v11, vcc, v5, v3, vcc
	global_load_sbyte v3, v[10:11], off
	v_ashrrev_i32_e32 v5, 31, v4
	v_lshlrev_b64 v[4:5], 2, v[4:5]
	v_mov_b32_e32 v10, s21
	v_add_co_u32_e32 v4, vcc, s20, v4
	v_addc_co_u32_e32 v5, vcc, v10, v5, vcc
	s_waitcnt vmcnt(0)
	v_mul_lo_u32 v3, v1, v3
	global_atomic_add v[4:5], v3, off
	s_branch .LBB138_19
.LBB138_22:
	s_endpgm
	.section	.rodata,"a",@progbits
	.p2align	6, 0x0
	.amdhsa_kernel _ZN9rocsparseL21csrmvt_general_kernelILj256ELj4EiiaaiiEEvbbT2_NS_24const_host_device_scalarIT6_EEPKT1_S7_PKS1_PKT3_PKT4_PT5_21rocsparse_index_base_b
		.amdhsa_group_segment_fixed_size 0
		.amdhsa_private_segment_fixed_size 0
		.amdhsa_kernarg_size 328
		.amdhsa_user_sgpr_count 6
		.amdhsa_user_sgpr_private_segment_buffer 1
		.amdhsa_user_sgpr_dispatch_ptr 0
		.amdhsa_user_sgpr_queue_ptr 0
		.amdhsa_user_sgpr_kernarg_segment_ptr 1
		.amdhsa_user_sgpr_dispatch_id 0
		.amdhsa_user_sgpr_flat_scratch_init 0
		.amdhsa_user_sgpr_kernarg_preload_length 0
		.amdhsa_user_sgpr_kernarg_preload_offset 0
		.amdhsa_user_sgpr_private_segment_size 0
		.amdhsa_uses_dynamic_stack 0
		.amdhsa_system_sgpr_private_segment_wavefront_offset 0
		.amdhsa_system_sgpr_workgroup_id_x 1
		.amdhsa_system_sgpr_workgroup_id_y 0
		.amdhsa_system_sgpr_workgroup_id_z 0
		.amdhsa_system_sgpr_workgroup_info 0
		.amdhsa_system_vgpr_workitem_id 0
		.amdhsa_next_free_vgpr 14
		.amdhsa_next_free_sgpr 26
		.amdhsa_accum_offset 16
		.amdhsa_reserve_vcc 1
		.amdhsa_reserve_flat_scratch 0
		.amdhsa_float_round_mode_32 0
		.amdhsa_float_round_mode_16_64 0
		.amdhsa_float_denorm_mode_32 3
		.amdhsa_float_denorm_mode_16_64 3
		.amdhsa_dx10_clamp 1
		.amdhsa_ieee_mode 1
		.amdhsa_fp16_overflow 0
		.amdhsa_tg_split 0
		.amdhsa_exception_fp_ieee_invalid_op 0
		.amdhsa_exception_fp_denorm_src 0
		.amdhsa_exception_fp_ieee_div_zero 0
		.amdhsa_exception_fp_ieee_overflow 0
		.amdhsa_exception_fp_ieee_underflow 0
		.amdhsa_exception_fp_ieee_inexact 0
		.amdhsa_exception_int_div_zero 0
	.end_amdhsa_kernel
	.section	.text._ZN9rocsparseL21csrmvt_general_kernelILj256ELj4EiiaaiiEEvbbT2_NS_24const_host_device_scalarIT6_EEPKT1_S7_PKS1_PKT3_PKT4_PT5_21rocsparse_index_base_b,"axG",@progbits,_ZN9rocsparseL21csrmvt_general_kernelILj256ELj4EiiaaiiEEvbbT2_NS_24const_host_device_scalarIT6_EEPKT1_S7_PKS1_PKT3_PKT4_PT5_21rocsparse_index_base_b,comdat
.Lfunc_end138:
	.size	_ZN9rocsparseL21csrmvt_general_kernelILj256ELj4EiiaaiiEEvbbT2_NS_24const_host_device_scalarIT6_EEPKT1_S7_PKS1_PKT3_PKT4_PT5_21rocsparse_index_base_b, .Lfunc_end138-_ZN9rocsparseL21csrmvt_general_kernelILj256ELj4EiiaaiiEEvbbT2_NS_24const_host_device_scalarIT6_EEPKT1_S7_PKS1_PKT3_PKT4_PT5_21rocsparse_index_base_b
                                        ; -- End function
	.section	.AMDGPU.csdata,"",@progbits
; Kernel info:
; codeLenInByte = 764
; NumSgprs: 30
; NumVgprs: 14
; NumAgprs: 0
; TotalNumVgprs: 14
; ScratchSize: 0
; MemoryBound: 0
; FloatMode: 240
; IeeeMode: 1
; LDSByteSize: 0 bytes/workgroup (compile time only)
; SGPRBlocks: 3
; VGPRBlocks: 1
; NumSGPRsForWavesPerEU: 30
; NumVGPRsForWavesPerEU: 14
; AccumOffset: 16
; Occupancy: 8
; WaveLimiterHint : 1
; COMPUTE_PGM_RSRC2:SCRATCH_EN: 0
; COMPUTE_PGM_RSRC2:USER_SGPR: 6
; COMPUTE_PGM_RSRC2:TRAP_HANDLER: 0
; COMPUTE_PGM_RSRC2:TGID_X_EN: 1
; COMPUTE_PGM_RSRC2:TGID_Y_EN: 0
; COMPUTE_PGM_RSRC2:TGID_Z_EN: 0
; COMPUTE_PGM_RSRC2:TIDIG_COMP_CNT: 0
; COMPUTE_PGM_RSRC3_GFX90A:ACCUM_OFFSET: 3
; COMPUTE_PGM_RSRC3_GFX90A:TG_SPLIT: 0
	.section	.text._ZN9rocsparseL21csrmvt_general_kernelILj256ELj8EiiaaiiEEvbbT2_NS_24const_host_device_scalarIT6_EEPKT1_S7_PKS1_PKT3_PKT4_PT5_21rocsparse_index_base_b,"axG",@progbits,_ZN9rocsparseL21csrmvt_general_kernelILj256ELj8EiiaaiiEEvbbT2_NS_24const_host_device_scalarIT6_EEPKT1_S7_PKS1_PKT3_PKT4_PT5_21rocsparse_index_base_b,comdat
	.globl	_ZN9rocsparseL21csrmvt_general_kernelILj256ELj8EiiaaiiEEvbbT2_NS_24const_host_device_scalarIT6_EEPKT1_S7_PKS1_PKT3_PKT4_PT5_21rocsparse_index_base_b ; -- Begin function _ZN9rocsparseL21csrmvt_general_kernelILj256ELj8EiiaaiiEEvbbT2_NS_24const_host_device_scalarIT6_EEPKT1_S7_PKS1_PKT3_PKT4_PT5_21rocsparse_index_base_b
	.p2align	8
	.type	_ZN9rocsparseL21csrmvt_general_kernelILj256ELj8EiiaaiiEEvbbT2_NS_24const_host_device_scalarIT6_EEPKT1_S7_PKS1_PKT3_PKT4_PT5_21rocsparse_index_base_b,@function
_ZN9rocsparseL21csrmvt_general_kernelILj256ELj8EiiaaiiEEvbbT2_NS_24const_host_device_scalarIT6_EEPKT1_S7_PKS1_PKT3_PKT4_PT5_21rocsparse_index_base_b: ; @_ZN9rocsparseL21csrmvt_general_kernelILj256ELj8EiiaaiiEEvbbT2_NS_24const_host_device_scalarIT6_EEPKT1_S7_PKS1_PKT3_PKT4_PT5_21rocsparse_index_base_b
; %bb.0:
	s_load_dwordx2 s[16:17], s[4:5], 0x40
	s_load_dwordx4 s[0:3], s[4:5], 0x8
	s_waitcnt lgkmcnt(0)
	s_bitcmp0_b32 s17, 0
	s_cbranch_scc0 .LBB139_2
; %bb.1:
	s_load_dword s17, s[0:1], 0x0
	s_cbranch_execz .LBB139_3
	s_branch .LBB139_4
.LBB139_2:
                                        ; implicit-def: $sgpr17
.LBB139_3:
	s_waitcnt lgkmcnt(0)
	s_mov_b32 s17, s0
.LBB139_4:
	s_waitcnt lgkmcnt(0)
	s_cmp_eq_u32 s17, 0
	s_cbranch_scc1 .LBB139_22
; %bb.5:
	s_load_dwordx2 s[18:19], s[4:5], 0x0
	s_load_dword s0, s[4:5], 0x48
	s_load_dwordx2 s[20:21], s[4:5], 0x38
	s_load_dwordx8 s[8:15], s[4:5], 0x18
	v_and_b32_e32 v1, 7, v0
	v_lshl_or_b32 v0, s6, 8, v0
	s_waitcnt lgkmcnt(0)
	s_and_b32 s1, s18, 1
	s_lshl_b32 s18, s0, 5
	v_lshrrev_b32_e32 v0, 3, v0
	s_cmp_eq_u32 s1, 0
	v_cmp_gt_i32_e64 s[0:1], s19, v0
	s_mov_b64 s[4:5], -1
	s_cbranch_scc0 .LBB139_13
; %bb.6:
	s_and_saveexec_b64 s[4:5], s[0:1]
	s_cbranch_execz .LBB139_12
; %bb.7:
	v_subrev_u32_e32 v6, s16, v1
	s_mov_b64 s[6:7], 0
	v_mov_b32_e32 v7, s3
	v_mov_b32_e32 v8, s9
	;; [unrolled: 1-line block ×3, first 2 shown]
	s_branch .LBB139_9
.LBB139_8:                              ;   in Loop: Header=BB139_9 Depth=1
	s_or_b64 exec, exec, s[22:23]
	v_add_u32_e32 v2, s18, v2
	v_cmp_le_i32_e32 vcc, s19, v2
	s_or_b64 s[6:7], vcc, s[6:7]
	s_andn2_b64 exec, exec, s[6:7]
	s_cbranch_execz .LBB139_12
.LBB139_9:                              ; =>This Loop Header: Depth=1
                                        ;     Child Loop BB139_11 Depth 2
	v_ashrrev_i32_e32 v3, 31, v2
	v_lshlrev_b64 v[4:5], 2, v[2:3]
	v_add_co_u32_e32 v10, vcc, s2, v4
	v_addc_co_u32_e32 v11, vcc, v7, v5, vcc
	v_add_co_u32_e32 v4, vcc, s8, v4
	v_addc_co_u32_e32 v5, vcc, v8, v5, vcc
	global_load_dword v9, v[4:5], off
	global_load_dword v12, v[10:11], off
	s_waitcnt vmcnt(1)
	v_subrev_u32_e32 v9, s16, v9
	s_waitcnt vmcnt(0)
	v_add_u32_e32 v4, v12, v6
	v_cmp_lt_i32_e32 vcc, v4, v9
	s_and_saveexec_b64 s[22:23], vcc
	s_cbranch_execz .LBB139_8
; %bb.10:                               ;   in Loop: Header=BB139_9 Depth=1
	v_mov_b32_e32 v5, s15
	v_add_co_u32_e32 v10, vcc, s14, v2
	v_addc_co_u32_e32 v11, vcc, v5, v3, vcc
	global_load_sbyte v3, v[10:11], off
	s_mov_b64 s[24:25], 0
	s_waitcnt vmcnt(0)
	v_mul_lo_u32 v3, s17, v3
.LBB139_11:                             ;   Parent Loop BB139_9 Depth=1
                                        ; =>  This Inner Loop Header: Depth=2
	v_ashrrev_i32_e32 v5, 31, v4
	v_lshlrev_b64 v[10:11], 2, v[4:5]
	v_mov_b32_e32 v12, s11
	v_add_co_u32_e32 v10, vcc, s10, v10
	v_addc_co_u32_e32 v11, vcc, v12, v11, vcc
	global_load_dword v12, v[10:11], off
	v_mov_b32_e32 v11, s13
	v_add_co_u32_e32 v10, vcc, s12, v4
	v_addc_co_u32_e32 v11, vcc, v11, v5, vcc
	global_load_sbyte v5, v[10:11], off
	v_mov_b32_e32 v13, s21
	v_add_u32_e32 v4, 8, v4
	s_waitcnt vmcnt(1)
	v_subrev_u32_e32 v10, s16, v12
	v_ashrrev_i32_e32 v11, 31, v10
	v_lshlrev_b64 v[10:11], 2, v[10:11]
	v_add_co_u32_e32 v10, vcc, s20, v10
	v_addc_co_u32_e32 v11, vcc, v13, v11, vcc
	s_waitcnt vmcnt(0)
	v_mul_lo_u32 v5, v3, v5
	global_atomic_add v[10:11], v5, off
	v_cmp_ge_i32_e32 vcc, v4, v9
	s_or_b64 s[24:25], vcc, s[24:25]
	s_andn2_b64 exec, exec, s[24:25]
	s_cbranch_execnz .LBB139_11
	s_branch .LBB139_8
.LBB139_12:
	s_or_b64 exec, exec, s[4:5]
	s_mov_b64 s[4:5], 0
.LBB139_13:
	s_andn2_b64 vcc, exec, s[4:5]
	s_cbranch_vccnz .LBB139_22
; %bb.14:
	s_and_saveexec_b64 s[4:5], s[0:1]
	s_cbranch_execz .LBB139_22
; %bb.15:
	v_subrev_u32_e32 v6, s16, v1
	s_mov_b64 s[0:1], 0
	v_mov_b32_e32 v7, s3
	v_mov_b32_e32 v8, s9
	s_branch .LBB139_17
.LBB139_16:                             ;   in Loop: Header=BB139_17 Depth=1
	s_or_b64 exec, exec, s[4:5]
	v_add_u32_e32 v0, s18, v0
	v_cmp_le_i32_e32 vcc, s19, v0
	s_or_b64 s[0:1], vcc, s[0:1]
	s_andn2_b64 exec, exec, s[0:1]
	s_cbranch_execz .LBB139_22
.LBB139_17:                             ; =>This Loop Header: Depth=1
                                        ;     Child Loop BB139_20 Depth 2
	v_ashrrev_i32_e32 v1, 31, v0
	v_lshlrev_b64 v[2:3], 2, v[0:1]
	v_add_co_u32_e32 v4, vcc, s2, v2
	v_addc_co_u32_e32 v5, vcc, v7, v3, vcc
	v_add_co_u32_e32 v2, vcc, s8, v2
	v_addc_co_u32_e32 v3, vcc, v8, v3, vcc
	global_load_dword v9, v[2:3], off
	global_load_dword v10, v[4:5], off
	s_waitcnt vmcnt(1)
	v_subrev_u32_e32 v9, s16, v9
	s_waitcnt vmcnt(0)
	v_add_u32_e32 v2, v10, v6
	v_cmp_lt_i32_e32 vcc, v2, v9
	s_and_saveexec_b64 s[4:5], vcc
	s_cbranch_execz .LBB139_16
; %bb.18:                               ;   in Loop: Header=BB139_17 Depth=1
	v_mov_b32_e32 v3, s15
	v_add_co_u32_e32 v4, vcc, s14, v0
	v_addc_co_u32_e32 v5, vcc, v3, v1, vcc
	global_load_sbyte v1, v[4:5], off
	s_mov_b64 s[6:7], 0
	s_waitcnt vmcnt(0)
	v_mul_lo_u32 v1, s17, v1
	s_branch .LBB139_20
.LBB139_19:                             ;   in Loop: Header=BB139_20 Depth=2
	s_or_b64 exec, exec, s[22:23]
	v_add_u32_e32 v2, 8, v2
	v_cmp_ge_i32_e32 vcc, v2, v9
	s_or_b64 s[6:7], vcc, s[6:7]
	s_andn2_b64 exec, exec, s[6:7]
	s_cbranch_execz .LBB139_16
.LBB139_20:                             ;   Parent Loop BB139_17 Depth=1
                                        ; =>  This Inner Loop Header: Depth=2
	v_ashrrev_i32_e32 v3, 31, v2
	v_lshlrev_b64 v[4:5], 2, v[2:3]
	v_mov_b32_e32 v10, s11
	v_add_co_u32_e32 v4, vcc, s10, v4
	v_addc_co_u32_e32 v5, vcc, v10, v5, vcc
	global_load_dword v4, v[4:5], off
	s_waitcnt vmcnt(0)
	v_subrev_u32_e32 v4, s16, v4
	v_cmp_ne_u32_e32 vcc, v4, v0
	s_and_saveexec_b64 s[22:23], vcc
	s_cbranch_execz .LBB139_19
; %bb.21:                               ;   in Loop: Header=BB139_20 Depth=2
	v_mov_b32_e32 v5, s13
	v_add_co_u32_e32 v10, vcc, s12, v2
	v_addc_co_u32_e32 v11, vcc, v5, v3, vcc
	global_load_sbyte v3, v[10:11], off
	v_ashrrev_i32_e32 v5, 31, v4
	v_lshlrev_b64 v[4:5], 2, v[4:5]
	v_mov_b32_e32 v10, s21
	v_add_co_u32_e32 v4, vcc, s20, v4
	v_addc_co_u32_e32 v5, vcc, v10, v5, vcc
	s_waitcnt vmcnt(0)
	v_mul_lo_u32 v3, v1, v3
	global_atomic_add v[4:5], v3, off
	s_branch .LBB139_19
.LBB139_22:
	s_endpgm
	.section	.rodata,"a",@progbits
	.p2align	6, 0x0
	.amdhsa_kernel _ZN9rocsparseL21csrmvt_general_kernelILj256ELj8EiiaaiiEEvbbT2_NS_24const_host_device_scalarIT6_EEPKT1_S7_PKS1_PKT3_PKT4_PT5_21rocsparse_index_base_b
		.amdhsa_group_segment_fixed_size 0
		.amdhsa_private_segment_fixed_size 0
		.amdhsa_kernarg_size 328
		.amdhsa_user_sgpr_count 6
		.amdhsa_user_sgpr_private_segment_buffer 1
		.amdhsa_user_sgpr_dispatch_ptr 0
		.amdhsa_user_sgpr_queue_ptr 0
		.amdhsa_user_sgpr_kernarg_segment_ptr 1
		.amdhsa_user_sgpr_dispatch_id 0
		.amdhsa_user_sgpr_flat_scratch_init 0
		.amdhsa_user_sgpr_kernarg_preload_length 0
		.amdhsa_user_sgpr_kernarg_preload_offset 0
		.amdhsa_user_sgpr_private_segment_size 0
		.amdhsa_uses_dynamic_stack 0
		.amdhsa_system_sgpr_private_segment_wavefront_offset 0
		.amdhsa_system_sgpr_workgroup_id_x 1
		.amdhsa_system_sgpr_workgroup_id_y 0
		.amdhsa_system_sgpr_workgroup_id_z 0
		.amdhsa_system_sgpr_workgroup_info 0
		.amdhsa_system_vgpr_workitem_id 0
		.amdhsa_next_free_vgpr 14
		.amdhsa_next_free_sgpr 26
		.amdhsa_accum_offset 16
		.amdhsa_reserve_vcc 1
		.amdhsa_reserve_flat_scratch 0
		.amdhsa_float_round_mode_32 0
		.amdhsa_float_round_mode_16_64 0
		.amdhsa_float_denorm_mode_32 3
		.amdhsa_float_denorm_mode_16_64 3
		.amdhsa_dx10_clamp 1
		.amdhsa_ieee_mode 1
		.amdhsa_fp16_overflow 0
		.amdhsa_tg_split 0
		.amdhsa_exception_fp_ieee_invalid_op 0
		.amdhsa_exception_fp_denorm_src 0
		.amdhsa_exception_fp_ieee_div_zero 0
		.amdhsa_exception_fp_ieee_overflow 0
		.amdhsa_exception_fp_ieee_underflow 0
		.amdhsa_exception_fp_ieee_inexact 0
		.amdhsa_exception_int_div_zero 0
	.end_amdhsa_kernel
	.section	.text._ZN9rocsparseL21csrmvt_general_kernelILj256ELj8EiiaaiiEEvbbT2_NS_24const_host_device_scalarIT6_EEPKT1_S7_PKS1_PKT3_PKT4_PT5_21rocsparse_index_base_b,"axG",@progbits,_ZN9rocsparseL21csrmvt_general_kernelILj256ELj8EiiaaiiEEvbbT2_NS_24const_host_device_scalarIT6_EEPKT1_S7_PKS1_PKT3_PKT4_PT5_21rocsparse_index_base_b,comdat
.Lfunc_end139:
	.size	_ZN9rocsparseL21csrmvt_general_kernelILj256ELj8EiiaaiiEEvbbT2_NS_24const_host_device_scalarIT6_EEPKT1_S7_PKS1_PKT3_PKT4_PT5_21rocsparse_index_base_b, .Lfunc_end139-_ZN9rocsparseL21csrmvt_general_kernelILj256ELj8EiiaaiiEEvbbT2_NS_24const_host_device_scalarIT6_EEPKT1_S7_PKS1_PKT3_PKT4_PT5_21rocsparse_index_base_b
                                        ; -- End function
	.section	.AMDGPU.csdata,"",@progbits
; Kernel info:
; codeLenInByte = 764
; NumSgprs: 30
; NumVgprs: 14
; NumAgprs: 0
; TotalNumVgprs: 14
; ScratchSize: 0
; MemoryBound: 0
; FloatMode: 240
; IeeeMode: 1
; LDSByteSize: 0 bytes/workgroup (compile time only)
; SGPRBlocks: 3
; VGPRBlocks: 1
; NumSGPRsForWavesPerEU: 30
; NumVGPRsForWavesPerEU: 14
; AccumOffset: 16
; Occupancy: 8
; WaveLimiterHint : 1
; COMPUTE_PGM_RSRC2:SCRATCH_EN: 0
; COMPUTE_PGM_RSRC2:USER_SGPR: 6
; COMPUTE_PGM_RSRC2:TRAP_HANDLER: 0
; COMPUTE_PGM_RSRC2:TGID_X_EN: 1
; COMPUTE_PGM_RSRC2:TGID_Y_EN: 0
; COMPUTE_PGM_RSRC2:TGID_Z_EN: 0
; COMPUTE_PGM_RSRC2:TIDIG_COMP_CNT: 0
; COMPUTE_PGM_RSRC3_GFX90A:ACCUM_OFFSET: 3
; COMPUTE_PGM_RSRC3_GFX90A:TG_SPLIT: 0
	.section	.text._ZN9rocsparseL21csrmvt_general_kernelILj256ELj16EiiaaiiEEvbbT2_NS_24const_host_device_scalarIT6_EEPKT1_S7_PKS1_PKT3_PKT4_PT5_21rocsparse_index_base_b,"axG",@progbits,_ZN9rocsparseL21csrmvt_general_kernelILj256ELj16EiiaaiiEEvbbT2_NS_24const_host_device_scalarIT6_EEPKT1_S7_PKS1_PKT3_PKT4_PT5_21rocsparse_index_base_b,comdat
	.globl	_ZN9rocsparseL21csrmvt_general_kernelILj256ELj16EiiaaiiEEvbbT2_NS_24const_host_device_scalarIT6_EEPKT1_S7_PKS1_PKT3_PKT4_PT5_21rocsparse_index_base_b ; -- Begin function _ZN9rocsparseL21csrmvt_general_kernelILj256ELj16EiiaaiiEEvbbT2_NS_24const_host_device_scalarIT6_EEPKT1_S7_PKS1_PKT3_PKT4_PT5_21rocsparse_index_base_b
	.p2align	8
	.type	_ZN9rocsparseL21csrmvt_general_kernelILj256ELj16EiiaaiiEEvbbT2_NS_24const_host_device_scalarIT6_EEPKT1_S7_PKS1_PKT3_PKT4_PT5_21rocsparse_index_base_b,@function
_ZN9rocsparseL21csrmvt_general_kernelILj256ELj16EiiaaiiEEvbbT2_NS_24const_host_device_scalarIT6_EEPKT1_S7_PKS1_PKT3_PKT4_PT5_21rocsparse_index_base_b: ; @_ZN9rocsparseL21csrmvt_general_kernelILj256ELj16EiiaaiiEEvbbT2_NS_24const_host_device_scalarIT6_EEPKT1_S7_PKS1_PKT3_PKT4_PT5_21rocsparse_index_base_b
; %bb.0:
	s_load_dwordx2 s[16:17], s[4:5], 0x40
	s_load_dwordx4 s[0:3], s[4:5], 0x8
	s_waitcnt lgkmcnt(0)
	s_bitcmp0_b32 s17, 0
	s_cbranch_scc0 .LBB140_2
; %bb.1:
	s_load_dword s17, s[0:1], 0x0
	s_cbranch_execz .LBB140_3
	s_branch .LBB140_4
.LBB140_2:
                                        ; implicit-def: $sgpr17
.LBB140_3:
	s_waitcnt lgkmcnt(0)
	s_mov_b32 s17, s0
.LBB140_4:
	s_waitcnt lgkmcnt(0)
	s_cmp_eq_u32 s17, 0
	s_cbranch_scc1 .LBB140_22
; %bb.5:
	s_load_dwordx2 s[18:19], s[4:5], 0x0
	s_load_dword s0, s[4:5], 0x48
	s_load_dwordx2 s[20:21], s[4:5], 0x38
	s_load_dwordx8 s[8:15], s[4:5], 0x18
	v_and_b32_e32 v1, 15, v0
	v_lshl_or_b32 v0, s6, 8, v0
	s_waitcnt lgkmcnt(0)
	s_and_b32 s1, s18, 1
	s_lshl_b32 s18, s0, 4
	v_lshrrev_b32_e32 v0, 4, v0
	s_cmp_eq_u32 s1, 0
	v_cmp_gt_i32_e64 s[0:1], s19, v0
	s_mov_b64 s[4:5], -1
	s_cbranch_scc0 .LBB140_13
; %bb.6:
	s_and_saveexec_b64 s[4:5], s[0:1]
	s_cbranch_execz .LBB140_12
; %bb.7:
	v_subrev_u32_e32 v6, s16, v1
	s_mov_b64 s[6:7], 0
	v_mov_b32_e32 v7, s3
	v_mov_b32_e32 v8, s9
	;; [unrolled: 1-line block ×3, first 2 shown]
	s_branch .LBB140_9
.LBB140_8:                              ;   in Loop: Header=BB140_9 Depth=1
	s_or_b64 exec, exec, s[22:23]
	v_add_u32_e32 v2, s18, v2
	v_cmp_le_i32_e32 vcc, s19, v2
	s_or_b64 s[6:7], vcc, s[6:7]
	s_andn2_b64 exec, exec, s[6:7]
	s_cbranch_execz .LBB140_12
.LBB140_9:                              ; =>This Loop Header: Depth=1
                                        ;     Child Loop BB140_11 Depth 2
	v_ashrrev_i32_e32 v3, 31, v2
	v_lshlrev_b64 v[4:5], 2, v[2:3]
	v_add_co_u32_e32 v10, vcc, s2, v4
	v_addc_co_u32_e32 v11, vcc, v7, v5, vcc
	v_add_co_u32_e32 v4, vcc, s8, v4
	v_addc_co_u32_e32 v5, vcc, v8, v5, vcc
	global_load_dword v9, v[4:5], off
	global_load_dword v12, v[10:11], off
	s_waitcnt vmcnt(1)
	v_subrev_u32_e32 v9, s16, v9
	s_waitcnt vmcnt(0)
	v_add_u32_e32 v4, v12, v6
	v_cmp_lt_i32_e32 vcc, v4, v9
	s_and_saveexec_b64 s[22:23], vcc
	s_cbranch_execz .LBB140_8
; %bb.10:                               ;   in Loop: Header=BB140_9 Depth=1
	v_mov_b32_e32 v5, s15
	v_add_co_u32_e32 v10, vcc, s14, v2
	v_addc_co_u32_e32 v11, vcc, v5, v3, vcc
	global_load_sbyte v3, v[10:11], off
	s_mov_b64 s[24:25], 0
	s_waitcnt vmcnt(0)
	v_mul_lo_u32 v3, s17, v3
.LBB140_11:                             ;   Parent Loop BB140_9 Depth=1
                                        ; =>  This Inner Loop Header: Depth=2
	v_ashrrev_i32_e32 v5, 31, v4
	v_lshlrev_b64 v[10:11], 2, v[4:5]
	v_mov_b32_e32 v12, s11
	v_add_co_u32_e32 v10, vcc, s10, v10
	v_addc_co_u32_e32 v11, vcc, v12, v11, vcc
	global_load_dword v12, v[10:11], off
	v_mov_b32_e32 v11, s13
	v_add_co_u32_e32 v10, vcc, s12, v4
	v_addc_co_u32_e32 v11, vcc, v11, v5, vcc
	global_load_sbyte v5, v[10:11], off
	v_mov_b32_e32 v13, s21
	v_add_u32_e32 v4, 16, v4
	s_waitcnt vmcnt(1)
	v_subrev_u32_e32 v10, s16, v12
	v_ashrrev_i32_e32 v11, 31, v10
	v_lshlrev_b64 v[10:11], 2, v[10:11]
	v_add_co_u32_e32 v10, vcc, s20, v10
	v_addc_co_u32_e32 v11, vcc, v13, v11, vcc
	s_waitcnt vmcnt(0)
	v_mul_lo_u32 v5, v3, v5
	global_atomic_add v[10:11], v5, off
	v_cmp_ge_i32_e32 vcc, v4, v9
	s_or_b64 s[24:25], vcc, s[24:25]
	s_andn2_b64 exec, exec, s[24:25]
	s_cbranch_execnz .LBB140_11
	s_branch .LBB140_8
.LBB140_12:
	s_or_b64 exec, exec, s[4:5]
	s_mov_b64 s[4:5], 0
.LBB140_13:
	s_andn2_b64 vcc, exec, s[4:5]
	s_cbranch_vccnz .LBB140_22
; %bb.14:
	s_and_saveexec_b64 s[4:5], s[0:1]
	s_cbranch_execz .LBB140_22
; %bb.15:
	v_subrev_u32_e32 v6, s16, v1
	s_mov_b64 s[0:1], 0
	v_mov_b32_e32 v7, s3
	v_mov_b32_e32 v8, s9
	s_branch .LBB140_17
.LBB140_16:                             ;   in Loop: Header=BB140_17 Depth=1
	s_or_b64 exec, exec, s[4:5]
	v_add_u32_e32 v0, s18, v0
	v_cmp_le_i32_e32 vcc, s19, v0
	s_or_b64 s[0:1], vcc, s[0:1]
	s_andn2_b64 exec, exec, s[0:1]
	s_cbranch_execz .LBB140_22
.LBB140_17:                             ; =>This Loop Header: Depth=1
                                        ;     Child Loop BB140_20 Depth 2
	v_ashrrev_i32_e32 v1, 31, v0
	v_lshlrev_b64 v[2:3], 2, v[0:1]
	v_add_co_u32_e32 v4, vcc, s2, v2
	v_addc_co_u32_e32 v5, vcc, v7, v3, vcc
	v_add_co_u32_e32 v2, vcc, s8, v2
	v_addc_co_u32_e32 v3, vcc, v8, v3, vcc
	global_load_dword v9, v[2:3], off
	global_load_dword v10, v[4:5], off
	s_waitcnt vmcnt(1)
	v_subrev_u32_e32 v9, s16, v9
	s_waitcnt vmcnt(0)
	v_add_u32_e32 v2, v10, v6
	v_cmp_lt_i32_e32 vcc, v2, v9
	s_and_saveexec_b64 s[4:5], vcc
	s_cbranch_execz .LBB140_16
; %bb.18:                               ;   in Loop: Header=BB140_17 Depth=1
	v_mov_b32_e32 v3, s15
	v_add_co_u32_e32 v4, vcc, s14, v0
	v_addc_co_u32_e32 v5, vcc, v3, v1, vcc
	global_load_sbyte v1, v[4:5], off
	s_mov_b64 s[6:7], 0
	s_waitcnt vmcnt(0)
	v_mul_lo_u32 v1, s17, v1
	s_branch .LBB140_20
.LBB140_19:                             ;   in Loop: Header=BB140_20 Depth=2
	s_or_b64 exec, exec, s[22:23]
	v_add_u32_e32 v2, 16, v2
	v_cmp_ge_i32_e32 vcc, v2, v9
	s_or_b64 s[6:7], vcc, s[6:7]
	s_andn2_b64 exec, exec, s[6:7]
	s_cbranch_execz .LBB140_16
.LBB140_20:                             ;   Parent Loop BB140_17 Depth=1
                                        ; =>  This Inner Loop Header: Depth=2
	v_ashrrev_i32_e32 v3, 31, v2
	v_lshlrev_b64 v[4:5], 2, v[2:3]
	v_mov_b32_e32 v10, s11
	v_add_co_u32_e32 v4, vcc, s10, v4
	v_addc_co_u32_e32 v5, vcc, v10, v5, vcc
	global_load_dword v4, v[4:5], off
	s_waitcnt vmcnt(0)
	v_subrev_u32_e32 v4, s16, v4
	v_cmp_ne_u32_e32 vcc, v4, v0
	s_and_saveexec_b64 s[22:23], vcc
	s_cbranch_execz .LBB140_19
; %bb.21:                               ;   in Loop: Header=BB140_20 Depth=2
	v_mov_b32_e32 v5, s13
	v_add_co_u32_e32 v10, vcc, s12, v2
	v_addc_co_u32_e32 v11, vcc, v5, v3, vcc
	global_load_sbyte v3, v[10:11], off
	v_ashrrev_i32_e32 v5, 31, v4
	v_lshlrev_b64 v[4:5], 2, v[4:5]
	v_mov_b32_e32 v10, s21
	v_add_co_u32_e32 v4, vcc, s20, v4
	v_addc_co_u32_e32 v5, vcc, v10, v5, vcc
	s_waitcnt vmcnt(0)
	v_mul_lo_u32 v3, v1, v3
	global_atomic_add v[4:5], v3, off
	s_branch .LBB140_19
.LBB140_22:
	s_endpgm
	.section	.rodata,"a",@progbits
	.p2align	6, 0x0
	.amdhsa_kernel _ZN9rocsparseL21csrmvt_general_kernelILj256ELj16EiiaaiiEEvbbT2_NS_24const_host_device_scalarIT6_EEPKT1_S7_PKS1_PKT3_PKT4_PT5_21rocsparse_index_base_b
		.amdhsa_group_segment_fixed_size 0
		.amdhsa_private_segment_fixed_size 0
		.amdhsa_kernarg_size 328
		.amdhsa_user_sgpr_count 6
		.amdhsa_user_sgpr_private_segment_buffer 1
		.amdhsa_user_sgpr_dispatch_ptr 0
		.amdhsa_user_sgpr_queue_ptr 0
		.amdhsa_user_sgpr_kernarg_segment_ptr 1
		.amdhsa_user_sgpr_dispatch_id 0
		.amdhsa_user_sgpr_flat_scratch_init 0
		.amdhsa_user_sgpr_kernarg_preload_length 0
		.amdhsa_user_sgpr_kernarg_preload_offset 0
		.amdhsa_user_sgpr_private_segment_size 0
		.amdhsa_uses_dynamic_stack 0
		.amdhsa_system_sgpr_private_segment_wavefront_offset 0
		.amdhsa_system_sgpr_workgroup_id_x 1
		.amdhsa_system_sgpr_workgroup_id_y 0
		.amdhsa_system_sgpr_workgroup_id_z 0
		.amdhsa_system_sgpr_workgroup_info 0
		.amdhsa_system_vgpr_workitem_id 0
		.amdhsa_next_free_vgpr 14
		.amdhsa_next_free_sgpr 26
		.amdhsa_accum_offset 16
		.amdhsa_reserve_vcc 1
		.amdhsa_reserve_flat_scratch 0
		.amdhsa_float_round_mode_32 0
		.amdhsa_float_round_mode_16_64 0
		.amdhsa_float_denorm_mode_32 3
		.amdhsa_float_denorm_mode_16_64 3
		.amdhsa_dx10_clamp 1
		.amdhsa_ieee_mode 1
		.amdhsa_fp16_overflow 0
		.amdhsa_tg_split 0
		.amdhsa_exception_fp_ieee_invalid_op 0
		.amdhsa_exception_fp_denorm_src 0
		.amdhsa_exception_fp_ieee_div_zero 0
		.amdhsa_exception_fp_ieee_overflow 0
		.amdhsa_exception_fp_ieee_underflow 0
		.amdhsa_exception_fp_ieee_inexact 0
		.amdhsa_exception_int_div_zero 0
	.end_amdhsa_kernel
	.section	.text._ZN9rocsparseL21csrmvt_general_kernelILj256ELj16EiiaaiiEEvbbT2_NS_24const_host_device_scalarIT6_EEPKT1_S7_PKS1_PKT3_PKT4_PT5_21rocsparse_index_base_b,"axG",@progbits,_ZN9rocsparseL21csrmvt_general_kernelILj256ELj16EiiaaiiEEvbbT2_NS_24const_host_device_scalarIT6_EEPKT1_S7_PKS1_PKT3_PKT4_PT5_21rocsparse_index_base_b,comdat
.Lfunc_end140:
	.size	_ZN9rocsparseL21csrmvt_general_kernelILj256ELj16EiiaaiiEEvbbT2_NS_24const_host_device_scalarIT6_EEPKT1_S7_PKS1_PKT3_PKT4_PT5_21rocsparse_index_base_b, .Lfunc_end140-_ZN9rocsparseL21csrmvt_general_kernelILj256ELj16EiiaaiiEEvbbT2_NS_24const_host_device_scalarIT6_EEPKT1_S7_PKS1_PKT3_PKT4_PT5_21rocsparse_index_base_b
                                        ; -- End function
	.section	.AMDGPU.csdata,"",@progbits
; Kernel info:
; codeLenInByte = 764
; NumSgprs: 30
; NumVgprs: 14
; NumAgprs: 0
; TotalNumVgprs: 14
; ScratchSize: 0
; MemoryBound: 0
; FloatMode: 240
; IeeeMode: 1
; LDSByteSize: 0 bytes/workgroup (compile time only)
; SGPRBlocks: 3
; VGPRBlocks: 1
; NumSGPRsForWavesPerEU: 30
; NumVGPRsForWavesPerEU: 14
; AccumOffset: 16
; Occupancy: 8
; WaveLimiterHint : 1
; COMPUTE_PGM_RSRC2:SCRATCH_EN: 0
; COMPUTE_PGM_RSRC2:USER_SGPR: 6
; COMPUTE_PGM_RSRC2:TRAP_HANDLER: 0
; COMPUTE_PGM_RSRC2:TGID_X_EN: 1
; COMPUTE_PGM_RSRC2:TGID_Y_EN: 0
; COMPUTE_PGM_RSRC2:TGID_Z_EN: 0
; COMPUTE_PGM_RSRC2:TIDIG_COMP_CNT: 0
; COMPUTE_PGM_RSRC3_GFX90A:ACCUM_OFFSET: 3
; COMPUTE_PGM_RSRC3_GFX90A:TG_SPLIT: 0
	.section	.text._ZN9rocsparseL21csrmvt_general_kernelILj256ELj32EiiaaiiEEvbbT2_NS_24const_host_device_scalarIT6_EEPKT1_S7_PKS1_PKT3_PKT4_PT5_21rocsparse_index_base_b,"axG",@progbits,_ZN9rocsparseL21csrmvt_general_kernelILj256ELj32EiiaaiiEEvbbT2_NS_24const_host_device_scalarIT6_EEPKT1_S7_PKS1_PKT3_PKT4_PT5_21rocsparse_index_base_b,comdat
	.globl	_ZN9rocsparseL21csrmvt_general_kernelILj256ELj32EiiaaiiEEvbbT2_NS_24const_host_device_scalarIT6_EEPKT1_S7_PKS1_PKT3_PKT4_PT5_21rocsparse_index_base_b ; -- Begin function _ZN9rocsparseL21csrmvt_general_kernelILj256ELj32EiiaaiiEEvbbT2_NS_24const_host_device_scalarIT6_EEPKT1_S7_PKS1_PKT3_PKT4_PT5_21rocsparse_index_base_b
	.p2align	8
	.type	_ZN9rocsparseL21csrmvt_general_kernelILj256ELj32EiiaaiiEEvbbT2_NS_24const_host_device_scalarIT6_EEPKT1_S7_PKS1_PKT3_PKT4_PT5_21rocsparse_index_base_b,@function
_ZN9rocsparseL21csrmvt_general_kernelILj256ELj32EiiaaiiEEvbbT2_NS_24const_host_device_scalarIT6_EEPKT1_S7_PKS1_PKT3_PKT4_PT5_21rocsparse_index_base_b: ; @_ZN9rocsparseL21csrmvt_general_kernelILj256ELj32EiiaaiiEEvbbT2_NS_24const_host_device_scalarIT6_EEPKT1_S7_PKS1_PKT3_PKT4_PT5_21rocsparse_index_base_b
; %bb.0:
	s_load_dwordx2 s[16:17], s[4:5], 0x40
	s_load_dwordx4 s[0:3], s[4:5], 0x8
	s_waitcnt lgkmcnt(0)
	s_bitcmp0_b32 s17, 0
	s_cbranch_scc0 .LBB141_2
; %bb.1:
	s_load_dword s17, s[0:1], 0x0
	s_cbranch_execz .LBB141_3
	s_branch .LBB141_4
.LBB141_2:
                                        ; implicit-def: $sgpr17
.LBB141_3:
	s_waitcnt lgkmcnt(0)
	s_mov_b32 s17, s0
.LBB141_4:
	s_waitcnt lgkmcnt(0)
	s_cmp_eq_u32 s17, 0
	s_cbranch_scc1 .LBB141_22
; %bb.5:
	s_load_dwordx2 s[18:19], s[4:5], 0x0
	s_load_dword s0, s[4:5], 0x48
	s_load_dwordx2 s[20:21], s[4:5], 0x38
	s_load_dwordx8 s[8:15], s[4:5], 0x18
	v_and_b32_e32 v1, 31, v0
	v_lshl_or_b32 v0, s6, 8, v0
	s_waitcnt lgkmcnt(0)
	s_and_b32 s1, s18, 1
	s_lshl_b32 s18, s0, 3
	v_lshrrev_b32_e32 v0, 5, v0
	s_cmp_eq_u32 s1, 0
	v_cmp_gt_i32_e64 s[0:1], s19, v0
	s_mov_b64 s[4:5], -1
	s_cbranch_scc0 .LBB141_13
; %bb.6:
	s_and_saveexec_b64 s[4:5], s[0:1]
	s_cbranch_execz .LBB141_12
; %bb.7:
	v_subrev_u32_e32 v6, s16, v1
	s_mov_b64 s[6:7], 0
	v_mov_b32_e32 v7, s3
	v_mov_b32_e32 v8, s9
	;; [unrolled: 1-line block ×3, first 2 shown]
	s_branch .LBB141_9
.LBB141_8:                              ;   in Loop: Header=BB141_9 Depth=1
	s_or_b64 exec, exec, s[22:23]
	v_add_u32_e32 v2, s18, v2
	v_cmp_le_i32_e32 vcc, s19, v2
	s_or_b64 s[6:7], vcc, s[6:7]
	s_andn2_b64 exec, exec, s[6:7]
	s_cbranch_execz .LBB141_12
.LBB141_9:                              ; =>This Loop Header: Depth=1
                                        ;     Child Loop BB141_11 Depth 2
	v_ashrrev_i32_e32 v3, 31, v2
	v_lshlrev_b64 v[4:5], 2, v[2:3]
	v_add_co_u32_e32 v10, vcc, s2, v4
	v_addc_co_u32_e32 v11, vcc, v7, v5, vcc
	v_add_co_u32_e32 v4, vcc, s8, v4
	v_addc_co_u32_e32 v5, vcc, v8, v5, vcc
	global_load_dword v9, v[4:5], off
	global_load_dword v12, v[10:11], off
	s_waitcnt vmcnt(1)
	v_subrev_u32_e32 v9, s16, v9
	s_waitcnt vmcnt(0)
	v_add_u32_e32 v4, v12, v6
	v_cmp_lt_i32_e32 vcc, v4, v9
	s_and_saveexec_b64 s[22:23], vcc
	s_cbranch_execz .LBB141_8
; %bb.10:                               ;   in Loop: Header=BB141_9 Depth=1
	v_mov_b32_e32 v5, s15
	v_add_co_u32_e32 v10, vcc, s14, v2
	v_addc_co_u32_e32 v11, vcc, v5, v3, vcc
	global_load_sbyte v3, v[10:11], off
	s_mov_b64 s[24:25], 0
	s_waitcnt vmcnt(0)
	v_mul_lo_u32 v3, s17, v3
.LBB141_11:                             ;   Parent Loop BB141_9 Depth=1
                                        ; =>  This Inner Loop Header: Depth=2
	v_ashrrev_i32_e32 v5, 31, v4
	v_lshlrev_b64 v[10:11], 2, v[4:5]
	v_mov_b32_e32 v12, s11
	v_add_co_u32_e32 v10, vcc, s10, v10
	v_addc_co_u32_e32 v11, vcc, v12, v11, vcc
	global_load_dword v12, v[10:11], off
	v_mov_b32_e32 v11, s13
	v_add_co_u32_e32 v10, vcc, s12, v4
	v_addc_co_u32_e32 v11, vcc, v11, v5, vcc
	global_load_sbyte v5, v[10:11], off
	v_mov_b32_e32 v13, s21
	v_add_u32_e32 v4, 32, v4
	s_waitcnt vmcnt(1)
	v_subrev_u32_e32 v10, s16, v12
	v_ashrrev_i32_e32 v11, 31, v10
	v_lshlrev_b64 v[10:11], 2, v[10:11]
	v_add_co_u32_e32 v10, vcc, s20, v10
	v_addc_co_u32_e32 v11, vcc, v13, v11, vcc
	s_waitcnt vmcnt(0)
	v_mul_lo_u32 v5, v3, v5
	global_atomic_add v[10:11], v5, off
	v_cmp_ge_i32_e32 vcc, v4, v9
	s_or_b64 s[24:25], vcc, s[24:25]
	s_andn2_b64 exec, exec, s[24:25]
	s_cbranch_execnz .LBB141_11
	s_branch .LBB141_8
.LBB141_12:
	s_or_b64 exec, exec, s[4:5]
	s_mov_b64 s[4:5], 0
.LBB141_13:
	s_andn2_b64 vcc, exec, s[4:5]
	s_cbranch_vccnz .LBB141_22
; %bb.14:
	s_and_saveexec_b64 s[4:5], s[0:1]
	s_cbranch_execz .LBB141_22
; %bb.15:
	v_subrev_u32_e32 v6, s16, v1
	s_mov_b64 s[0:1], 0
	v_mov_b32_e32 v7, s3
	v_mov_b32_e32 v8, s9
	s_branch .LBB141_17
.LBB141_16:                             ;   in Loop: Header=BB141_17 Depth=1
	s_or_b64 exec, exec, s[4:5]
	v_add_u32_e32 v0, s18, v0
	v_cmp_le_i32_e32 vcc, s19, v0
	s_or_b64 s[0:1], vcc, s[0:1]
	s_andn2_b64 exec, exec, s[0:1]
	s_cbranch_execz .LBB141_22
.LBB141_17:                             ; =>This Loop Header: Depth=1
                                        ;     Child Loop BB141_20 Depth 2
	v_ashrrev_i32_e32 v1, 31, v0
	v_lshlrev_b64 v[2:3], 2, v[0:1]
	v_add_co_u32_e32 v4, vcc, s2, v2
	v_addc_co_u32_e32 v5, vcc, v7, v3, vcc
	v_add_co_u32_e32 v2, vcc, s8, v2
	v_addc_co_u32_e32 v3, vcc, v8, v3, vcc
	global_load_dword v9, v[2:3], off
	global_load_dword v10, v[4:5], off
	s_waitcnt vmcnt(1)
	v_subrev_u32_e32 v9, s16, v9
	s_waitcnt vmcnt(0)
	v_add_u32_e32 v2, v10, v6
	v_cmp_lt_i32_e32 vcc, v2, v9
	s_and_saveexec_b64 s[4:5], vcc
	s_cbranch_execz .LBB141_16
; %bb.18:                               ;   in Loop: Header=BB141_17 Depth=1
	v_mov_b32_e32 v3, s15
	v_add_co_u32_e32 v4, vcc, s14, v0
	v_addc_co_u32_e32 v5, vcc, v3, v1, vcc
	global_load_sbyte v1, v[4:5], off
	s_mov_b64 s[6:7], 0
	s_waitcnt vmcnt(0)
	v_mul_lo_u32 v1, s17, v1
	s_branch .LBB141_20
.LBB141_19:                             ;   in Loop: Header=BB141_20 Depth=2
	s_or_b64 exec, exec, s[22:23]
	v_add_u32_e32 v2, 32, v2
	v_cmp_ge_i32_e32 vcc, v2, v9
	s_or_b64 s[6:7], vcc, s[6:7]
	s_andn2_b64 exec, exec, s[6:7]
	s_cbranch_execz .LBB141_16
.LBB141_20:                             ;   Parent Loop BB141_17 Depth=1
                                        ; =>  This Inner Loop Header: Depth=2
	v_ashrrev_i32_e32 v3, 31, v2
	v_lshlrev_b64 v[4:5], 2, v[2:3]
	v_mov_b32_e32 v10, s11
	v_add_co_u32_e32 v4, vcc, s10, v4
	v_addc_co_u32_e32 v5, vcc, v10, v5, vcc
	global_load_dword v4, v[4:5], off
	s_waitcnt vmcnt(0)
	v_subrev_u32_e32 v4, s16, v4
	v_cmp_ne_u32_e32 vcc, v4, v0
	s_and_saveexec_b64 s[22:23], vcc
	s_cbranch_execz .LBB141_19
; %bb.21:                               ;   in Loop: Header=BB141_20 Depth=2
	v_mov_b32_e32 v5, s13
	v_add_co_u32_e32 v10, vcc, s12, v2
	v_addc_co_u32_e32 v11, vcc, v5, v3, vcc
	global_load_sbyte v3, v[10:11], off
	v_ashrrev_i32_e32 v5, 31, v4
	v_lshlrev_b64 v[4:5], 2, v[4:5]
	v_mov_b32_e32 v10, s21
	v_add_co_u32_e32 v4, vcc, s20, v4
	v_addc_co_u32_e32 v5, vcc, v10, v5, vcc
	s_waitcnt vmcnt(0)
	v_mul_lo_u32 v3, v1, v3
	global_atomic_add v[4:5], v3, off
	s_branch .LBB141_19
.LBB141_22:
	s_endpgm
	.section	.rodata,"a",@progbits
	.p2align	6, 0x0
	.amdhsa_kernel _ZN9rocsparseL21csrmvt_general_kernelILj256ELj32EiiaaiiEEvbbT2_NS_24const_host_device_scalarIT6_EEPKT1_S7_PKS1_PKT3_PKT4_PT5_21rocsparse_index_base_b
		.amdhsa_group_segment_fixed_size 0
		.amdhsa_private_segment_fixed_size 0
		.amdhsa_kernarg_size 328
		.amdhsa_user_sgpr_count 6
		.amdhsa_user_sgpr_private_segment_buffer 1
		.amdhsa_user_sgpr_dispatch_ptr 0
		.amdhsa_user_sgpr_queue_ptr 0
		.amdhsa_user_sgpr_kernarg_segment_ptr 1
		.amdhsa_user_sgpr_dispatch_id 0
		.amdhsa_user_sgpr_flat_scratch_init 0
		.amdhsa_user_sgpr_kernarg_preload_length 0
		.amdhsa_user_sgpr_kernarg_preload_offset 0
		.amdhsa_user_sgpr_private_segment_size 0
		.amdhsa_uses_dynamic_stack 0
		.amdhsa_system_sgpr_private_segment_wavefront_offset 0
		.amdhsa_system_sgpr_workgroup_id_x 1
		.amdhsa_system_sgpr_workgroup_id_y 0
		.amdhsa_system_sgpr_workgroup_id_z 0
		.amdhsa_system_sgpr_workgroup_info 0
		.amdhsa_system_vgpr_workitem_id 0
		.amdhsa_next_free_vgpr 14
		.amdhsa_next_free_sgpr 26
		.amdhsa_accum_offset 16
		.amdhsa_reserve_vcc 1
		.amdhsa_reserve_flat_scratch 0
		.amdhsa_float_round_mode_32 0
		.amdhsa_float_round_mode_16_64 0
		.amdhsa_float_denorm_mode_32 3
		.amdhsa_float_denorm_mode_16_64 3
		.amdhsa_dx10_clamp 1
		.amdhsa_ieee_mode 1
		.amdhsa_fp16_overflow 0
		.amdhsa_tg_split 0
		.amdhsa_exception_fp_ieee_invalid_op 0
		.amdhsa_exception_fp_denorm_src 0
		.amdhsa_exception_fp_ieee_div_zero 0
		.amdhsa_exception_fp_ieee_overflow 0
		.amdhsa_exception_fp_ieee_underflow 0
		.amdhsa_exception_fp_ieee_inexact 0
		.amdhsa_exception_int_div_zero 0
	.end_amdhsa_kernel
	.section	.text._ZN9rocsparseL21csrmvt_general_kernelILj256ELj32EiiaaiiEEvbbT2_NS_24const_host_device_scalarIT6_EEPKT1_S7_PKS1_PKT3_PKT4_PT5_21rocsparse_index_base_b,"axG",@progbits,_ZN9rocsparseL21csrmvt_general_kernelILj256ELj32EiiaaiiEEvbbT2_NS_24const_host_device_scalarIT6_EEPKT1_S7_PKS1_PKT3_PKT4_PT5_21rocsparse_index_base_b,comdat
.Lfunc_end141:
	.size	_ZN9rocsparseL21csrmvt_general_kernelILj256ELj32EiiaaiiEEvbbT2_NS_24const_host_device_scalarIT6_EEPKT1_S7_PKS1_PKT3_PKT4_PT5_21rocsparse_index_base_b, .Lfunc_end141-_ZN9rocsparseL21csrmvt_general_kernelILj256ELj32EiiaaiiEEvbbT2_NS_24const_host_device_scalarIT6_EEPKT1_S7_PKS1_PKT3_PKT4_PT5_21rocsparse_index_base_b
                                        ; -- End function
	.section	.AMDGPU.csdata,"",@progbits
; Kernel info:
; codeLenInByte = 764
; NumSgprs: 30
; NumVgprs: 14
; NumAgprs: 0
; TotalNumVgprs: 14
; ScratchSize: 0
; MemoryBound: 0
; FloatMode: 240
; IeeeMode: 1
; LDSByteSize: 0 bytes/workgroup (compile time only)
; SGPRBlocks: 3
; VGPRBlocks: 1
; NumSGPRsForWavesPerEU: 30
; NumVGPRsForWavesPerEU: 14
; AccumOffset: 16
; Occupancy: 8
; WaveLimiterHint : 1
; COMPUTE_PGM_RSRC2:SCRATCH_EN: 0
; COMPUTE_PGM_RSRC2:USER_SGPR: 6
; COMPUTE_PGM_RSRC2:TRAP_HANDLER: 0
; COMPUTE_PGM_RSRC2:TGID_X_EN: 1
; COMPUTE_PGM_RSRC2:TGID_Y_EN: 0
; COMPUTE_PGM_RSRC2:TGID_Z_EN: 0
; COMPUTE_PGM_RSRC2:TIDIG_COMP_CNT: 0
; COMPUTE_PGM_RSRC3_GFX90A:ACCUM_OFFSET: 3
; COMPUTE_PGM_RSRC3_GFX90A:TG_SPLIT: 0
	.section	.text._ZN9rocsparseL21csrmvt_general_kernelILj256ELj64EiiaaiiEEvbbT2_NS_24const_host_device_scalarIT6_EEPKT1_S7_PKS1_PKT3_PKT4_PT5_21rocsparse_index_base_b,"axG",@progbits,_ZN9rocsparseL21csrmvt_general_kernelILj256ELj64EiiaaiiEEvbbT2_NS_24const_host_device_scalarIT6_EEPKT1_S7_PKS1_PKT3_PKT4_PT5_21rocsparse_index_base_b,comdat
	.globl	_ZN9rocsparseL21csrmvt_general_kernelILj256ELj64EiiaaiiEEvbbT2_NS_24const_host_device_scalarIT6_EEPKT1_S7_PKS1_PKT3_PKT4_PT5_21rocsparse_index_base_b ; -- Begin function _ZN9rocsparseL21csrmvt_general_kernelILj256ELj64EiiaaiiEEvbbT2_NS_24const_host_device_scalarIT6_EEPKT1_S7_PKS1_PKT3_PKT4_PT5_21rocsparse_index_base_b
	.p2align	8
	.type	_ZN9rocsparseL21csrmvt_general_kernelILj256ELj64EiiaaiiEEvbbT2_NS_24const_host_device_scalarIT6_EEPKT1_S7_PKS1_PKT3_PKT4_PT5_21rocsparse_index_base_b,@function
_ZN9rocsparseL21csrmvt_general_kernelILj256ELj64EiiaaiiEEvbbT2_NS_24const_host_device_scalarIT6_EEPKT1_S7_PKS1_PKT3_PKT4_PT5_21rocsparse_index_base_b: ; @_ZN9rocsparseL21csrmvt_general_kernelILj256ELj64EiiaaiiEEvbbT2_NS_24const_host_device_scalarIT6_EEPKT1_S7_PKS1_PKT3_PKT4_PT5_21rocsparse_index_base_b
; %bb.0:
	s_load_dwordx2 s[16:17], s[4:5], 0x40
	s_load_dwordx4 s[0:3], s[4:5], 0x8
	s_waitcnt lgkmcnt(0)
	s_bitcmp0_b32 s17, 0
	s_cbranch_scc0 .LBB142_2
; %bb.1:
	s_load_dword s17, s[0:1], 0x0
	s_cbranch_execz .LBB142_3
	s_branch .LBB142_4
.LBB142_2:
                                        ; implicit-def: $sgpr17
.LBB142_3:
	s_waitcnt lgkmcnt(0)
	s_mov_b32 s17, s0
.LBB142_4:
	s_waitcnt lgkmcnt(0)
	s_cmp_eq_u32 s17, 0
	s_cbranch_scc1 .LBB142_22
; %bb.5:
	s_load_dwordx2 s[18:19], s[4:5], 0x0
	s_load_dword s0, s[4:5], 0x48
	s_load_dwordx2 s[20:21], s[4:5], 0x38
	s_load_dwordx8 s[8:15], s[4:5], 0x18
	v_and_b32_e32 v1, 63, v0
	v_lshl_or_b32 v0, s6, 8, v0
	s_waitcnt lgkmcnt(0)
	s_and_b32 s1, s18, 1
	s_lshl_b32 s18, s0, 2
	v_lshrrev_b32_e32 v0, 6, v0
	s_cmp_eq_u32 s1, 0
	v_cmp_gt_i32_e64 s[0:1], s19, v0
	s_mov_b64 s[4:5], -1
	s_cbranch_scc0 .LBB142_13
; %bb.6:
	s_and_saveexec_b64 s[4:5], s[0:1]
	s_cbranch_execz .LBB142_12
; %bb.7:
	v_subrev_u32_e32 v6, s16, v1
	s_mov_b64 s[6:7], 0
	v_mov_b32_e32 v7, s3
	v_mov_b32_e32 v8, s9
	;; [unrolled: 1-line block ×3, first 2 shown]
	s_branch .LBB142_9
.LBB142_8:                              ;   in Loop: Header=BB142_9 Depth=1
	s_or_b64 exec, exec, s[22:23]
	v_add_u32_e32 v2, s18, v2
	v_cmp_le_i32_e32 vcc, s19, v2
	s_or_b64 s[6:7], vcc, s[6:7]
	s_andn2_b64 exec, exec, s[6:7]
	s_cbranch_execz .LBB142_12
.LBB142_9:                              ; =>This Loop Header: Depth=1
                                        ;     Child Loop BB142_11 Depth 2
	v_ashrrev_i32_e32 v3, 31, v2
	v_lshlrev_b64 v[4:5], 2, v[2:3]
	v_add_co_u32_e32 v10, vcc, s2, v4
	v_addc_co_u32_e32 v11, vcc, v7, v5, vcc
	v_add_co_u32_e32 v4, vcc, s8, v4
	v_addc_co_u32_e32 v5, vcc, v8, v5, vcc
	global_load_dword v9, v[4:5], off
	global_load_dword v12, v[10:11], off
	s_waitcnt vmcnt(1)
	v_subrev_u32_e32 v9, s16, v9
	s_waitcnt vmcnt(0)
	v_add_u32_e32 v4, v12, v6
	v_cmp_lt_i32_e32 vcc, v4, v9
	s_and_saveexec_b64 s[22:23], vcc
	s_cbranch_execz .LBB142_8
; %bb.10:                               ;   in Loop: Header=BB142_9 Depth=1
	v_mov_b32_e32 v5, s15
	v_add_co_u32_e32 v10, vcc, s14, v2
	v_addc_co_u32_e32 v11, vcc, v5, v3, vcc
	global_load_sbyte v3, v[10:11], off
	s_mov_b64 s[24:25], 0
	s_waitcnt vmcnt(0)
	v_mul_lo_u32 v3, s17, v3
.LBB142_11:                             ;   Parent Loop BB142_9 Depth=1
                                        ; =>  This Inner Loop Header: Depth=2
	v_ashrrev_i32_e32 v5, 31, v4
	v_lshlrev_b64 v[10:11], 2, v[4:5]
	v_mov_b32_e32 v12, s11
	v_add_co_u32_e32 v10, vcc, s10, v10
	v_addc_co_u32_e32 v11, vcc, v12, v11, vcc
	global_load_dword v12, v[10:11], off
	v_mov_b32_e32 v11, s13
	v_add_co_u32_e32 v10, vcc, s12, v4
	v_addc_co_u32_e32 v11, vcc, v11, v5, vcc
	global_load_sbyte v5, v[10:11], off
	v_mov_b32_e32 v13, s21
	v_add_u32_e32 v4, 64, v4
	s_waitcnt vmcnt(1)
	v_subrev_u32_e32 v10, s16, v12
	v_ashrrev_i32_e32 v11, 31, v10
	v_lshlrev_b64 v[10:11], 2, v[10:11]
	v_add_co_u32_e32 v10, vcc, s20, v10
	v_addc_co_u32_e32 v11, vcc, v13, v11, vcc
	s_waitcnt vmcnt(0)
	v_mul_lo_u32 v5, v3, v5
	global_atomic_add v[10:11], v5, off
	v_cmp_ge_i32_e32 vcc, v4, v9
	s_or_b64 s[24:25], vcc, s[24:25]
	s_andn2_b64 exec, exec, s[24:25]
	s_cbranch_execnz .LBB142_11
	s_branch .LBB142_8
.LBB142_12:
	s_or_b64 exec, exec, s[4:5]
	s_mov_b64 s[4:5], 0
.LBB142_13:
	s_andn2_b64 vcc, exec, s[4:5]
	s_cbranch_vccnz .LBB142_22
; %bb.14:
	s_and_saveexec_b64 s[4:5], s[0:1]
	s_cbranch_execz .LBB142_22
; %bb.15:
	v_subrev_u32_e32 v6, s16, v1
	s_mov_b64 s[0:1], 0
	v_mov_b32_e32 v7, s3
	v_mov_b32_e32 v8, s9
	s_branch .LBB142_17
.LBB142_16:                             ;   in Loop: Header=BB142_17 Depth=1
	s_or_b64 exec, exec, s[4:5]
	v_add_u32_e32 v0, s18, v0
	v_cmp_le_i32_e32 vcc, s19, v0
	s_or_b64 s[0:1], vcc, s[0:1]
	s_andn2_b64 exec, exec, s[0:1]
	s_cbranch_execz .LBB142_22
.LBB142_17:                             ; =>This Loop Header: Depth=1
                                        ;     Child Loop BB142_20 Depth 2
	v_ashrrev_i32_e32 v1, 31, v0
	v_lshlrev_b64 v[2:3], 2, v[0:1]
	v_add_co_u32_e32 v4, vcc, s2, v2
	v_addc_co_u32_e32 v5, vcc, v7, v3, vcc
	v_add_co_u32_e32 v2, vcc, s8, v2
	v_addc_co_u32_e32 v3, vcc, v8, v3, vcc
	global_load_dword v9, v[2:3], off
	global_load_dword v10, v[4:5], off
	s_waitcnt vmcnt(1)
	v_subrev_u32_e32 v9, s16, v9
	s_waitcnt vmcnt(0)
	v_add_u32_e32 v2, v10, v6
	v_cmp_lt_i32_e32 vcc, v2, v9
	s_and_saveexec_b64 s[4:5], vcc
	s_cbranch_execz .LBB142_16
; %bb.18:                               ;   in Loop: Header=BB142_17 Depth=1
	v_mov_b32_e32 v3, s15
	v_add_co_u32_e32 v4, vcc, s14, v0
	v_addc_co_u32_e32 v5, vcc, v3, v1, vcc
	global_load_sbyte v1, v[4:5], off
	s_mov_b64 s[6:7], 0
	s_waitcnt vmcnt(0)
	v_mul_lo_u32 v1, s17, v1
	s_branch .LBB142_20
.LBB142_19:                             ;   in Loop: Header=BB142_20 Depth=2
	s_or_b64 exec, exec, s[22:23]
	v_add_u32_e32 v2, 64, v2
	v_cmp_ge_i32_e32 vcc, v2, v9
	s_or_b64 s[6:7], vcc, s[6:7]
	s_andn2_b64 exec, exec, s[6:7]
	s_cbranch_execz .LBB142_16
.LBB142_20:                             ;   Parent Loop BB142_17 Depth=1
                                        ; =>  This Inner Loop Header: Depth=2
	v_ashrrev_i32_e32 v3, 31, v2
	v_lshlrev_b64 v[4:5], 2, v[2:3]
	v_mov_b32_e32 v10, s11
	v_add_co_u32_e32 v4, vcc, s10, v4
	v_addc_co_u32_e32 v5, vcc, v10, v5, vcc
	global_load_dword v4, v[4:5], off
	s_waitcnt vmcnt(0)
	v_subrev_u32_e32 v4, s16, v4
	v_cmp_ne_u32_e32 vcc, v4, v0
	s_and_saveexec_b64 s[22:23], vcc
	s_cbranch_execz .LBB142_19
; %bb.21:                               ;   in Loop: Header=BB142_20 Depth=2
	v_mov_b32_e32 v5, s13
	v_add_co_u32_e32 v10, vcc, s12, v2
	v_addc_co_u32_e32 v11, vcc, v5, v3, vcc
	global_load_sbyte v3, v[10:11], off
	v_ashrrev_i32_e32 v5, 31, v4
	v_lshlrev_b64 v[4:5], 2, v[4:5]
	v_mov_b32_e32 v10, s21
	v_add_co_u32_e32 v4, vcc, s20, v4
	v_addc_co_u32_e32 v5, vcc, v10, v5, vcc
	s_waitcnt vmcnt(0)
	v_mul_lo_u32 v3, v1, v3
	global_atomic_add v[4:5], v3, off
	s_branch .LBB142_19
.LBB142_22:
	s_endpgm
	.section	.rodata,"a",@progbits
	.p2align	6, 0x0
	.amdhsa_kernel _ZN9rocsparseL21csrmvt_general_kernelILj256ELj64EiiaaiiEEvbbT2_NS_24const_host_device_scalarIT6_EEPKT1_S7_PKS1_PKT3_PKT4_PT5_21rocsparse_index_base_b
		.amdhsa_group_segment_fixed_size 0
		.amdhsa_private_segment_fixed_size 0
		.amdhsa_kernarg_size 328
		.amdhsa_user_sgpr_count 6
		.amdhsa_user_sgpr_private_segment_buffer 1
		.amdhsa_user_sgpr_dispatch_ptr 0
		.amdhsa_user_sgpr_queue_ptr 0
		.amdhsa_user_sgpr_kernarg_segment_ptr 1
		.amdhsa_user_sgpr_dispatch_id 0
		.amdhsa_user_sgpr_flat_scratch_init 0
		.amdhsa_user_sgpr_kernarg_preload_length 0
		.amdhsa_user_sgpr_kernarg_preload_offset 0
		.amdhsa_user_sgpr_private_segment_size 0
		.amdhsa_uses_dynamic_stack 0
		.amdhsa_system_sgpr_private_segment_wavefront_offset 0
		.amdhsa_system_sgpr_workgroup_id_x 1
		.amdhsa_system_sgpr_workgroup_id_y 0
		.amdhsa_system_sgpr_workgroup_id_z 0
		.amdhsa_system_sgpr_workgroup_info 0
		.amdhsa_system_vgpr_workitem_id 0
		.amdhsa_next_free_vgpr 14
		.amdhsa_next_free_sgpr 26
		.amdhsa_accum_offset 16
		.amdhsa_reserve_vcc 1
		.amdhsa_reserve_flat_scratch 0
		.amdhsa_float_round_mode_32 0
		.amdhsa_float_round_mode_16_64 0
		.amdhsa_float_denorm_mode_32 3
		.amdhsa_float_denorm_mode_16_64 3
		.amdhsa_dx10_clamp 1
		.amdhsa_ieee_mode 1
		.amdhsa_fp16_overflow 0
		.amdhsa_tg_split 0
		.amdhsa_exception_fp_ieee_invalid_op 0
		.amdhsa_exception_fp_denorm_src 0
		.amdhsa_exception_fp_ieee_div_zero 0
		.amdhsa_exception_fp_ieee_overflow 0
		.amdhsa_exception_fp_ieee_underflow 0
		.amdhsa_exception_fp_ieee_inexact 0
		.amdhsa_exception_int_div_zero 0
	.end_amdhsa_kernel
	.section	.text._ZN9rocsparseL21csrmvt_general_kernelILj256ELj64EiiaaiiEEvbbT2_NS_24const_host_device_scalarIT6_EEPKT1_S7_PKS1_PKT3_PKT4_PT5_21rocsparse_index_base_b,"axG",@progbits,_ZN9rocsparseL21csrmvt_general_kernelILj256ELj64EiiaaiiEEvbbT2_NS_24const_host_device_scalarIT6_EEPKT1_S7_PKS1_PKT3_PKT4_PT5_21rocsparse_index_base_b,comdat
.Lfunc_end142:
	.size	_ZN9rocsparseL21csrmvt_general_kernelILj256ELj64EiiaaiiEEvbbT2_NS_24const_host_device_scalarIT6_EEPKT1_S7_PKS1_PKT3_PKT4_PT5_21rocsparse_index_base_b, .Lfunc_end142-_ZN9rocsparseL21csrmvt_general_kernelILj256ELj64EiiaaiiEEvbbT2_NS_24const_host_device_scalarIT6_EEPKT1_S7_PKS1_PKT3_PKT4_PT5_21rocsparse_index_base_b
                                        ; -- End function
	.section	.AMDGPU.csdata,"",@progbits
; Kernel info:
; codeLenInByte = 764
; NumSgprs: 30
; NumVgprs: 14
; NumAgprs: 0
; TotalNumVgprs: 14
; ScratchSize: 0
; MemoryBound: 0
; FloatMode: 240
; IeeeMode: 1
; LDSByteSize: 0 bytes/workgroup (compile time only)
; SGPRBlocks: 3
; VGPRBlocks: 1
; NumSGPRsForWavesPerEU: 30
; NumVGPRsForWavesPerEU: 14
; AccumOffset: 16
; Occupancy: 8
; WaveLimiterHint : 1
; COMPUTE_PGM_RSRC2:SCRATCH_EN: 0
; COMPUTE_PGM_RSRC2:USER_SGPR: 6
; COMPUTE_PGM_RSRC2:TRAP_HANDLER: 0
; COMPUTE_PGM_RSRC2:TGID_X_EN: 1
; COMPUTE_PGM_RSRC2:TGID_Y_EN: 0
; COMPUTE_PGM_RSRC2:TGID_Z_EN: 0
; COMPUTE_PGM_RSRC2:TIDIG_COMP_CNT: 0
; COMPUTE_PGM_RSRC3_GFX90A:ACCUM_OFFSET: 3
; COMPUTE_PGM_RSRC3_GFX90A:TG_SPLIT: 0
	.section	.text._ZN9rocsparseL21csrmvn_general_kernelILj256ELj2EliaaiiEEvbT2_NS_24const_host_device_scalarIT6_EEPKT1_S7_PKS1_PKT3_PKT4_S4_PT5_21rocsparse_index_base_b,"axG",@progbits,_ZN9rocsparseL21csrmvn_general_kernelILj256ELj2EliaaiiEEvbT2_NS_24const_host_device_scalarIT6_EEPKT1_S7_PKS1_PKT3_PKT4_S4_PT5_21rocsparse_index_base_b,comdat
	.globl	_ZN9rocsparseL21csrmvn_general_kernelILj256ELj2EliaaiiEEvbT2_NS_24const_host_device_scalarIT6_EEPKT1_S7_PKS1_PKT3_PKT4_S4_PT5_21rocsparse_index_base_b ; -- Begin function _ZN9rocsparseL21csrmvn_general_kernelILj256ELj2EliaaiiEEvbT2_NS_24const_host_device_scalarIT6_EEPKT1_S7_PKS1_PKT3_PKT4_S4_PT5_21rocsparse_index_base_b
	.p2align	8
	.type	_ZN9rocsparseL21csrmvn_general_kernelILj256ELj2EliaaiiEEvbT2_NS_24const_host_device_scalarIT6_EEPKT1_S7_PKS1_PKT3_PKT4_S4_PT5_21rocsparse_index_base_b,@function
_ZN9rocsparseL21csrmvn_general_kernelILj256ELj2EliaaiiEEvbT2_NS_24const_host_device_scalarIT6_EEPKT1_S7_PKS1_PKT3_PKT4_S4_PT5_21rocsparse_index_base_b: ; @_ZN9rocsparseL21csrmvn_general_kernelILj256ELj2EliaaiiEEvbT2_NS_24const_host_device_scalarIT6_EEPKT1_S7_PKS1_PKT3_PKT4_S4_PT5_21rocsparse_index_base_b
; %bb.0:
	s_load_dwordx2 s[20:21], s[4:5], 0x48
	s_load_dwordx4 s[16:19], s[4:5], 0x8
	s_mov_b64 s[8:9], -1
	s_waitcnt lgkmcnt(0)
	s_bitcmp1_b32 s21, 0
	s_cselect_b64 s[0:1], -1, 0
	s_xor_b64 s[2:3], s[0:1], -1
	s_and_b64 vcc, exec, s[2:3]
                                        ; implicit-def: $sgpr21
	s_cbranch_vccnz .LBB143_4
; %bb.1:
	s_load_dwordx2 s[0:1], s[4:5], 0x38
	s_andn2_b64 vcc, exec, s[8:9]
	s_cbranch_vccz .LBB143_5
.LBB143_2:
	s_and_b64 vcc, exec, s[2:3]
	s_cbranch_vccz .LBB143_6
.LBB143_3:
	s_waitcnt lgkmcnt(0)
	s_load_dword s26, s[0:1], 0x0
	s_cbranch_execz .LBB143_7
	s_branch .LBB143_8
.LBB143_4:
	s_load_dword s21, s[16:17], 0x0
	s_load_dwordx2 s[0:1], s[4:5], 0x38
	s_cbranch_execnz .LBB143_2
.LBB143_5:
	s_waitcnt lgkmcnt(0)
	s_mov_b32 s21, s16
	s_and_b64 vcc, exec, s[2:3]
	s_cbranch_vccnz .LBB143_3
.LBB143_6:
                                        ; implicit-def: $sgpr26
.LBB143_7:
	s_waitcnt lgkmcnt(0)
	s_mov_b32 s26, s0
.LBB143_8:
	s_waitcnt lgkmcnt(0)
	s_cmp_lg_u32 s21, 0
	s_cselect_b64 s[0:1], -1, 0
	s_cmp_lg_u32 s26, 1
	s_cselect_b64 s[2:3], -1, 0
	s_or_b64 s[0:1], s[0:1], s[2:3]
	s_andn2_b64 vcc, exec, s[0:1]
	s_cbranch_vccnz .LBB143_26
; %bb.9:
	s_load_dword s27, s[4:5], 0x4
	v_lshl_or_b32 v1, s6, 8, v0
	v_lshrrev_b32_e32 v2, 1, v1
	s_waitcnt lgkmcnt(0)
	v_cmp_gt_i32_e32 vcc, s27, v2
	s_and_saveexec_b64 s[0:1], vcc
	s_cbranch_execz .LBB143_26
; %bb.10:
	s_load_dword s0, s[4:5], 0x50
	s_load_dwordx2 s[6:7], s[4:5], 0x40
	s_load_dwordx8 s[8:15], s[4:5], 0x18
	v_and_b32_e32 v0, 1, v0
	v_subrev_co_u32_e32 v20, vcc, s20, v0
	s_waitcnt lgkmcnt(0)
	s_lshl_b32 s28, s0, 7
	v_subb_co_u32_e64 v21, s[0:1], 0, 0, vcc
	s_ashr_i32 s0, s20, 31
	s_sub_u32 s29, s14, s20
	v_not_b32_e32 v1, v0
	s_subb_u32 s30, s15, s0
	v_cmp_eq_u32_e64 s[0:1], 1, v0
	v_add_co_u32_e32 v22, vcc, s20, v1
	v_or_b32_e32 v0, 2, v0
	v_addc_co_u32_e64 v23, s[2:3], -1, 0, vcc
	v_subrev_co_u32_e32 v24, vcc, s20, v0
	v_subb_co_u32_e64 v25, s[2:3], 0, 0, vcc
	v_mov_b32_e32 v0, s13
	v_add_co_u32_e32 v1, vcc, s12, v20
	s_cmp_lg_u32 s26, 0
	v_addc_co_u32_e32 v0, vcc, v21, v0, vcc
	s_mov_b32 s16, 0
	s_cselect_b64 s[4:5], -1, 0
	v_add_co_u32_e32 v26, vcc, 2, v1
	s_add_u32 s33, s10, 8
	s_mov_b32 s31, s21
	v_addc_co_u32_e32 v27, vcc, 0, v0, vcc
	s_addc_u32 s34, s11, 0
	s_mov_b64 s[14:15], 0
	v_mov_b32_e32 v28, s19
	v_mov_b32_e32 v29, s9
	;; [unrolled: 1-line block ×4, first 2 shown]
	s_branch .LBB143_13
.LBB143_11:                             ;   in Loop: Header=BB143_13 Depth=1
	global_store_dword v[4:5], v0, off
.LBB143_12:                             ;   in Loop: Header=BB143_13 Depth=1
	s_or_b64 exec, exec, s[16:17]
	v_add_u32_e32 v2, s28, v2
	v_cmp_le_i32_e32 vcc, s27, v2
	s_or_b64 s[14:15], vcc, s[14:15]
	s_andn2_b64 exec, exec, s[14:15]
	s_cbranch_execz .LBB143_26
.LBB143_13:                             ; =>This Loop Header: Depth=1
                                        ;     Child Loop BB143_16 Depth 2
                                        ;     Child Loop BB143_20 Depth 2
	v_ashrrev_i32_e32 v3, 31, v2
	v_lshlrev_b64 v[0:1], 3, v[2:3]
	v_add_co_u32_e32 v4, vcc, s8, v0
	v_addc_co_u32_e32 v5, vcc, v29, v1, vcc
	global_load_dwordx2 v[4:5], v[4:5], off
	v_add_co_u32_e32 v0, vcc, s18, v0
	v_addc_co_u32_e32 v1, vcc, v28, v1, vcc
	global_load_dwordx2 v[12:13], v[0:1], off
	v_mov_b32_e32 v6, 0
	s_waitcnt vmcnt(1)
	v_subrev_co_u32_e32 v0, vcc, s20, v4
	v_subb_co_u32_e32 v1, vcc, v5, v30, vcc
	s_waitcnt vmcnt(0)
	v_add_co_u32_e32 v4, vcc, v12, v20
	v_addc_co_u32_e32 v5, vcc, v13, v21, vcc
	v_cmp_lt_i64_e32 vcc, v[4:5], v[0:1]
	s_and_saveexec_b64 s[16:17], vcc
	s_cbranch_execz .LBB143_23
; %bb.14:                               ;   in Loop: Header=BB143_13 Depth=1
	v_add_co_u32_e32 v6, vcc, v24, v12
	v_addc_co_u32_e32 v7, vcc, v25, v13, vcc
	v_cmp_gt_i64_e32 vcc, v[6:7], v[0:1]
	v_cndmask_b32_e32 v6, v0, v6, vcc
	v_cndmask_b32_e32 v7, v1, v7, vcc
	v_add_co_u32_e32 v6, vcc, v22, v6
	v_addc_co_u32_e32 v7, vcc, v23, v7, vcc
	v_sub_co_u32_e32 v8, vcc, v6, v12
	v_subb_co_u32_e32 v9, vcc, v7, v13, vcc
	v_cmp_lt_u64_e32 vcc, 1, v[8:9]
	s_mov_b64 s[24:25], -1
	v_mov_b32_e32 v6, 0
	s_and_saveexec_b64 s[22:23], vcc
	s_cbranch_execz .LBB143_18
; %bb.15:                               ;   in Loop: Header=BB143_13 Depth=1
	v_lshrrev_b64 v[6:7], 1, v[8:9]
	v_add_co_u32_e32 v8, vcc, 1, v6
	v_addc_co_u32_e32 v9, vcc, 0, v7, vcc
	v_add_co_u32_e32 v6, vcc, v26, v12
	v_addc_co_u32_e32 v7, vcc, v27, v13, vcc
	v_lshlrev_b64 v[12:13], 2, v[4:5]
	v_and_b32_e32 v10, -2, v8
	v_mov_b32_e32 v11, v9
	v_mov_b32_e32 v15, s34
	v_add_co_u32_e32 v14, vcc, s33, v12
	v_addc_co_u32_e32 v15, vcc, v15, v13, vcc
	s_mov_b64 s[24:25], 0
	v_mov_b32_e32 v12, 0
	v_pk_mov_b32 v[18:19], v[10:11], v[10:11] op_sel:[0,1]
	v_mov_b32_e32 v16, 0
.LBB143_16:                             ;   Parent Loop BB143_13 Depth=1
                                        ; =>  This Inner Loop Header: Depth=2
	global_load_dword v13, v[14:15], off
	global_load_dword v17, v[14:15], off offset:-8
	global_load_sbyte v36, v[6:7], off
	global_load_sbyte v37, v[6:7], off offset:-2
	s_waitcnt vmcnt(3)
	v_ashrrev_i32_e32 v33, 31, v13
	v_add_co_u32_e32 v32, vcc, s29, v13
	s_waitcnt vmcnt(2)
	v_ashrrev_i32_e32 v35, 31, v17
	v_add_co_u32_e64 v34, s[2:3], s29, v17
	v_addc_co_u32_e32 v33, vcc, v31, v33, vcc
	v_addc_co_u32_e64 v35, s[2:3], v31, v35, s[2:3]
	global_load_sbyte v13, v[32:33], off
	global_load_sbyte v38, v[34:35], off
	v_add_co_u32_e32 v18, vcc, -2, v18
	v_addc_co_u32_e32 v19, vcc, -1, v19, vcc
	v_add_co_u32_e32 v6, vcc, 4, v6
	v_addc_co_u32_e32 v7, vcc, 0, v7, vcc
	v_add_co_u32_e32 v14, vcc, 16, v14
	v_addc_co_u32_e32 v15, vcc, 0, v15, vcc
	v_cmp_eq_u64_e32 vcc, 0, v[18:19]
	s_waitcnt vmcnt(2)
	v_mul_lo_u32 v32, s21, v37
	v_mul_lo_u32 v17, s31, v36
	s_or_b64 s[24:25], vcc, s[24:25]
	s_waitcnt vmcnt(1)
	v_mad_u64_u32 v[16:17], s[2:3], v17, v13, v[16:17]
	s_waitcnt vmcnt(0)
	v_mad_u64_u32 v[12:13], s[2:3], v32, v38, v[12:13]
	s_andn2_b64 exec, exec, s[24:25]
	s_cbranch_execnz .LBB143_16
; %bb.17:                               ;   in Loop: Header=BB143_13 Depth=1
	s_or_b64 exec, exec, s[24:25]
	v_lshlrev_b64 v[14:15], 1, v[10:11]
	v_add_co_u32_e32 v4, vcc, v4, v14
	v_addc_co_u32_e32 v5, vcc, v5, v15, vcc
	v_mov_b32_e32 v7, v16
	v_cmp_ne_u64_e32 vcc, v[8:9], v[10:11]
	v_add_u32_e32 v6, v12, v7
	s_orn2_b64 s[24:25], vcc, exec
.LBB143_18:                             ;   in Loop: Header=BB143_13 Depth=1
	s_or_b64 exec, exec, s[22:23]
	s_and_saveexec_b64 s[2:3], s[24:25]
	s_cbranch_execz .LBB143_22
; %bb.19:                               ;   in Loop: Header=BB143_13 Depth=1
	v_lshlrev_b64 v[8:9], 2, v[4:5]
	v_mov_b32_e32 v7, s11
	v_add_co_u32_e32 v8, vcc, s10, v8
	v_addc_co_u32_e32 v9, vcc, v7, v9, vcc
	s_mov_b64 s[22:23], 0
.LBB143_20:                             ;   Parent Loop BB143_13 Depth=1
                                        ; =>  This Inner Loop Header: Depth=2
	global_load_dword v7, v[8:9], off
	v_mov_b32_e32 v11, s13
	v_add_co_u32_e32 v10, vcc, s12, v4
	v_addc_co_u32_e32 v11, vcc, v11, v5, vcc
	v_mov_b32_e32 v12, s30
	global_load_sbyte v13, v[10:11], off
	s_waitcnt vmcnt(1)
	v_ashrrev_i32_e32 v11, 31, v7
	v_add_co_u32_e32 v10, vcc, s29, v7
	v_addc_co_u32_e32 v11, vcc, v12, v11, vcc
	global_load_sbyte v7, v[10:11], off
	v_add_co_u32_e32 v8, vcc, 8, v8
	v_addc_co_u32_e32 v9, vcc, 0, v9, vcc
	v_add_co_u32_e32 v4, vcc, 2, v4
	v_addc_co_u32_e32 v5, vcc, 0, v5, vcc
	v_cmp_ge_i64_e32 vcc, v[4:5], v[0:1]
	s_waitcnt vmcnt(1)
	v_mul_lo_u32 v10, s21, v13
	s_or_b64 s[22:23], vcc, s[22:23]
	s_waitcnt vmcnt(0)
	v_mad_u64_u32 v[6:7], s[24:25], v10, v7, v[6:7]
	s_andn2_b64 exec, exec, s[22:23]
	s_cbranch_execnz .LBB143_20
; %bb.21:                               ;   in Loop: Header=BB143_13 Depth=1
	s_or_b64 exec, exec, s[22:23]
.LBB143_22:                             ;   in Loop: Header=BB143_13 Depth=1
	s_or_b64 exec, exec, s[2:3]
.LBB143_23:                             ;   in Loop: Header=BB143_13 Depth=1
	s_or_b64 exec, exec, s[16:17]
	v_mov_b32_dpp v0, v6 row_shr:1 row_mask:0xf bank_mask:0xf
	s_and_saveexec_b64 s[16:17], s[0:1]
	s_cbranch_execz .LBB143_12
; %bb.24:                               ;   in Loop: Header=BB143_13 Depth=1
	v_lshlrev_b64 v[4:5], 2, v[2:3]
	v_mov_b32_e32 v1, s7
	v_add_co_u32_e64 v4, s[2:3], s6, v4
	v_add_u32_e32 v0, v0, v6
	s_andn2_b64 vcc, exec, s[4:5]
	v_addc_co_u32_e64 v5, s[2:3], v1, v5, s[2:3]
	s_cbranch_vccnz .LBB143_11
; %bb.25:                               ;   in Loop: Header=BB143_13 Depth=1
	global_load_dword v1, v[4:5], off
	s_waitcnt vmcnt(0)
	v_mad_u64_u32 v[0:1], s[2:3], v1, s26, v[0:1]
	s_branch .LBB143_11
.LBB143_26:
	s_endpgm
	.section	.rodata,"a",@progbits
	.p2align	6, 0x0
	.amdhsa_kernel _ZN9rocsparseL21csrmvn_general_kernelILj256ELj2EliaaiiEEvbT2_NS_24const_host_device_scalarIT6_EEPKT1_S7_PKS1_PKT3_PKT4_S4_PT5_21rocsparse_index_base_b
		.amdhsa_group_segment_fixed_size 0
		.amdhsa_private_segment_fixed_size 0
		.amdhsa_kernarg_size 336
		.amdhsa_user_sgpr_count 6
		.amdhsa_user_sgpr_private_segment_buffer 1
		.amdhsa_user_sgpr_dispatch_ptr 0
		.amdhsa_user_sgpr_queue_ptr 0
		.amdhsa_user_sgpr_kernarg_segment_ptr 1
		.amdhsa_user_sgpr_dispatch_id 0
		.amdhsa_user_sgpr_flat_scratch_init 0
		.amdhsa_user_sgpr_kernarg_preload_length 0
		.amdhsa_user_sgpr_kernarg_preload_offset 0
		.amdhsa_user_sgpr_private_segment_size 0
		.amdhsa_uses_dynamic_stack 0
		.amdhsa_system_sgpr_private_segment_wavefront_offset 0
		.amdhsa_system_sgpr_workgroup_id_x 1
		.amdhsa_system_sgpr_workgroup_id_y 0
		.amdhsa_system_sgpr_workgroup_id_z 0
		.amdhsa_system_sgpr_workgroup_info 0
		.amdhsa_system_vgpr_workitem_id 0
		.amdhsa_next_free_vgpr 39
		.amdhsa_next_free_sgpr 35
		.amdhsa_accum_offset 40
		.amdhsa_reserve_vcc 1
		.amdhsa_reserve_flat_scratch 0
		.amdhsa_float_round_mode_32 0
		.amdhsa_float_round_mode_16_64 0
		.amdhsa_float_denorm_mode_32 3
		.amdhsa_float_denorm_mode_16_64 3
		.amdhsa_dx10_clamp 1
		.amdhsa_ieee_mode 1
		.amdhsa_fp16_overflow 0
		.amdhsa_tg_split 0
		.amdhsa_exception_fp_ieee_invalid_op 0
		.amdhsa_exception_fp_denorm_src 0
		.amdhsa_exception_fp_ieee_div_zero 0
		.amdhsa_exception_fp_ieee_overflow 0
		.amdhsa_exception_fp_ieee_underflow 0
		.amdhsa_exception_fp_ieee_inexact 0
		.amdhsa_exception_int_div_zero 0
	.end_amdhsa_kernel
	.section	.text._ZN9rocsparseL21csrmvn_general_kernelILj256ELj2EliaaiiEEvbT2_NS_24const_host_device_scalarIT6_EEPKT1_S7_PKS1_PKT3_PKT4_S4_PT5_21rocsparse_index_base_b,"axG",@progbits,_ZN9rocsparseL21csrmvn_general_kernelILj256ELj2EliaaiiEEvbT2_NS_24const_host_device_scalarIT6_EEPKT1_S7_PKS1_PKT3_PKT4_S4_PT5_21rocsparse_index_base_b,comdat
.Lfunc_end143:
	.size	_ZN9rocsparseL21csrmvn_general_kernelILj256ELj2EliaaiiEEvbT2_NS_24const_host_device_scalarIT6_EEPKT1_S7_PKS1_PKT3_PKT4_S4_PT5_21rocsparse_index_base_b, .Lfunc_end143-_ZN9rocsparseL21csrmvn_general_kernelILj256ELj2EliaaiiEEvbT2_NS_24const_host_device_scalarIT6_EEPKT1_S7_PKS1_PKT3_PKT4_S4_PT5_21rocsparse_index_base_b
                                        ; -- End function
	.section	.AMDGPU.csdata,"",@progbits
; Kernel info:
; codeLenInByte = 1064
; NumSgprs: 39
; NumVgprs: 39
; NumAgprs: 0
; TotalNumVgprs: 39
; ScratchSize: 0
; MemoryBound: 0
; FloatMode: 240
; IeeeMode: 1
; LDSByteSize: 0 bytes/workgroup (compile time only)
; SGPRBlocks: 4
; VGPRBlocks: 4
; NumSGPRsForWavesPerEU: 39
; NumVGPRsForWavesPerEU: 39
; AccumOffset: 40
; Occupancy: 8
; WaveLimiterHint : 1
; COMPUTE_PGM_RSRC2:SCRATCH_EN: 0
; COMPUTE_PGM_RSRC2:USER_SGPR: 6
; COMPUTE_PGM_RSRC2:TRAP_HANDLER: 0
; COMPUTE_PGM_RSRC2:TGID_X_EN: 1
; COMPUTE_PGM_RSRC2:TGID_Y_EN: 0
; COMPUTE_PGM_RSRC2:TGID_Z_EN: 0
; COMPUTE_PGM_RSRC2:TIDIG_COMP_CNT: 0
; COMPUTE_PGM_RSRC3_GFX90A:ACCUM_OFFSET: 9
; COMPUTE_PGM_RSRC3_GFX90A:TG_SPLIT: 0
	.section	.text._ZN9rocsparseL21csrmvn_general_kernelILj256ELj4EliaaiiEEvbT2_NS_24const_host_device_scalarIT6_EEPKT1_S7_PKS1_PKT3_PKT4_S4_PT5_21rocsparse_index_base_b,"axG",@progbits,_ZN9rocsparseL21csrmvn_general_kernelILj256ELj4EliaaiiEEvbT2_NS_24const_host_device_scalarIT6_EEPKT1_S7_PKS1_PKT3_PKT4_S4_PT5_21rocsparse_index_base_b,comdat
	.globl	_ZN9rocsparseL21csrmvn_general_kernelILj256ELj4EliaaiiEEvbT2_NS_24const_host_device_scalarIT6_EEPKT1_S7_PKS1_PKT3_PKT4_S4_PT5_21rocsparse_index_base_b ; -- Begin function _ZN9rocsparseL21csrmvn_general_kernelILj256ELj4EliaaiiEEvbT2_NS_24const_host_device_scalarIT6_EEPKT1_S7_PKS1_PKT3_PKT4_S4_PT5_21rocsparse_index_base_b
	.p2align	8
	.type	_ZN9rocsparseL21csrmvn_general_kernelILj256ELj4EliaaiiEEvbT2_NS_24const_host_device_scalarIT6_EEPKT1_S7_PKS1_PKT3_PKT4_S4_PT5_21rocsparse_index_base_b,@function
_ZN9rocsparseL21csrmvn_general_kernelILj256ELj4EliaaiiEEvbT2_NS_24const_host_device_scalarIT6_EEPKT1_S7_PKS1_PKT3_PKT4_S4_PT5_21rocsparse_index_base_b: ; @_ZN9rocsparseL21csrmvn_general_kernelILj256ELj4EliaaiiEEvbT2_NS_24const_host_device_scalarIT6_EEPKT1_S7_PKS1_PKT3_PKT4_S4_PT5_21rocsparse_index_base_b
; %bb.0:
	s_load_dwordx2 s[20:21], s[4:5], 0x48
	s_load_dwordx4 s[16:19], s[4:5], 0x8
	s_mov_b64 s[8:9], -1
	s_waitcnt lgkmcnt(0)
	s_bitcmp1_b32 s21, 0
	s_cselect_b64 s[0:1], -1, 0
	s_xor_b64 s[2:3], s[0:1], -1
	s_and_b64 vcc, exec, s[2:3]
                                        ; implicit-def: $sgpr21
	s_cbranch_vccnz .LBB144_4
; %bb.1:
	s_load_dwordx2 s[0:1], s[4:5], 0x38
	s_andn2_b64 vcc, exec, s[8:9]
	s_cbranch_vccz .LBB144_5
.LBB144_2:
	s_and_b64 vcc, exec, s[2:3]
	s_cbranch_vccz .LBB144_6
.LBB144_3:
	s_waitcnt lgkmcnt(0)
	s_load_dword s26, s[0:1], 0x0
	s_cbranch_execz .LBB144_7
	s_branch .LBB144_8
.LBB144_4:
	s_load_dword s21, s[16:17], 0x0
	s_load_dwordx2 s[0:1], s[4:5], 0x38
	s_cbranch_execnz .LBB144_2
.LBB144_5:
	s_waitcnt lgkmcnt(0)
	s_mov_b32 s21, s16
	s_and_b64 vcc, exec, s[2:3]
	s_cbranch_vccnz .LBB144_3
.LBB144_6:
                                        ; implicit-def: $sgpr26
.LBB144_7:
	s_waitcnt lgkmcnt(0)
	s_mov_b32 s26, s0
.LBB144_8:
	s_waitcnt lgkmcnt(0)
	s_cmp_lg_u32 s21, 0
	s_cselect_b64 s[0:1], -1, 0
	s_cmp_lg_u32 s26, 1
	s_cselect_b64 s[2:3], -1, 0
	s_or_b64 s[0:1], s[0:1], s[2:3]
	s_andn2_b64 vcc, exec, s[0:1]
	s_cbranch_vccnz .LBB144_26
; %bb.9:
	s_load_dword s27, s[4:5], 0x4
	v_lshl_or_b32 v1, s6, 8, v0
	v_lshrrev_b32_e32 v2, 2, v1
	s_waitcnt lgkmcnt(0)
	v_cmp_gt_i32_e32 vcc, s27, v2
	s_and_saveexec_b64 s[0:1], vcc
	s_cbranch_execz .LBB144_26
; %bb.10:
	s_load_dword s0, s[4:5], 0x50
	s_load_dwordx2 s[6:7], s[4:5], 0x40
	s_load_dwordx8 s[8:15], s[4:5], 0x18
	v_and_b32_e32 v0, 3, v0
	v_subrev_co_u32_e32 v20, vcc, s20, v0
	s_waitcnt lgkmcnt(0)
	s_lshl_b32 s28, s0, 6
	v_subb_co_u32_e64 v21, s[0:1], 0, 0, vcc
	s_ashr_i32 s0, s20, 31
	s_sub_u32 s29, s14, s20
	v_not_b32_e32 v1, v0
	s_subb_u32 s30, s15, s0
	v_cmp_eq_u32_e64 s[0:1], 3, v0
	v_add_co_u32_e32 v22, vcc, s20, v1
	v_or_b32_e32 v0, 4, v0
	v_addc_co_u32_e64 v23, s[2:3], -1, 0, vcc
	v_subrev_co_u32_e32 v24, vcc, s20, v0
	v_subb_co_u32_e64 v25, s[2:3], 0, 0, vcc
	v_mov_b32_e32 v0, s13
	v_add_co_u32_e32 v1, vcc, s12, v20
	s_cmp_lg_u32 s26, 0
	v_addc_co_u32_e32 v0, vcc, v21, v0, vcc
	s_mov_b32 s16, 0
	s_cselect_b64 s[4:5], -1, 0
	v_add_co_u32_e32 v26, vcc, 4, v1
	s_add_u32 s33, s10, 16
	s_mov_b32 s31, s21
	v_addc_co_u32_e32 v27, vcc, 0, v0, vcc
	s_addc_u32 s34, s11, 0
	s_mov_b64 s[14:15], 0
	v_mov_b32_e32 v28, s19
	v_mov_b32_e32 v29, s9
	v_mov_b32_e32 v30, s16
	v_mov_b32_e32 v31, s30
	s_branch .LBB144_13
.LBB144_11:                             ;   in Loop: Header=BB144_13 Depth=1
	global_store_dword v[4:5], v0, off
.LBB144_12:                             ;   in Loop: Header=BB144_13 Depth=1
	s_or_b64 exec, exec, s[16:17]
	v_add_u32_e32 v2, s28, v2
	v_cmp_le_i32_e32 vcc, s27, v2
	s_or_b64 s[14:15], vcc, s[14:15]
	s_andn2_b64 exec, exec, s[14:15]
	s_cbranch_execz .LBB144_26
.LBB144_13:                             ; =>This Loop Header: Depth=1
                                        ;     Child Loop BB144_16 Depth 2
                                        ;     Child Loop BB144_20 Depth 2
	v_ashrrev_i32_e32 v3, 31, v2
	v_lshlrev_b64 v[0:1], 3, v[2:3]
	v_add_co_u32_e32 v4, vcc, s8, v0
	v_addc_co_u32_e32 v5, vcc, v29, v1, vcc
	global_load_dwordx2 v[4:5], v[4:5], off
	v_add_co_u32_e32 v0, vcc, s18, v0
	v_addc_co_u32_e32 v1, vcc, v28, v1, vcc
	global_load_dwordx2 v[12:13], v[0:1], off
	v_mov_b32_e32 v6, 0
	s_waitcnt vmcnt(1)
	v_subrev_co_u32_e32 v0, vcc, s20, v4
	v_subb_co_u32_e32 v1, vcc, v5, v30, vcc
	s_waitcnt vmcnt(0)
	v_add_co_u32_e32 v4, vcc, v12, v20
	v_addc_co_u32_e32 v5, vcc, v13, v21, vcc
	v_cmp_lt_i64_e32 vcc, v[4:5], v[0:1]
	s_and_saveexec_b64 s[16:17], vcc
	s_cbranch_execz .LBB144_23
; %bb.14:                               ;   in Loop: Header=BB144_13 Depth=1
	v_add_co_u32_e32 v6, vcc, v24, v12
	v_addc_co_u32_e32 v7, vcc, v25, v13, vcc
	v_cmp_gt_i64_e32 vcc, v[6:7], v[0:1]
	v_cndmask_b32_e32 v6, v0, v6, vcc
	v_cndmask_b32_e32 v7, v1, v7, vcc
	v_add_co_u32_e32 v6, vcc, v22, v6
	v_addc_co_u32_e32 v7, vcc, v23, v7, vcc
	v_sub_co_u32_e32 v8, vcc, v6, v12
	v_subb_co_u32_e32 v9, vcc, v7, v13, vcc
	v_cmp_lt_u64_e32 vcc, 3, v[8:9]
	s_mov_b64 s[24:25], -1
	v_mov_b32_e32 v6, 0
	s_and_saveexec_b64 s[22:23], vcc
	s_cbranch_execz .LBB144_18
; %bb.15:                               ;   in Loop: Header=BB144_13 Depth=1
	v_lshrrev_b64 v[6:7], 2, v[8:9]
	v_add_co_u32_e32 v8, vcc, 1, v6
	v_addc_co_u32_e32 v9, vcc, 0, v7, vcc
	v_add_co_u32_e32 v6, vcc, v26, v12
	v_addc_co_u32_e32 v7, vcc, v27, v13, vcc
	v_lshlrev_b64 v[12:13], 2, v[4:5]
	v_and_b32_e32 v10, -2, v8
	v_mov_b32_e32 v11, v9
	v_mov_b32_e32 v15, s34
	v_add_co_u32_e32 v14, vcc, s33, v12
	v_addc_co_u32_e32 v15, vcc, v15, v13, vcc
	s_mov_b64 s[24:25], 0
	v_mov_b32_e32 v12, 0
	v_pk_mov_b32 v[18:19], v[10:11], v[10:11] op_sel:[0,1]
	v_mov_b32_e32 v16, 0
.LBB144_16:                             ;   Parent Loop BB144_13 Depth=1
                                        ; =>  This Inner Loop Header: Depth=2
	global_load_dword v13, v[14:15], off
	global_load_dword v17, v[14:15], off offset:-16
	global_load_sbyte v36, v[6:7], off
	global_load_sbyte v37, v[6:7], off offset:-4
	s_waitcnt vmcnt(3)
	v_ashrrev_i32_e32 v33, 31, v13
	v_add_co_u32_e32 v32, vcc, s29, v13
	s_waitcnt vmcnt(2)
	v_ashrrev_i32_e32 v35, 31, v17
	v_add_co_u32_e64 v34, s[2:3], s29, v17
	v_addc_co_u32_e32 v33, vcc, v31, v33, vcc
	v_addc_co_u32_e64 v35, s[2:3], v31, v35, s[2:3]
	global_load_sbyte v13, v[32:33], off
	global_load_sbyte v38, v[34:35], off
	v_add_co_u32_e32 v18, vcc, -2, v18
	v_addc_co_u32_e32 v19, vcc, -1, v19, vcc
	v_add_co_u32_e32 v6, vcc, 8, v6
	v_addc_co_u32_e32 v7, vcc, 0, v7, vcc
	v_add_co_u32_e32 v14, vcc, 32, v14
	v_addc_co_u32_e32 v15, vcc, 0, v15, vcc
	v_cmp_eq_u64_e32 vcc, 0, v[18:19]
	s_waitcnt vmcnt(2)
	v_mul_lo_u32 v32, s21, v37
	v_mul_lo_u32 v17, s31, v36
	s_or_b64 s[24:25], vcc, s[24:25]
	s_waitcnt vmcnt(1)
	v_mad_u64_u32 v[16:17], s[2:3], v17, v13, v[16:17]
	s_waitcnt vmcnt(0)
	v_mad_u64_u32 v[12:13], s[2:3], v32, v38, v[12:13]
	s_andn2_b64 exec, exec, s[24:25]
	s_cbranch_execnz .LBB144_16
; %bb.17:                               ;   in Loop: Header=BB144_13 Depth=1
	s_or_b64 exec, exec, s[24:25]
	v_lshlrev_b64 v[14:15], 2, v[10:11]
	v_add_co_u32_e32 v4, vcc, v4, v14
	v_addc_co_u32_e32 v5, vcc, v5, v15, vcc
	v_mov_b32_e32 v7, v16
	v_cmp_ne_u64_e32 vcc, v[8:9], v[10:11]
	v_add_u32_e32 v6, v12, v7
	s_orn2_b64 s[24:25], vcc, exec
.LBB144_18:                             ;   in Loop: Header=BB144_13 Depth=1
	s_or_b64 exec, exec, s[22:23]
	s_and_saveexec_b64 s[2:3], s[24:25]
	s_cbranch_execz .LBB144_22
; %bb.19:                               ;   in Loop: Header=BB144_13 Depth=1
	v_lshlrev_b64 v[8:9], 2, v[4:5]
	v_mov_b32_e32 v7, s11
	v_add_co_u32_e32 v8, vcc, s10, v8
	v_addc_co_u32_e32 v9, vcc, v7, v9, vcc
	s_mov_b64 s[22:23], 0
.LBB144_20:                             ;   Parent Loop BB144_13 Depth=1
                                        ; =>  This Inner Loop Header: Depth=2
	global_load_dword v7, v[8:9], off
	v_mov_b32_e32 v11, s13
	v_add_co_u32_e32 v10, vcc, s12, v4
	v_addc_co_u32_e32 v11, vcc, v11, v5, vcc
	v_mov_b32_e32 v12, s30
	global_load_sbyte v13, v[10:11], off
	s_waitcnt vmcnt(1)
	v_ashrrev_i32_e32 v11, 31, v7
	v_add_co_u32_e32 v10, vcc, s29, v7
	v_addc_co_u32_e32 v11, vcc, v12, v11, vcc
	global_load_sbyte v7, v[10:11], off
	v_add_co_u32_e32 v8, vcc, 16, v8
	v_addc_co_u32_e32 v9, vcc, 0, v9, vcc
	v_add_co_u32_e32 v4, vcc, 4, v4
	v_addc_co_u32_e32 v5, vcc, 0, v5, vcc
	v_cmp_ge_i64_e32 vcc, v[4:5], v[0:1]
	s_waitcnt vmcnt(1)
	v_mul_lo_u32 v10, s21, v13
	s_or_b64 s[22:23], vcc, s[22:23]
	s_waitcnt vmcnt(0)
	v_mad_u64_u32 v[6:7], s[24:25], v10, v7, v[6:7]
	s_andn2_b64 exec, exec, s[22:23]
	s_cbranch_execnz .LBB144_20
; %bb.21:                               ;   in Loop: Header=BB144_13 Depth=1
	s_or_b64 exec, exec, s[22:23]
.LBB144_22:                             ;   in Loop: Header=BB144_13 Depth=1
	s_or_b64 exec, exec, s[2:3]
.LBB144_23:                             ;   in Loop: Header=BB144_13 Depth=1
	s_or_b64 exec, exec, s[16:17]
	v_mov_b32_dpp v0, v6 row_shr:1 row_mask:0xf bank_mask:0xf
	v_add_u32_e32 v0, v0, v6
	s_nop 1
	v_mov_b32_dpp v1, v0 row_shr:2 row_mask:0xf bank_mask:0xf
	s_and_saveexec_b64 s[16:17], s[0:1]
	s_cbranch_execz .LBB144_12
; %bb.24:                               ;   in Loop: Header=BB144_13 Depth=1
	v_lshlrev_b64 v[4:5], 2, v[2:3]
	v_add_u32_e32 v0, v0, v1
	v_mov_b32_e32 v1, s7
	v_add_co_u32_e64 v4, s[2:3], s6, v4
	s_andn2_b64 vcc, exec, s[4:5]
	v_addc_co_u32_e64 v5, s[2:3], v1, v5, s[2:3]
	s_cbranch_vccnz .LBB144_11
; %bb.25:                               ;   in Loop: Header=BB144_13 Depth=1
	global_load_dword v1, v[4:5], off
	s_waitcnt vmcnt(0)
	v_mad_u64_u32 v[0:1], s[2:3], v1, s26, v[0:1]
	s_branch .LBB144_11
.LBB144_26:
	s_endpgm
	.section	.rodata,"a",@progbits
	.p2align	6, 0x0
	.amdhsa_kernel _ZN9rocsparseL21csrmvn_general_kernelILj256ELj4EliaaiiEEvbT2_NS_24const_host_device_scalarIT6_EEPKT1_S7_PKS1_PKT3_PKT4_S4_PT5_21rocsparse_index_base_b
		.amdhsa_group_segment_fixed_size 0
		.amdhsa_private_segment_fixed_size 0
		.amdhsa_kernarg_size 336
		.amdhsa_user_sgpr_count 6
		.amdhsa_user_sgpr_private_segment_buffer 1
		.amdhsa_user_sgpr_dispatch_ptr 0
		.amdhsa_user_sgpr_queue_ptr 0
		.amdhsa_user_sgpr_kernarg_segment_ptr 1
		.amdhsa_user_sgpr_dispatch_id 0
		.amdhsa_user_sgpr_flat_scratch_init 0
		.amdhsa_user_sgpr_kernarg_preload_length 0
		.amdhsa_user_sgpr_kernarg_preload_offset 0
		.amdhsa_user_sgpr_private_segment_size 0
		.amdhsa_uses_dynamic_stack 0
		.amdhsa_system_sgpr_private_segment_wavefront_offset 0
		.amdhsa_system_sgpr_workgroup_id_x 1
		.amdhsa_system_sgpr_workgroup_id_y 0
		.amdhsa_system_sgpr_workgroup_id_z 0
		.amdhsa_system_sgpr_workgroup_info 0
		.amdhsa_system_vgpr_workitem_id 0
		.amdhsa_next_free_vgpr 39
		.amdhsa_next_free_sgpr 35
		.amdhsa_accum_offset 40
		.amdhsa_reserve_vcc 1
		.amdhsa_reserve_flat_scratch 0
		.amdhsa_float_round_mode_32 0
		.amdhsa_float_round_mode_16_64 0
		.amdhsa_float_denorm_mode_32 3
		.amdhsa_float_denorm_mode_16_64 3
		.amdhsa_dx10_clamp 1
		.amdhsa_ieee_mode 1
		.amdhsa_fp16_overflow 0
		.amdhsa_tg_split 0
		.amdhsa_exception_fp_ieee_invalid_op 0
		.amdhsa_exception_fp_denorm_src 0
		.amdhsa_exception_fp_ieee_div_zero 0
		.amdhsa_exception_fp_ieee_overflow 0
		.amdhsa_exception_fp_ieee_underflow 0
		.amdhsa_exception_fp_ieee_inexact 0
		.amdhsa_exception_int_div_zero 0
	.end_amdhsa_kernel
	.section	.text._ZN9rocsparseL21csrmvn_general_kernelILj256ELj4EliaaiiEEvbT2_NS_24const_host_device_scalarIT6_EEPKT1_S7_PKS1_PKT3_PKT4_S4_PT5_21rocsparse_index_base_b,"axG",@progbits,_ZN9rocsparseL21csrmvn_general_kernelILj256ELj4EliaaiiEEvbT2_NS_24const_host_device_scalarIT6_EEPKT1_S7_PKS1_PKT3_PKT4_S4_PT5_21rocsparse_index_base_b,comdat
.Lfunc_end144:
	.size	_ZN9rocsparseL21csrmvn_general_kernelILj256ELj4EliaaiiEEvbT2_NS_24const_host_device_scalarIT6_EEPKT1_S7_PKS1_PKT3_PKT4_S4_PT5_21rocsparse_index_base_b, .Lfunc_end144-_ZN9rocsparseL21csrmvn_general_kernelILj256ELj4EliaaiiEEvbT2_NS_24const_host_device_scalarIT6_EEPKT1_S7_PKS1_PKT3_PKT4_S4_PT5_21rocsparse_index_base_b
                                        ; -- End function
	.section	.AMDGPU.csdata,"",@progbits
; Kernel info:
; codeLenInByte = 1080
; NumSgprs: 39
; NumVgprs: 39
; NumAgprs: 0
; TotalNumVgprs: 39
; ScratchSize: 0
; MemoryBound: 0
; FloatMode: 240
; IeeeMode: 1
; LDSByteSize: 0 bytes/workgroup (compile time only)
; SGPRBlocks: 4
; VGPRBlocks: 4
; NumSGPRsForWavesPerEU: 39
; NumVGPRsForWavesPerEU: 39
; AccumOffset: 40
; Occupancy: 8
; WaveLimiterHint : 1
; COMPUTE_PGM_RSRC2:SCRATCH_EN: 0
; COMPUTE_PGM_RSRC2:USER_SGPR: 6
; COMPUTE_PGM_RSRC2:TRAP_HANDLER: 0
; COMPUTE_PGM_RSRC2:TGID_X_EN: 1
; COMPUTE_PGM_RSRC2:TGID_Y_EN: 0
; COMPUTE_PGM_RSRC2:TGID_Z_EN: 0
; COMPUTE_PGM_RSRC2:TIDIG_COMP_CNT: 0
; COMPUTE_PGM_RSRC3_GFX90A:ACCUM_OFFSET: 9
; COMPUTE_PGM_RSRC3_GFX90A:TG_SPLIT: 0
	.section	.text._ZN9rocsparseL21csrmvn_general_kernelILj256ELj8EliaaiiEEvbT2_NS_24const_host_device_scalarIT6_EEPKT1_S7_PKS1_PKT3_PKT4_S4_PT5_21rocsparse_index_base_b,"axG",@progbits,_ZN9rocsparseL21csrmvn_general_kernelILj256ELj8EliaaiiEEvbT2_NS_24const_host_device_scalarIT6_EEPKT1_S7_PKS1_PKT3_PKT4_S4_PT5_21rocsparse_index_base_b,comdat
	.globl	_ZN9rocsparseL21csrmvn_general_kernelILj256ELj8EliaaiiEEvbT2_NS_24const_host_device_scalarIT6_EEPKT1_S7_PKS1_PKT3_PKT4_S4_PT5_21rocsparse_index_base_b ; -- Begin function _ZN9rocsparseL21csrmvn_general_kernelILj256ELj8EliaaiiEEvbT2_NS_24const_host_device_scalarIT6_EEPKT1_S7_PKS1_PKT3_PKT4_S4_PT5_21rocsparse_index_base_b
	.p2align	8
	.type	_ZN9rocsparseL21csrmvn_general_kernelILj256ELj8EliaaiiEEvbT2_NS_24const_host_device_scalarIT6_EEPKT1_S7_PKS1_PKT3_PKT4_S4_PT5_21rocsparse_index_base_b,@function
_ZN9rocsparseL21csrmvn_general_kernelILj256ELj8EliaaiiEEvbT2_NS_24const_host_device_scalarIT6_EEPKT1_S7_PKS1_PKT3_PKT4_S4_PT5_21rocsparse_index_base_b: ; @_ZN9rocsparseL21csrmvn_general_kernelILj256ELj8EliaaiiEEvbT2_NS_24const_host_device_scalarIT6_EEPKT1_S7_PKS1_PKT3_PKT4_S4_PT5_21rocsparse_index_base_b
; %bb.0:
	s_load_dwordx2 s[20:21], s[4:5], 0x48
	s_load_dwordx4 s[16:19], s[4:5], 0x8
	s_mov_b64 s[8:9], -1
	s_waitcnt lgkmcnt(0)
	s_bitcmp1_b32 s21, 0
	s_cselect_b64 s[0:1], -1, 0
	s_xor_b64 s[2:3], s[0:1], -1
	s_and_b64 vcc, exec, s[2:3]
                                        ; implicit-def: $sgpr21
	s_cbranch_vccnz .LBB145_4
; %bb.1:
	s_load_dwordx2 s[0:1], s[4:5], 0x38
	s_andn2_b64 vcc, exec, s[8:9]
	s_cbranch_vccz .LBB145_5
.LBB145_2:
	s_and_b64 vcc, exec, s[2:3]
	s_cbranch_vccz .LBB145_6
.LBB145_3:
	s_waitcnt lgkmcnt(0)
	s_load_dword s26, s[0:1], 0x0
	s_cbranch_execz .LBB145_7
	s_branch .LBB145_8
.LBB145_4:
	s_load_dword s21, s[16:17], 0x0
	s_load_dwordx2 s[0:1], s[4:5], 0x38
	s_cbranch_execnz .LBB145_2
.LBB145_5:
	s_waitcnt lgkmcnt(0)
	s_mov_b32 s21, s16
	s_and_b64 vcc, exec, s[2:3]
	s_cbranch_vccnz .LBB145_3
.LBB145_6:
                                        ; implicit-def: $sgpr26
.LBB145_7:
	s_waitcnt lgkmcnt(0)
	s_mov_b32 s26, s0
.LBB145_8:
	s_waitcnt lgkmcnt(0)
	s_cmp_lg_u32 s21, 0
	s_cselect_b64 s[0:1], -1, 0
	s_cmp_lg_u32 s26, 1
	s_cselect_b64 s[2:3], -1, 0
	s_or_b64 s[0:1], s[0:1], s[2:3]
	s_andn2_b64 vcc, exec, s[0:1]
	s_cbranch_vccnz .LBB145_26
; %bb.9:
	s_load_dword s27, s[4:5], 0x4
	v_lshl_or_b32 v1, s6, 8, v0
	v_lshrrev_b32_e32 v2, 3, v1
	s_waitcnt lgkmcnt(0)
	v_cmp_gt_i32_e32 vcc, s27, v2
	s_and_saveexec_b64 s[0:1], vcc
	s_cbranch_execz .LBB145_26
; %bb.10:
	s_load_dword s0, s[4:5], 0x50
	s_load_dwordx2 s[6:7], s[4:5], 0x40
	s_load_dwordx8 s[8:15], s[4:5], 0x18
	v_and_b32_e32 v0, 7, v0
	v_subrev_co_u32_e32 v20, vcc, s20, v0
	s_waitcnt lgkmcnt(0)
	s_lshl_b32 s28, s0, 5
	v_subb_co_u32_e64 v21, s[0:1], 0, 0, vcc
	s_ashr_i32 s0, s20, 31
	s_sub_u32 s29, s14, s20
	v_not_b32_e32 v1, v0
	s_subb_u32 s30, s15, s0
	v_cmp_eq_u32_e64 s[0:1], 7, v0
	v_add_co_u32_e32 v22, vcc, s20, v1
	v_or_b32_e32 v0, 8, v0
	v_addc_co_u32_e64 v23, s[2:3], -1, 0, vcc
	v_subrev_co_u32_e32 v24, vcc, s20, v0
	v_subb_co_u32_e64 v25, s[2:3], 0, 0, vcc
	v_mov_b32_e32 v0, s13
	v_add_co_u32_e32 v1, vcc, s12, v20
	s_cmp_lg_u32 s26, 0
	v_addc_co_u32_e32 v0, vcc, v21, v0, vcc
	s_mov_b32 s16, 0
	s_cselect_b64 s[4:5], -1, 0
	v_add_co_u32_e32 v26, vcc, 8, v1
	s_add_u32 s33, s10, 32
	s_mov_b32 s31, s21
	v_addc_co_u32_e32 v27, vcc, 0, v0, vcc
	s_addc_u32 s34, s11, 0
	s_mov_b64 s[14:15], 0
	v_mov_b32_e32 v28, s19
	v_mov_b32_e32 v29, s9
	;; [unrolled: 1-line block ×4, first 2 shown]
	s_branch .LBB145_13
.LBB145_11:                             ;   in Loop: Header=BB145_13 Depth=1
	global_store_dword v[4:5], v0, off
.LBB145_12:                             ;   in Loop: Header=BB145_13 Depth=1
	s_or_b64 exec, exec, s[16:17]
	v_add_u32_e32 v2, s28, v2
	v_cmp_le_i32_e32 vcc, s27, v2
	s_or_b64 s[14:15], vcc, s[14:15]
	s_andn2_b64 exec, exec, s[14:15]
	s_cbranch_execz .LBB145_26
.LBB145_13:                             ; =>This Loop Header: Depth=1
                                        ;     Child Loop BB145_16 Depth 2
                                        ;     Child Loop BB145_20 Depth 2
	v_ashrrev_i32_e32 v3, 31, v2
	v_lshlrev_b64 v[0:1], 3, v[2:3]
	v_add_co_u32_e32 v4, vcc, s8, v0
	v_addc_co_u32_e32 v5, vcc, v29, v1, vcc
	global_load_dwordx2 v[4:5], v[4:5], off
	v_add_co_u32_e32 v0, vcc, s18, v0
	v_addc_co_u32_e32 v1, vcc, v28, v1, vcc
	global_load_dwordx2 v[12:13], v[0:1], off
	v_mov_b32_e32 v6, 0
	s_waitcnt vmcnt(1)
	v_subrev_co_u32_e32 v0, vcc, s20, v4
	v_subb_co_u32_e32 v1, vcc, v5, v30, vcc
	s_waitcnt vmcnt(0)
	v_add_co_u32_e32 v4, vcc, v12, v20
	v_addc_co_u32_e32 v5, vcc, v13, v21, vcc
	v_cmp_lt_i64_e32 vcc, v[4:5], v[0:1]
	s_and_saveexec_b64 s[16:17], vcc
	s_cbranch_execz .LBB145_23
; %bb.14:                               ;   in Loop: Header=BB145_13 Depth=1
	v_add_co_u32_e32 v6, vcc, v24, v12
	v_addc_co_u32_e32 v7, vcc, v25, v13, vcc
	v_cmp_gt_i64_e32 vcc, v[6:7], v[0:1]
	v_cndmask_b32_e32 v6, v0, v6, vcc
	v_cndmask_b32_e32 v7, v1, v7, vcc
	v_add_co_u32_e32 v6, vcc, v22, v6
	v_addc_co_u32_e32 v7, vcc, v23, v7, vcc
	v_sub_co_u32_e32 v8, vcc, v6, v12
	v_subb_co_u32_e32 v9, vcc, v7, v13, vcc
	v_cmp_lt_u64_e32 vcc, 7, v[8:9]
	s_mov_b64 s[24:25], -1
	v_mov_b32_e32 v6, 0
	s_and_saveexec_b64 s[22:23], vcc
	s_cbranch_execz .LBB145_18
; %bb.15:                               ;   in Loop: Header=BB145_13 Depth=1
	v_lshrrev_b64 v[6:7], 3, v[8:9]
	v_add_co_u32_e32 v8, vcc, 1, v6
	v_addc_co_u32_e32 v9, vcc, 0, v7, vcc
	v_add_co_u32_e32 v6, vcc, v26, v12
	v_addc_co_u32_e32 v7, vcc, v27, v13, vcc
	v_lshlrev_b64 v[12:13], 2, v[4:5]
	v_and_b32_e32 v10, -2, v8
	v_mov_b32_e32 v11, v9
	v_mov_b32_e32 v15, s34
	v_add_co_u32_e32 v14, vcc, s33, v12
	v_addc_co_u32_e32 v15, vcc, v15, v13, vcc
	s_mov_b64 s[24:25], 0
	v_mov_b32_e32 v12, 0
	v_pk_mov_b32 v[18:19], v[10:11], v[10:11] op_sel:[0,1]
	v_mov_b32_e32 v16, 0
.LBB145_16:                             ;   Parent Loop BB145_13 Depth=1
                                        ; =>  This Inner Loop Header: Depth=2
	global_load_dword v13, v[14:15], off
	global_load_dword v17, v[14:15], off offset:-32
	global_load_sbyte v36, v[6:7], off
	global_load_sbyte v37, v[6:7], off offset:-8
	s_waitcnt vmcnt(3)
	v_ashrrev_i32_e32 v33, 31, v13
	v_add_co_u32_e32 v32, vcc, s29, v13
	s_waitcnt vmcnt(2)
	v_ashrrev_i32_e32 v35, 31, v17
	v_add_co_u32_e64 v34, s[2:3], s29, v17
	v_addc_co_u32_e32 v33, vcc, v31, v33, vcc
	v_addc_co_u32_e64 v35, s[2:3], v31, v35, s[2:3]
	global_load_sbyte v13, v[32:33], off
	global_load_sbyte v38, v[34:35], off
	v_add_co_u32_e32 v18, vcc, -2, v18
	v_addc_co_u32_e32 v19, vcc, -1, v19, vcc
	v_add_co_u32_e32 v6, vcc, 16, v6
	v_addc_co_u32_e32 v7, vcc, 0, v7, vcc
	v_add_co_u32_e32 v14, vcc, 64, v14
	v_addc_co_u32_e32 v15, vcc, 0, v15, vcc
	v_cmp_eq_u64_e32 vcc, 0, v[18:19]
	s_waitcnt vmcnt(2)
	v_mul_lo_u32 v32, s21, v37
	v_mul_lo_u32 v17, s31, v36
	s_or_b64 s[24:25], vcc, s[24:25]
	s_waitcnt vmcnt(1)
	v_mad_u64_u32 v[16:17], s[2:3], v17, v13, v[16:17]
	s_waitcnt vmcnt(0)
	v_mad_u64_u32 v[12:13], s[2:3], v32, v38, v[12:13]
	s_andn2_b64 exec, exec, s[24:25]
	s_cbranch_execnz .LBB145_16
; %bb.17:                               ;   in Loop: Header=BB145_13 Depth=1
	s_or_b64 exec, exec, s[24:25]
	v_lshlrev_b64 v[14:15], 3, v[10:11]
	v_add_co_u32_e32 v4, vcc, v4, v14
	v_addc_co_u32_e32 v5, vcc, v5, v15, vcc
	v_mov_b32_e32 v7, v16
	v_cmp_ne_u64_e32 vcc, v[8:9], v[10:11]
	v_add_u32_e32 v6, v12, v7
	s_orn2_b64 s[24:25], vcc, exec
.LBB145_18:                             ;   in Loop: Header=BB145_13 Depth=1
	s_or_b64 exec, exec, s[22:23]
	s_and_saveexec_b64 s[2:3], s[24:25]
	s_cbranch_execz .LBB145_22
; %bb.19:                               ;   in Loop: Header=BB145_13 Depth=1
	v_lshlrev_b64 v[8:9], 2, v[4:5]
	v_mov_b32_e32 v7, s11
	v_add_co_u32_e32 v8, vcc, s10, v8
	v_addc_co_u32_e32 v9, vcc, v7, v9, vcc
	s_mov_b64 s[22:23], 0
.LBB145_20:                             ;   Parent Loop BB145_13 Depth=1
                                        ; =>  This Inner Loop Header: Depth=2
	global_load_dword v7, v[8:9], off
	v_mov_b32_e32 v11, s13
	v_add_co_u32_e32 v10, vcc, s12, v4
	v_addc_co_u32_e32 v11, vcc, v11, v5, vcc
	v_mov_b32_e32 v12, s30
	global_load_sbyte v13, v[10:11], off
	s_waitcnt vmcnt(1)
	v_ashrrev_i32_e32 v11, 31, v7
	v_add_co_u32_e32 v10, vcc, s29, v7
	v_addc_co_u32_e32 v11, vcc, v12, v11, vcc
	global_load_sbyte v7, v[10:11], off
	v_add_co_u32_e32 v8, vcc, 32, v8
	v_addc_co_u32_e32 v9, vcc, 0, v9, vcc
	v_add_co_u32_e32 v4, vcc, 8, v4
	v_addc_co_u32_e32 v5, vcc, 0, v5, vcc
	v_cmp_ge_i64_e32 vcc, v[4:5], v[0:1]
	s_waitcnt vmcnt(1)
	v_mul_lo_u32 v10, s21, v13
	s_or_b64 s[22:23], vcc, s[22:23]
	s_waitcnt vmcnt(0)
	v_mad_u64_u32 v[6:7], s[24:25], v10, v7, v[6:7]
	s_andn2_b64 exec, exec, s[22:23]
	s_cbranch_execnz .LBB145_20
; %bb.21:                               ;   in Loop: Header=BB145_13 Depth=1
	s_or_b64 exec, exec, s[22:23]
.LBB145_22:                             ;   in Loop: Header=BB145_13 Depth=1
	s_or_b64 exec, exec, s[2:3]
.LBB145_23:                             ;   in Loop: Header=BB145_13 Depth=1
	s_or_b64 exec, exec, s[16:17]
	v_mov_b32_dpp v0, v6 row_shr:1 row_mask:0xf bank_mask:0xf
	v_add_u32_e32 v0, v0, v6
	s_nop 1
	v_mov_b32_dpp v1, v0 row_shr:2 row_mask:0xf bank_mask:0xf
	v_add_u32_e32 v0, v0, v1
	s_nop 1
	v_mov_b32_dpp v1, v0 row_shr:4 row_mask:0xf bank_mask:0xe
	s_and_saveexec_b64 s[16:17], s[0:1]
	s_cbranch_execz .LBB145_12
; %bb.24:                               ;   in Loop: Header=BB145_13 Depth=1
	v_lshlrev_b64 v[4:5], 2, v[2:3]
	v_add_u32_e32 v0, v0, v1
	v_mov_b32_e32 v1, s7
	v_add_co_u32_e64 v4, s[2:3], s6, v4
	s_andn2_b64 vcc, exec, s[4:5]
	v_addc_co_u32_e64 v5, s[2:3], v1, v5, s[2:3]
	s_cbranch_vccnz .LBB145_11
; %bb.25:                               ;   in Loop: Header=BB145_13 Depth=1
	global_load_dword v1, v[4:5], off
	s_waitcnt vmcnt(0)
	v_mad_u64_u32 v[0:1], s[2:3], v1, s26, v[0:1]
	s_branch .LBB145_11
.LBB145_26:
	s_endpgm
	.section	.rodata,"a",@progbits
	.p2align	6, 0x0
	.amdhsa_kernel _ZN9rocsparseL21csrmvn_general_kernelILj256ELj8EliaaiiEEvbT2_NS_24const_host_device_scalarIT6_EEPKT1_S7_PKS1_PKT3_PKT4_S4_PT5_21rocsparse_index_base_b
		.amdhsa_group_segment_fixed_size 0
		.amdhsa_private_segment_fixed_size 0
		.amdhsa_kernarg_size 336
		.amdhsa_user_sgpr_count 6
		.amdhsa_user_sgpr_private_segment_buffer 1
		.amdhsa_user_sgpr_dispatch_ptr 0
		.amdhsa_user_sgpr_queue_ptr 0
		.amdhsa_user_sgpr_kernarg_segment_ptr 1
		.amdhsa_user_sgpr_dispatch_id 0
		.amdhsa_user_sgpr_flat_scratch_init 0
		.amdhsa_user_sgpr_kernarg_preload_length 0
		.amdhsa_user_sgpr_kernarg_preload_offset 0
		.amdhsa_user_sgpr_private_segment_size 0
		.amdhsa_uses_dynamic_stack 0
		.amdhsa_system_sgpr_private_segment_wavefront_offset 0
		.amdhsa_system_sgpr_workgroup_id_x 1
		.amdhsa_system_sgpr_workgroup_id_y 0
		.amdhsa_system_sgpr_workgroup_id_z 0
		.amdhsa_system_sgpr_workgroup_info 0
		.amdhsa_system_vgpr_workitem_id 0
		.amdhsa_next_free_vgpr 39
		.amdhsa_next_free_sgpr 35
		.amdhsa_accum_offset 40
		.amdhsa_reserve_vcc 1
		.amdhsa_reserve_flat_scratch 0
		.amdhsa_float_round_mode_32 0
		.amdhsa_float_round_mode_16_64 0
		.amdhsa_float_denorm_mode_32 3
		.amdhsa_float_denorm_mode_16_64 3
		.amdhsa_dx10_clamp 1
		.amdhsa_ieee_mode 1
		.amdhsa_fp16_overflow 0
		.amdhsa_tg_split 0
		.amdhsa_exception_fp_ieee_invalid_op 0
		.amdhsa_exception_fp_denorm_src 0
		.amdhsa_exception_fp_ieee_div_zero 0
		.amdhsa_exception_fp_ieee_overflow 0
		.amdhsa_exception_fp_ieee_underflow 0
		.amdhsa_exception_fp_ieee_inexact 0
		.amdhsa_exception_int_div_zero 0
	.end_amdhsa_kernel
	.section	.text._ZN9rocsparseL21csrmvn_general_kernelILj256ELj8EliaaiiEEvbT2_NS_24const_host_device_scalarIT6_EEPKT1_S7_PKS1_PKT3_PKT4_S4_PT5_21rocsparse_index_base_b,"axG",@progbits,_ZN9rocsparseL21csrmvn_general_kernelILj256ELj8EliaaiiEEvbT2_NS_24const_host_device_scalarIT6_EEPKT1_S7_PKS1_PKT3_PKT4_S4_PT5_21rocsparse_index_base_b,comdat
.Lfunc_end145:
	.size	_ZN9rocsparseL21csrmvn_general_kernelILj256ELj8EliaaiiEEvbT2_NS_24const_host_device_scalarIT6_EEPKT1_S7_PKS1_PKT3_PKT4_S4_PT5_21rocsparse_index_base_b, .Lfunc_end145-_ZN9rocsparseL21csrmvn_general_kernelILj256ELj8EliaaiiEEvbT2_NS_24const_host_device_scalarIT6_EEPKT1_S7_PKS1_PKT3_PKT4_S4_PT5_21rocsparse_index_base_b
                                        ; -- End function
	.section	.AMDGPU.csdata,"",@progbits
; Kernel info:
; codeLenInByte = 1096
; NumSgprs: 39
; NumVgprs: 39
; NumAgprs: 0
; TotalNumVgprs: 39
; ScratchSize: 0
; MemoryBound: 0
; FloatMode: 240
; IeeeMode: 1
; LDSByteSize: 0 bytes/workgroup (compile time only)
; SGPRBlocks: 4
; VGPRBlocks: 4
; NumSGPRsForWavesPerEU: 39
; NumVGPRsForWavesPerEU: 39
; AccumOffset: 40
; Occupancy: 8
; WaveLimiterHint : 1
; COMPUTE_PGM_RSRC2:SCRATCH_EN: 0
; COMPUTE_PGM_RSRC2:USER_SGPR: 6
; COMPUTE_PGM_RSRC2:TRAP_HANDLER: 0
; COMPUTE_PGM_RSRC2:TGID_X_EN: 1
; COMPUTE_PGM_RSRC2:TGID_Y_EN: 0
; COMPUTE_PGM_RSRC2:TGID_Z_EN: 0
; COMPUTE_PGM_RSRC2:TIDIG_COMP_CNT: 0
; COMPUTE_PGM_RSRC3_GFX90A:ACCUM_OFFSET: 9
; COMPUTE_PGM_RSRC3_GFX90A:TG_SPLIT: 0
	.section	.text._ZN9rocsparseL21csrmvn_general_kernelILj256ELj16EliaaiiEEvbT2_NS_24const_host_device_scalarIT6_EEPKT1_S7_PKS1_PKT3_PKT4_S4_PT5_21rocsparse_index_base_b,"axG",@progbits,_ZN9rocsparseL21csrmvn_general_kernelILj256ELj16EliaaiiEEvbT2_NS_24const_host_device_scalarIT6_EEPKT1_S7_PKS1_PKT3_PKT4_S4_PT5_21rocsparse_index_base_b,comdat
	.globl	_ZN9rocsparseL21csrmvn_general_kernelILj256ELj16EliaaiiEEvbT2_NS_24const_host_device_scalarIT6_EEPKT1_S7_PKS1_PKT3_PKT4_S4_PT5_21rocsparse_index_base_b ; -- Begin function _ZN9rocsparseL21csrmvn_general_kernelILj256ELj16EliaaiiEEvbT2_NS_24const_host_device_scalarIT6_EEPKT1_S7_PKS1_PKT3_PKT4_S4_PT5_21rocsparse_index_base_b
	.p2align	8
	.type	_ZN9rocsparseL21csrmvn_general_kernelILj256ELj16EliaaiiEEvbT2_NS_24const_host_device_scalarIT6_EEPKT1_S7_PKS1_PKT3_PKT4_S4_PT5_21rocsparse_index_base_b,@function
_ZN9rocsparseL21csrmvn_general_kernelILj256ELj16EliaaiiEEvbT2_NS_24const_host_device_scalarIT6_EEPKT1_S7_PKS1_PKT3_PKT4_S4_PT5_21rocsparse_index_base_b: ; @_ZN9rocsparseL21csrmvn_general_kernelILj256ELj16EliaaiiEEvbT2_NS_24const_host_device_scalarIT6_EEPKT1_S7_PKS1_PKT3_PKT4_S4_PT5_21rocsparse_index_base_b
; %bb.0:
	s_load_dwordx2 s[20:21], s[4:5], 0x48
	s_load_dwordx4 s[16:19], s[4:5], 0x8
	s_mov_b64 s[8:9], -1
	s_waitcnt lgkmcnt(0)
	s_bitcmp1_b32 s21, 0
	s_cselect_b64 s[0:1], -1, 0
	s_xor_b64 s[2:3], s[0:1], -1
	s_and_b64 vcc, exec, s[2:3]
                                        ; implicit-def: $sgpr21
	s_cbranch_vccnz .LBB146_4
; %bb.1:
	s_load_dwordx2 s[0:1], s[4:5], 0x38
	s_andn2_b64 vcc, exec, s[8:9]
	s_cbranch_vccz .LBB146_5
.LBB146_2:
	s_and_b64 vcc, exec, s[2:3]
	s_cbranch_vccz .LBB146_6
.LBB146_3:
	s_waitcnt lgkmcnt(0)
	s_load_dword s26, s[0:1], 0x0
	s_cbranch_execz .LBB146_7
	s_branch .LBB146_8
.LBB146_4:
	s_load_dword s21, s[16:17], 0x0
	s_load_dwordx2 s[0:1], s[4:5], 0x38
	s_cbranch_execnz .LBB146_2
.LBB146_5:
	s_waitcnt lgkmcnt(0)
	s_mov_b32 s21, s16
	s_and_b64 vcc, exec, s[2:3]
	s_cbranch_vccnz .LBB146_3
.LBB146_6:
                                        ; implicit-def: $sgpr26
.LBB146_7:
	s_waitcnt lgkmcnt(0)
	s_mov_b32 s26, s0
.LBB146_8:
	s_waitcnt lgkmcnt(0)
	s_cmp_lg_u32 s21, 0
	s_cselect_b64 s[0:1], -1, 0
	s_cmp_lg_u32 s26, 1
	s_cselect_b64 s[2:3], -1, 0
	s_or_b64 s[0:1], s[0:1], s[2:3]
	s_andn2_b64 vcc, exec, s[0:1]
	s_cbranch_vccnz .LBB146_26
; %bb.9:
	s_load_dword s27, s[4:5], 0x4
	v_lshl_or_b32 v1, s6, 8, v0
	v_lshrrev_b32_e32 v2, 4, v1
	s_waitcnt lgkmcnt(0)
	v_cmp_gt_i32_e32 vcc, s27, v2
	s_and_saveexec_b64 s[0:1], vcc
	s_cbranch_execz .LBB146_26
; %bb.10:
	s_load_dword s0, s[4:5], 0x50
	s_load_dwordx2 s[6:7], s[4:5], 0x40
	s_load_dwordx8 s[8:15], s[4:5], 0x18
	v_and_b32_e32 v0, 15, v0
	v_subrev_co_u32_e32 v20, vcc, s20, v0
	s_waitcnt lgkmcnt(0)
	s_lshl_b32 s28, s0, 4
	v_subb_co_u32_e64 v21, s[0:1], 0, 0, vcc
	s_ashr_i32 s0, s20, 31
	s_sub_u32 s29, s14, s20
	v_not_b32_e32 v1, v0
	s_subb_u32 s30, s15, s0
	v_cmp_eq_u32_e64 s[0:1], 15, v0
	v_add_co_u32_e32 v22, vcc, s20, v1
	v_or_b32_e32 v0, 16, v0
	v_addc_co_u32_e64 v23, s[2:3], -1, 0, vcc
	v_subrev_co_u32_e32 v24, vcc, s20, v0
	v_subb_co_u32_e64 v25, s[2:3], 0, 0, vcc
	v_mov_b32_e32 v0, s13
	v_add_co_u32_e32 v1, vcc, s12, v20
	s_cmp_lg_u32 s26, 0
	v_addc_co_u32_e32 v0, vcc, v21, v0, vcc
	s_mov_b32 s16, 0
	s_cselect_b64 s[4:5], -1, 0
	v_add_co_u32_e32 v26, vcc, 16, v1
	s_add_u32 s33, s10, 64
	s_mov_b32 s31, s21
	v_addc_co_u32_e32 v27, vcc, 0, v0, vcc
	s_addc_u32 s34, s11, 0
	s_mov_b64 s[14:15], 0
	v_mov_b32_e32 v28, s19
	v_mov_b32_e32 v29, s9
	;; [unrolled: 1-line block ×4, first 2 shown]
	s_branch .LBB146_13
.LBB146_11:                             ;   in Loop: Header=BB146_13 Depth=1
	global_store_dword v[4:5], v0, off
.LBB146_12:                             ;   in Loop: Header=BB146_13 Depth=1
	s_or_b64 exec, exec, s[16:17]
	v_add_u32_e32 v2, s28, v2
	v_cmp_le_i32_e32 vcc, s27, v2
	s_or_b64 s[14:15], vcc, s[14:15]
	s_andn2_b64 exec, exec, s[14:15]
	s_cbranch_execz .LBB146_26
.LBB146_13:                             ; =>This Loop Header: Depth=1
                                        ;     Child Loop BB146_16 Depth 2
                                        ;     Child Loop BB146_20 Depth 2
	v_ashrrev_i32_e32 v3, 31, v2
	v_lshlrev_b64 v[0:1], 3, v[2:3]
	v_add_co_u32_e32 v4, vcc, s8, v0
	v_addc_co_u32_e32 v5, vcc, v29, v1, vcc
	global_load_dwordx2 v[4:5], v[4:5], off
	v_add_co_u32_e32 v0, vcc, s18, v0
	v_addc_co_u32_e32 v1, vcc, v28, v1, vcc
	global_load_dwordx2 v[12:13], v[0:1], off
	v_mov_b32_e32 v6, 0
	s_waitcnt vmcnt(1)
	v_subrev_co_u32_e32 v0, vcc, s20, v4
	v_subb_co_u32_e32 v1, vcc, v5, v30, vcc
	s_waitcnt vmcnt(0)
	v_add_co_u32_e32 v4, vcc, v12, v20
	v_addc_co_u32_e32 v5, vcc, v13, v21, vcc
	v_cmp_lt_i64_e32 vcc, v[4:5], v[0:1]
	s_and_saveexec_b64 s[16:17], vcc
	s_cbranch_execz .LBB146_23
; %bb.14:                               ;   in Loop: Header=BB146_13 Depth=1
	v_add_co_u32_e32 v6, vcc, v24, v12
	v_addc_co_u32_e32 v7, vcc, v25, v13, vcc
	v_cmp_gt_i64_e32 vcc, v[6:7], v[0:1]
	v_cndmask_b32_e32 v6, v0, v6, vcc
	v_cndmask_b32_e32 v7, v1, v7, vcc
	v_add_co_u32_e32 v6, vcc, v22, v6
	v_addc_co_u32_e32 v7, vcc, v23, v7, vcc
	v_sub_co_u32_e32 v8, vcc, v6, v12
	v_subb_co_u32_e32 v9, vcc, v7, v13, vcc
	v_cmp_lt_u64_e32 vcc, 15, v[8:9]
	s_mov_b64 s[24:25], -1
	v_mov_b32_e32 v6, 0
	s_and_saveexec_b64 s[22:23], vcc
	s_cbranch_execz .LBB146_18
; %bb.15:                               ;   in Loop: Header=BB146_13 Depth=1
	v_lshrrev_b64 v[6:7], 4, v[8:9]
	v_add_co_u32_e32 v8, vcc, 1, v6
	v_addc_co_u32_e32 v9, vcc, 0, v7, vcc
	v_add_co_u32_e32 v6, vcc, v26, v12
	v_addc_co_u32_e32 v7, vcc, v27, v13, vcc
	v_lshlrev_b64 v[12:13], 2, v[4:5]
	v_and_b32_e32 v10, -2, v8
	v_mov_b32_e32 v11, v9
	v_mov_b32_e32 v15, s34
	v_add_co_u32_e32 v14, vcc, s33, v12
	v_addc_co_u32_e32 v15, vcc, v15, v13, vcc
	s_mov_b64 s[24:25], 0
	v_mov_b32_e32 v12, 0
	v_pk_mov_b32 v[18:19], v[10:11], v[10:11] op_sel:[0,1]
	v_mov_b32_e32 v16, 0
.LBB146_16:                             ;   Parent Loop BB146_13 Depth=1
                                        ; =>  This Inner Loop Header: Depth=2
	global_load_dword v13, v[14:15], off
	global_load_dword v17, v[14:15], off offset:-64
	global_load_sbyte v36, v[6:7], off
	global_load_sbyte v37, v[6:7], off offset:-16
	s_waitcnt vmcnt(3)
	v_ashrrev_i32_e32 v33, 31, v13
	v_add_co_u32_e32 v32, vcc, s29, v13
	s_waitcnt vmcnt(2)
	v_ashrrev_i32_e32 v35, 31, v17
	v_add_co_u32_e64 v34, s[2:3], s29, v17
	v_addc_co_u32_e32 v33, vcc, v31, v33, vcc
	v_addc_co_u32_e64 v35, s[2:3], v31, v35, s[2:3]
	global_load_sbyte v13, v[32:33], off
	global_load_sbyte v38, v[34:35], off
	v_add_co_u32_e32 v18, vcc, -2, v18
	v_addc_co_u32_e32 v19, vcc, -1, v19, vcc
	v_add_co_u32_e32 v6, vcc, 32, v6
	v_addc_co_u32_e32 v7, vcc, 0, v7, vcc
	v_add_co_u32_e32 v14, vcc, 0x80, v14
	v_addc_co_u32_e32 v15, vcc, 0, v15, vcc
	v_cmp_eq_u64_e32 vcc, 0, v[18:19]
	s_waitcnt vmcnt(2)
	v_mul_lo_u32 v32, s21, v37
	v_mul_lo_u32 v17, s31, v36
	s_or_b64 s[24:25], vcc, s[24:25]
	s_waitcnt vmcnt(1)
	v_mad_u64_u32 v[16:17], s[2:3], v17, v13, v[16:17]
	s_waitcnt vmcnt(0)
	v_mad_u64_u32 v[12:13], s[2:3], v32, v38, v[12:13]
	s_andn2_b64 exec, exec, s[24:25]
	s_cbranch_execnz .LBB146_16
; %bb.17:                               ;   in Loop: Header=BB146_13 Depth=1
	s_or_b64 exec, exec, s[24:25]
	v_lshlrev_b64 v[14:15], 4, v[10:11]
	v_add_co_u32_e32 v4, vcc, v4, v14
	v_addc_co_u32_e32 v5, vcc, v5, v15, vcc
	v_mov_b32_e32 v7, v16
	v_cmp_ne_u64_e32 vcc, v[8:9], v[10:11]
	v_add_u32_e32 v6, v12, v7
	s_orn2_b64 s[24:25], vcc, exec
.LBB146_18:                             ;   in Loop: Header=BB146_13 Depth=1
	s_or_b64 exec, exec, s[22:23]
	s_and_saveexec_b64 s[2:3], s[24:25]
	s_cbranch_execz .LBB146_22
; %bb.19:                               ;   in Loop: Header=BB146_13 Depth=1
	v_lshlrev_b64 v[8:9], 2, v[4:5]
	v_mov_b32_e32 v7, s11
	v_add_co_u32_e32 v8, vcc, s10, v8
	v_addc_co_u32_e32 v9, vcc, v7, v9, vcc
	s_mov_b64 s[22:23], 0
.LBB146_20:                             ;   Parent Loop BB146_13 Depth=1
                                        ; =>  This Inner Loop Header: Depth=2
	global_load_dword v7, v[8:9], off
	v_mov_b32_e32 v11, s13
	v_add_co_u32_e32 v10, vcc, s12, v4
	v_addc_co_u32_e32 v11, vcc, v11, v5, vcc
	v_mov_b32_e32 v12, s30
	global_load_sbyte v13, v[10:11], off
	s_waitcnt vmcnt(1)
	v_ashrrev_i32_e32 v11, 31, v7
	v_add_co_u32_e32 v10, vcc, s29, v7
	v_addc_co_u32_e32 v11, vcc, v12, v11, vcc
	global_load_sbyte v7, v[10:11], off
	v_add_co_u32_e32 v8, vcc, 64, v8
	v_addc_co_u32_e32 v9, vcc, 0, v9, vcc
	v_add_co_u32_e32 v4, vcc, 16, v4
	v_addc_co_u32_e32 v5, vcc, 0, v5, vcc
	v_cmp_ge_i64_e32 vcc, v[4:5], v[0:1]
	s_waitcnt vmcnt(1)
	v_mul_lo_u32 v10, s21, v13
	s_or_b64 s[22:23], vcc, s[22:23]
	s_waitcnt vmcnt(0)
	v_mad_u64_u32 v[6:7], s[24:25], v10, v7, v[6:7]
	s_andn2_b64 exec, exec, s[22:23]
	s_cbranch_execnz .LBB146_20
; %bb.21:                               ;   in Loop: Header=BB146_13 Depth=1
	s_or_b64 exec, exec, s[22:23]
.LBB146_22:                             ;   in Loop: Header=BB146_13 Depth=1
	s_or_b64 exec, exec, s[2:3]
.LBB146_23:                             ;   in Loop: Header=BB146_13 Depth=1
	s_or_b64 exec, exec, s[16:17]
	v_mov_b32_dpp v0, v6 row_shr:1 row_mask:0xf bank_mask:0xf
	v_add_u32_e32 v0, v0, v6
	s_nop 1
	v_mov_b32_dpp v1, v0 row_shr:2 row_mask:0xf bank_mask:0xf
	v_add_u32_e32 v0, v0, v1
	s_nop 1
	;; [unrolled: 3-line block ×3, first 2 shown]
	v_mov_b32_dpp v1, v0 row_shr:8 row_mask:0xf bank_mask:0xc
	s_and_saveexec_b64 s[16:17], s[0:1]
	s_cbranch_execz .LBB146_12
; %bb.24:                               ;   in Loop: Header=BB146_13 Depth=1
	v_lshlrev_b64 v[4:5], 2, v[2:3]
	v_add_u32_e32 v0, v0, v1
	v_mov_b32_e32 v1, s7
	v_add_co_u32_e64 v4, s[2:3], s6, v4
	s_andn2_b64 vcc, exec, s[4:5]
	v_addc_co_u32_e64 v5, s[2:3], v1, v5, s[2:3]
	s_cbranch_vccnz .LBB146_11
; %bb.25:                               ;   in Loop: Header=BB146_13 Depth=1
	global_load_dword v1, v[4:5], off
	s_waitcnt vmcnt(0)
	v_mad_u64_u32 v[0:1], s[2:3], v1, s26, v[0:1]
	s_branch .LBB146_11
.LBB146_26:
	s_endpgm
	.section	.rodata,"a",@progbits
	.p2align	6, 0x0
	.amdhsa_kernel _ZN9rocsparseL21csrmvn_general_kernelILj256ELj16EliaaiiEEvbT2_NS_24const_host_device_scalarIT6_EEPKT1_S7_PKS1_PKT3_PKT4_S4_PT5_21rocsparse_index_base_b
		.amdhsa_group_segment_fixed_size 0
		.amdhsa_private_segment_fixed_size 0
		.amdhsa_kernarg_size 336
		.amdhsa_user_sgpr_count 6
		.amdhsa_user_sgpr_private_segment_buffer 1
		.amdhsa_user_sgpr_dispatch_ptr 0
		.amdhsa_user_sgpr_queue_ptr 0
		.amdhsa_user_sgpr_kernarg_segment_ptr 1
		.amdhsa_user_sgpr_dispatch_id 0
		.amdhsa_user_sgpr_flat_scratch_init 0
		.amdhsa_user_sgpr_kernarg_preload_length 0
		.amdhsa_user_sgpr_kernarg_preload_offset 0
		.amdhsa_user_sgpr_private_segment_size 0
		.amdhsa_uses_dynamic_stack 0
		.amdhsa_system_sgpr_private_segment_wavefront_offset 0
		.amdhsa_system_sgpr_workgroup_id_x 1
		.amdhsa_system_sgpr_workgroup_id_y 0
		.amdhsa_system_sgpr_workgroup_id_z 0
		.amdhsa_system_sgpr_workgroup_info 0
		.amdhsa_system_vgpr_workitem_id 0
		.amdhsa_next_free_vgpr 39
		.amdhsa_next_free_sgpr 35
		.amdhsa_accum_offset 40
		.amdhsa_reserve_vcc 1
		.amdhsa_reserve_flat_scratch 0
		.amdhsa_float_round_mode_32 0
		.amdhsa_float_round_mode_16_64 0
		.amdhsa_float_denorm_mode_32 3
		.amdhsa_float_denorm_mode_16_64 3
		.amdhsa_dx10_clamp 1
		.amdhsa_ieee_mode 1
		.amdhsa_fp16_overflow 0
		.amdhsa_tg_split 0
		.amdhsa_exception_fp_ieee_invalid_op 0
		.amdhsa_exception_fp_denorm_src 0
		.amdhsa_exception_fp_ieee_div_zero 0
		.amdhsa_exception_fp_ieee_overflow 0
		.amdhsa_exception_fp_ieee_underflow 0
		.amdhsa_exception_fp_ieee_inexact 0
		.amdhsa_exception_int_div_zero 0
	.end_amdhsa_kernel
	.section	.text._ZN9rocsparseL21csrmvn_general_kernelILj256ELj16EliaaiiEEvbT2_NS_24const_host_device_scalarIT6_EEPKT1_S7_PKS1_PKT3_PKT4_S4_PT5_21rocsparse_index_base_b,"axG",@progbits,_ZN9rocsparseL21csrmvn_general_kernelILj256ELj16EliaaiiEEvbT2_NS_24const_host_device_scalarIT6_EEPKT1_S7_PKS1_PKT3_PKT4_S4_PT5_21rocsparse_index_base_b,comdat
.Lfunc_end146:
	.size	_ZN9rocsparseL21csrmvn_general_kernelILj256ELj16EliaaiiEEvbT2_NS_24const_host_device_scalarIT6_EEPKT1_S7_PKS1_PKT3_PKT4_S4_PT5_21rocsparse_index_base_b, .Lfunc_end146-_ZN9rocsparseL21csrmvn_general_kernelILj256ELj16EliaaiiEEvbT2_NS_24const_host_device_scalarIT6_EEPKT1_S7_PKS1_PKT3_PKT4_S4_PT5_21rocsparse_index_base_b
                                        ; -- End function
	.section	.AMDGPU.csdata,"",@progbits
; Kernel info:
; codeLenInByte = 1116
; NumSgprs: 39
; NumVgprs: 39
; NumAgprs: 0
; TotalNumVgprs: 39
; ScratchSize: 0
; MemoryBound: 0
; FloatMode: 240
; IeeeMode: 1
; LDSByteSize: 0 bytes/workgroup (compile time only)
; SGPRBlocks: 4
; VGPRBlocks: 4
; NumSGPRsForWavesPerEU: 39
; NumVGPRsForWavesPerEU: 39
; AccumOffset: 40
; Occupancy: 8
; WaveLimiterHint : 1
; COMPUTE_PGM_RSRC2:SCRATCH_EN: 0
; COMPUTE_PGM_RSRC2:USER_SGPR: 6
; COMPUTE_PGM_RSRC2:TRAP_HANDLER: 0
; COMPUTE_PGM_RSRC2:TGID_X_EN: 1
; COMPUTE_PGM_RSRC2:TGID_Y_EN: 0
; COMPUTE_PGM_RSRC2:TGID_Z_EN: 0
; COMPUTE_PGM_RSRC2:TIDIG_COMP_CNT: 0
; COMPUTE_PGM_RSRC3_GFX90A:ACCUM_OFFSET: 9
; COMPUTE_PGM_RSRC3_GFX90A:TG_SPLIT: 0
	.section	.text._ZN9rocsparseL21csrmvn_general_kernelILj256ELj32EliaaiiEEvbT2_NS_24const_host_device_scalarIT6_EEPKT1_S7_PKS1_PKT3_PKT4_S4_PT5_21rocsparse_index_base_b,"axG",@progbits,_ZN9rocsparseL21csrmvn_general_kernelILj256ELj32EliaaiiEEvbT2_NS_24const_host_device_scalarIT6_EEPKT1_S7_PKS1_PKT3_PKT4_S4_PT5_21rocsparse_index_base_b,comdat
	.globl	_ZN9rocsparseL21csrmvn_general_kernelILj256ELj32EliaaiiEEvbT2_NS_24const_host_device_scalarIT6_EEPKT1_S7_PKS1_PKT3_PKT4_S4_PT5_21rocsparse_index_base_b ; -- Begin function _ZN9rocsparseL21csrmvn_general_kernelILj256ELj32EliaaiiEEvbT2_NS_24const_host_device_scalarIT6_EEPKT1_S7_PKS1_PKT3_PKT4_S4_PT5_21rocsparse_index_base_b
	.p2align	8
	.type	_ZN9rocsparseL21csrmvn_general_kernelILj256ELj32EliaaiiEEvbT2_NS_24const_host_device_scalarIT6_EEPKT1_S7_PKS1_PKT3_PKT4_S4_PT5_21rocsparse_index_base_b,@function
_ZN9rocsparseL21csrmvn_general_kernelILj256ELj32EliaaiiEEvbT2_NS_24const_host_device_scalarIT6_EEPKT1_S7_PKS1_PKT3_PKT4_S4_PT5_21rocsparse_index_base_b: ; @_ZN9rocsparseL21csrmvn_general_kernelILj256ELj32EliaaiiEEvbT2_NS_24const_host_device_scalarIT6_EEPKT1_S7_PKS1_PKT3_PKT4_S4_PT5_21rocsparse_index_base_b
; %bb.0:
	s_load_dwordx2 s[20:21], s[4:5], 0x48
	s_load_dwordx4 s[16:19], s[4:5], 0x8
	s_mov_b64 s[8:9], -1
	s_waitcnt lgkmcnt(0)
	s_bitcmp1_b32 s21, 0
	s_cselect_b64 s[0:1], -1, 0
	s_xor_b64 s[2:3], s[0:1], -1
	s_and_b64 vcc, exec, s[2:3]
                                        ; implicit-def: $sgpr21
	s_cbranch_vccnz .LBB147_4
; %bb.1:
	s_load_dwordx2 s[0:1], s[4:5], 0x38
	s_andn2_b64 vcc, exec, s[8:9]
	s_cbranch_vccz .LBB147_5
.LBB147_2:
	s_and_b64 vcc, exec, s[2:3]
	s_cbranch_vccz .LBB147_6
.LBB147_3:
	s_waitcnt lgkmcnt(0)
	s_load_dword s26, s[0:1], 0x0
	s_cbranch_execz .LBB147_7
	s_branch .LBB147_8
.LBB147_4:
	s_load_dword s21, s[16:17], 0x0
	s_load_dwordx2 s[0:1], s[4:5], 0x38
	s_cbranch_execnz .LBB147_2
.LBB147_5:
	s_waitcnt lgkmcnt(0)
	s_mov_b32 s21, s16
	s_and_b64 vcc, exec, s[2:3]
	s_cbranch_vccnz .LBB147_3
.LBB147_6:
                                        ; implicit-def: $sgpr26
.LBB147_7:
	s_waitcnt lgkmcnt(0)
	s_mov_b32 s26, s0
.LBB147_8:
	s_waitcnt lgkmcnt(0)
	s_cmp_lg_u32 s21, 0
	s_cselect_b64 s[0:1], -1, 0
	s_cmp_lg_u32 s26, 1
	s_cselect_b64 s[2:3], -1, 0
	s_or_b64 s[0:1], s[0:1], s[2:3]
	s_andn2_b64 vcc, exec, s[0:1]
	s_cbranch_vccnz .LBB147_26
; %bb.9:
	s_load_dword s27, s[4:5], 0x4
	v_lshl_or_b32 v1, s6, 8, v0
	v_lshrrev_b32_e32 v2, 5, v1
	s_waitcnt lgkmcnt(0)
	v_cmp_gt_i32_e32 vcc, s27, v2
	s_and_saveexec_b64 s[0:1], vcc
	s_cbranch_execz .LBB147_26
; %bb.10:
	s_load_dword s0, s[4:5], 0x50
	s_load_dwordx2 s[6:7], s[4:5], 0x40
	s_load_dwordx8 s[8:15], s[4:5], 0x18
	v_and_b32_e32 v0, 31, v0
	v_subrev_co_u32_e32 v20, vcc, s20, v0
	s_waitcnt lgkmcnt(0)
	s_lshl_b32 s28, s0, 3
	v_subb_co_u32_e64 v21, s[0:1], 0, 0, vcc
	s_ashr_i32 s0, s20, 31
	s_sub_u32 s29, s14, s20
	v_not_b32_e32 v1, v0
	s_subb_u32 s30, s15, s0
	v_cmp_eq_u32_e64 s[0:1], 31, v0
	v_add_co_u32_e32 v22, vcc, s20, v1
	v_or_b32_e32 v0, 32, v0
	v_addc_co_u32_e64 v23, s[2:3], -1, 0, vcc
	v_subrev_co_u32_e32 v24, vcc, s20, v0
	v_subb_co_u32_e64 v25, s[2:3], 0, 0, vcc
	v_mov_b32_e32 v0, s13
	v_add_co_u32_e32 v1, vcc, s12, v20
	s_cmp_lg_u32 s26, 0
	v_addc_co_u32_e32 v0, vcc, v21, v0, vcc
	s_mov_b32 s16, 0
	s_cselect_b64 s[4:5], -1, 0
	v_add_co_u32_e32 v26, vcc, 32, v1
	s_add_u32 s33, s10, 0x80
	s_mov_b32 s31, s21
	v_addc_co_u32_e32 v27, vcc, 0, v0, vcc
	s_addc_u32 s34, s11, 0
	s_mov_b64 s[14:15], 0
	v_mov_b32_e32 v28, s19
	v_mov_b32_e32 v29, s9
	;; [unrolled: 1-line block ×4, first 2 shown]
	s_branch .LBB147_13
.LBB147_11:                             ;   in Loop: Header=BB147_13 Depth=1
	global_store_dword v[4:5], v0, off
.LBB147_12:                             ;   in Loop: Header=BB147_13 Depth=1
	s_or_b64 exec, exec, s[16:17]
	v_add_u32_e32 v2, s28, v2
	v_cmp_le_i32_e32 vcc, s27, v2
	s_or_b64 s[14:15], vcc, s[14:15]
	s_andn2_b64 exec, exec, s[14:15]
	s_cbranch_execz .LBB147_26
.LBB147_13:                             ; =>This Loop Header: Depth=1
                                        ;     Child Loop BB147_16 Depth 2
                                        ;     Child Loop BB147_20 Depth 2
	v_ashrrev_i32_e32 v3, 31, v2
	v_lshlrev_b64 v[0:1], 3, v[2:3]
	v_add_co_u32_e32 v4, vcc, s8, v0
	v_addc_co_u32_e32 v5, vcc, v29, v1, vcc
	global_load_dwordx2 v[4:5], v[4:5], off
	v_add_co_u32_e32 v0, vcc, s18, v0
	v_addc_co_u32_e32 v1, vcc, v28, v1, vcc
	global_load_dwordx2 v[12:13], v[0:1], off
	v_mov_b32_e32 v6, 0
	s_waitcnt vmcnt(1)
	v_subrev_co_u32_e32 v0, vcc, s20, v4
	v_subb_co_u32_e32 v1, vcc, v5, v30, vcc
	s_waitcnt vmcnt(0)
	v_add_co_u32_e32 v4, vcc, v12, v20
	v_addc_co_u32_e32 v5, vcc, v13, v21, vcc
	v_cmp_lt_i64_e32 vcc, v[4:5], v[0:1]
	s_and_saveexec_b64 s[16:17], vcc
	s_cbranch_execz .LBB147_23
; %bb.14:                               ;   in Loop: Header=BB147_13 Depth=1
	v_add_co_u32_e32 v6, vcc, v24, v12
	v_addc_co_u32_e32 v7, vcc, v25, v13, vcc
	v_cmp_gt_i64_e32 vcc, v[6:7], v[0:1]
	v_cndmask_b32_e32 v6, v0, v6, vcc
	v_cndmask_b32_e32 v7, v1, v7, vcc
	v_add_co_u32_e32 v6, vcc, v22, v6
	v_addc_co_u32_e32 v7, vcc, v23, v7, vcc
	v_sub_co_u32_e32 v8, vcc, v6, v12
	v_subb_co_u32_e32 v9, vcc, v7, v13, vcc
	v_cmp_lt_u64_e32 vcc, 31, v[8:9]
	s_mov_b64 s[2:3], -1
	v_mov_b32_e32 v6, 0
	s_and_saveexec_b64 s[22:23], vcc
	s_cbranch_execz .LBB147_18
; %bb.15:                               ;   in Loop: Header=BB147_13 Depth=1
	v_lshrrev_b64 v[6:7], 5, v[8:9]
	v_add_co_u32_e32 v8, vcc, 1, v6
	v_addc_co_u32_e32 v9, vcc, 0, v7, vcc
	v_add_co_u32_e32 v6, vcc, v26, v12
	v_addc_co_u32_e32 v7, vcc, v27, v13, vcc
	v_lshlrev_b64 v[12:13], 2, v[4:5]
	v_and_b32_e32 v10, -2, v8
	v_mov_b32_e32 v11, v9
	v_mov_b32_e32 v15, s34
	v_add_co_u32_e32 v14, vcc, s33, v12
	v_addc_co_u32_e32 v15, vcc, v15, v13, vcc
	s_mov_b64 s[24:25], 0
	v_mov_b32_e32 v12, 0
	v_pk_mov_b32 v[18:19], v[10:11], v[10:11] op_sel:[0,1]
	v_mov_b32_e32 v16, 0
.LBB147_16:                             ;   Parent Loop BB147_13 Depth=1
                                        ; =>  This Inner Loop Header: Depth=2
	global_load_dword v13, v[14:15], off
	global_load_dword v17, v[14:15], off offset:-128
	global_load_sbyte v36, v[6:7], off
	global_load_sbyte v37, v[6:7], off offset:-32
	s_waitcnt vmcnt(3)
	v_ashrrev_i32_e32 v33, 31, v13
	v_add_co_u32_e32 v32, vcc, s29, v13
	s_waitcnt vmcnt(2)
	v_ashrrev_i32_e32 v35, 31, v17
	v_add_co_u32_e64 v34, s[2:3], s29, v17
	v_addc_co_u32_e32 v33, vcc, v31, v33, vcc
	v_addc_co_u32_e64 v35, s[2:3], v31, v35, s[2:3]
	global_load_sbyte v13, v[32:33], off
	global_load_sbyte v38, v[34:35], off
	v_add_co_u32_e32 v18, vcc, -2, v18
	v_addc_co_u32_e32 v19, vcc, -1, v19, vcc
	v_add_co_u32_e32 v6, vcc, 64, v6
	v_addc_co_u32_e32 v7, vcc, 0, v7, vcc
	v_add_co_u32_e32 v14, vcc, 0x100, v14
	v_addc_co_u32_e32 v15, vcc, 0, v15, vcc
	v_cmp_eq_u64_e32 vcc, 0, v[18:19]
	s_waitcnt vmcnt(2)
	v_mul_lo_u32 v32, s21, v37
	v_mul_lo_u32 v17, s31, v36
	s_or_b64 s[24:25], vcc, s[24:25]
	s_waitcnt vmcnt(1)
	v_mad_u64_u32 v[16:17], s[2:3], v17, v13, v[16:17]
	s_waitcnt vmcnt(0)
	v_mad_u64_u32 v[12:13], s[2:3], v32, v38, v[12:13]
	s_andn2_b64 exec, exec, s[24:25]
	s_cbranch_execnz .LBB147_16
; %bb.17:                               ;   in Loop: Header=BB147_13 Depth=1
	s_or_b64 exec, exec, s[24:25]
	v_lshlrev_b64 v[14:15], 5, v[10:11]
	v_add_co_u32_e32 v4, vcc, v4, v14
	v_addc_co_u32_e32 v5, vcc, v5, v15, vcc
	v_mov_b32_e32 v7, v16
	v_cmp_ne_u64_e32 vcc, v[8:9], v[10:11]
	v_add_u32_e32 v6, v12, v7
	s_orn2_b64 s[2:3], vcc, exec
.LBB147_18:                             ;   in Loop: Header=BB147_13 Depth=1
	s_or_b64 exec, exec, s[22:23]
	s_and_saveexec_b64 s[22:23], s[2:3]
	s_cbranch_execz .LBB147_22
; %bb.19:                               ;   in Loop: Header=BB147_13 Depth=1
	v_lshlrev_b64 v[8:9], 2, v[4:5]
	v_mov_b32_e32 v7, s11
	v_add_co_u32_e32 v8, vcc, s10, v8
	v_addc_co_u32_e32 v9, vcc, v7, v9, vcc
	s_mov_b64 s[24:25], 0
.LBB147_20:                             ;   Parent Loop BB147_13 Depth=1
                                        ; =>  This Inner Loop Header: Depth=2
	global_load_dword v7, v[8:9], off
	v_mov_b32_e32 v11, s13
	v_add_co_u32_e32 v10, vcc, s12, v4
	v_addc_co_u32_e32 v11, vcc, v11, v5, vcc
	v_mov_b32_e32 v12, s30
	global_load_sbyte v13, v[10:11], off
	v_add_co_u32_e64 v4, s[2:3], 32, v4
	v_addc_co_u32_e64 v5, s[2:3], 0, v5, s[2:3]
	s_waitcnt vmcnt(1)
	v_ashrrev_i32_e32 v11, 31, v7
	v_add_co_u32_e32 v10, vcc, s29, v7
	v_addc_co_u32_e32 v11, vcc, v12, v11, vcc
	global_load_sbyte v7, v[10:11], off
	v_add_co_u32_e32 v8, vcc, 0x80, v8
	v_addc_co_u32_e32 v9, vcc, 0, v9, vcc
	v_cmp_ge_i64_e32 vcc, v[4:5], v[0:1]
	s_waitcnt vmcnt(1)
	v_mul_lo_u32 v10, s21, v13
	s_or_b64 s[24:25], vcc, s[24:25]
	s_waitcnt vmcnt(0)
	v_mad_u64_u32 v[6:7], s[2:3], v10, v7, v[6:7]
	s_andn2_b64 exec, exec, s[24:25]
	s_cbranch_execnz .LBB147_20
; %bb.21:                               ;   in Loop: Header=BB147_13 Depth=1
	s_or_b64 exec, exec, s[24:25]
.LBB147_22:                             ;   in Loop: Header=BB147_13 Depth=1
	s_or_b64 exec, exec, s[22:23]
.LBB147_23:                             ;   in Loop: Header=BB147_13 Depth=1
	s_or_b64 exec, exec, s[16:17]
	v_mov_b32_dpp v0, v6 row_shr:1 row_mask:0xf bank_mask:0xf
	v_add_u32_e32 v0, v0, v6
	s_nop 1
	v_mov_b32_dpp v1, v0 row_shr:2 row_mask:0xf bank_mask:0xf
	v_add_u32_e32 v0, v0, v1
	s_nop 1
	;; [unrolled: 3-line block ×4, first 2 shown]
	v_mov_b32_dpp v1, v0 row_bcast:15 row_mask:0xa bank_mask:0xf
	s_and_saveexec_b64 s[16:17], s[0:1]
	s_cbranch_execz .LBB147_12
; %bb.24:                               ;   in Loop: Header=BB147_13 Depth=1
	v_lshlrev_b64 v[4:5], 2, v[2:3]
	v_add_u32_e32 v0, v0, v1
	v_mov_b32_e32 v1, s7
	v_add_co_u32_e64 v4, s[2:3], s6, v4
	s_andn2_b64 vcc, exec, s[4:5]
	v_addc_co_u32_e64 v5, s[2:3], v1, v5, s[2:3]
	s_cbranch_vccnz .LBB147_11
; %bb.25:                               ;   in Loop: Header=BB147_13 Depth=1
	global_load_dword v1, v[4:5], off
	s_waitcnt vmcnt(0)
	v_mad_u64_u32 v[0:1], s[2:3], v1, s26, v[0:1]
	s_branch .LBB147_11
.LBB147_26:
	s_endpgm
	.section	.rodata,"a",@progbits
	.p2align	6, 0x0
	.amdhsa_kernel _ZN9rocsparseL21csrmvn_general_kernelILj256ELj32EliaaiiEEvbT2_NS_24const_host_device_scalarIT6_EEPKT1_S7_PKS1_PKT3_PKT4_S4_PT5_21rocsparse_index_base_b
		.amdhsa_group_segment_fixed_size 0
		.amdhsa_private_segment_fixed_size 0
		.amdhsa_kernarg_size 336
		.amdhsa_user_sgpr_count 6
		.amdhsa_user_sgpr_private_segment_buffer 1
		.amdhsa_user_sgpr_dispatch_ptr 0
		.amdhsa_user_sgpr_queue_ptr 0
		.amdhsa_user_sgpr_kernarg_segment_ptr 1
		.amdhsa_user_sgpr_dispatch_id 0
		.amdhsa_user_sgpr_flat_scratch_init 0
		.amdhsa_user_sgpr_kernarg_preload_length 0
		.amdhsa_user_sgpr_kernarg_preload_offset 0
		.amdhsa_user_sgpr_private_segment_size 0
		.amdhsa_uses_dynamic_stack 0
		.amdhsa_system_sgpr_private_segment_wavefront_offset 0
		.amdhsa_system_sgpr_workgroup_id_x 1
		.amdhsa_system_sgpr_workgroup_id_y 0
		.amdhsa_system_sgpr_workgroup_id_z 0
		.amdhsa_system_sgpr_workgroup_info 0
		.amdhsa_system_vgpr_workitem_id 0
		.amdhsa_next_free_vgpr 39
		.amdhsa_next_free_sgpr 35
		.amdhsa_accum_offset 40
		.amdhsa_reserve_vcc 1
		.amdhsa_reserve_flat_scratch 0
		.amdhsa_float_round_mode_32 0
		.amdhsa_float_round_mode_16_64 0
		.amdhsa_float_denorm_mode_32 3
		.amdhsa_float_denorm_mode_16_64 3
		.amdhsa_dx10_clamp 1
		.amdhsa_ieee_mode 1
		.amdhsa_fp16_overflow 0
		.amdhsa_tg_split 0
		.amdhsa_exception_fp_ieee_invalid_op 0
		.amdhsa_exception_fp_denorm_src 0
		.amdhsa_exception_fp_ieee_div_zero 0
		.amdhsa_exception_fp_ieee_overflow 0
		.amdhsa_exception_fp_ieee_underflow 0
		.amdhsa_exception_fp_ieee_inexact 0
		.amdhsa_exception_int_div_zero 0
	.end_amdhsa_kernel
	.section	.text._ZN9rocsparseL21csrmvn_general_kernelILj256ELj32EliaaiiEEvbT2_NS_24const_host_device_scalarIT6_EEPKT1_S7_PKS1_PKT3_PKT4_S4_PT5_21rocsparse_index_base_b,"axG",@progbits,_ZN9rocsparseL21csrmvn_general_kernelILj256ELj32EliaaiiEEvbT2_NS_24const_host_device_scalarIT6_EEPKT1_S7_PKS1_PKT3_PKT4_S4_PT5_21rocsparse_index_base_b,comdat
.Lfunc_end147:
	.size	_ZN9rocsparseL21csrmvn_general_kernelILj256ELj32EliaaiiEEvbT2_NS_24const_host_device_scalarIT6_EEPKT1_S7_PKS1_PKT3_PKT4_S4_PT5_21rocsparse_index_base_b, .Lfunc_end147-_ZN9rocsparseL21csrmvn_general_kernelILj256ELj32EliaaiiEEvbT2_NS_24const_host_device_scalarIT6_EEPKT1_S7_PKS1_PKT3_PKT4_S4_PT5_21rocsparse_index_base_b
                                        ; -- End function
	.section	.AMDGPU.csdata,"",@progbits
; Kernel info:
; codeLenInByte = 1148
; NumSgprs: 39
; NumVgprs: 39
; NumAgprs: 0
; TotalNumVgprs: 39
; ScratchSize: 0
; MemoryBound: 0
; FloatMode: 240
; IeeeMode: 1
; LDSByteSize: 0 bytes/workgroup (compile time only)
; SGPRBlocks: 4
; VGPRBlocks: 4
; NumSGPRsForWavesPerEU: 39
; NumVGPRsForWavesPerEU: 39
; AccumOffset: 40
; Occupancy: 8
; WaveLimiterHint : 1
; COMPUTE_PGM_RSRC2:SCRATCH_EN: 0
; COMPUTE_PGM_RSRC2:USER_SGPR: 6
; COMPUTE_PGM_RSRC2:TRAP_HANDLER: 0
; COMPUTE_PGM_RSRC2:TGID_X_EN: 1
; COMPUTE_PGM_RSRC2:TGID_Y_EN: 0
; COMPUTE_PGM_RSRC2:TGID_Z_EN: 0
; COMPUTE_PGM_RSRC2:TIDIG_COMP_CNT: 0
; COMPUTE_PGM_RSRC3_GFX90A:ACCUM_OFFSET: 9
; COMPUTE_PGM_RSRC3_GFX90A:TG_SPLIT: 0
	.section	.text._ZN9rocsparseL21csrmvn_general_kernelILj256ELj64EliaaiiEEvbT2_NS_24const_host_device_scalarIT6_EEPKT1_S7_PKS1_PKT3_PKT4_S4_PT5_21rocsparse_index_base_b,"axG",@progbits,_ZN9rocsparseL21csrmvn_general_kernelILj256ELj64EliaaiiEEvbT2_NS_24const_host_device_scalarIT6_EEPKT1_S7_PKS1_PKT3_PKT4_S4_PT5_21rocsparse_index_base_b,comdat
	.globl	_ZN9rocsparseL21csrmvn_general_kernelILj256ELj64EliaaiiEEvbT2_NS_24const_host_device_scalarIT6_EEPKT1_S7_PKS1_PKT3_PKT4_S4_PT5_21rocsparse_index_base_b ; -- Begin function _ZN9rocsparseL21csrmvn_general_kernelILj256ELj64EliaaiiEEvbT2_NS_24const_host_device_scalarIT6_EEPKT1_S7_PKS1_PKT3_PKT4_S4_PT5_21rocsparse_index_base_b
	.p2align	8
	.type	_ZN9rocsparseL21csrmvn_general_kernelILj256ELj64EliaaiiEEvbT2_NS_24const_host_device_scalarIT6_EEPKT1_S7_PKS1_PKT3_PKT4_S4_PT5_21rocsparse_index_base_b,@function
_ZN9rocsparseL21csrmvn_general_kernelILj256ELj64EliaaiiEEvbT2_NS_24const_host_device_scalarIT6_EEPKT1_S7_PKS1_PKT3_PKT4_S4_PT5_21rocsparse_index_base_b: ; @_ZN9rocsparseL21csrmvn_general_kernelILj256ELj64EliaaiiEEvbT2_NS_24const_host_device_scalarIT6_EEPKT1_S7_PKS1_PKT3_PKT4_S4_PT5_21rocsparse_index_base_b
; %bb.0:
	s_load_dwordx2 s[20:21], s[4:5], 0x48
	s_load_dwordx4 s[16:19], s[4:5], 0x8
	s_mov_b64 s[8:9], -1
	s_waitcnt lgkmcnt(0)
	s_bitcmp1_b32 s21, 0
	s_cselect_b64 s[0:1], -1, 0
	s_xor_b64 s[2:3], s[0:1], -1
	s_and_b64 vcc, exec, s[2:3]
                                        ; implicit-def: $sgpr21
	s_cbranch_vccnz .LBB148_4
; %bb.1:
	s_load_dwordx2 s[0:1], s[4:5], 0x38
	s_andn2_b64 vcc, exec, s[8:9]
	s_cbranch_vccz .LBB148_5
.LBB148_2:
	s_and_b64 vcc, exec, s[2:3]
	s_cbranch_vccz .LBB148_6
.LBB148_3:
	s_waitcnt lgkmcnt(0)
	s_load_dword s26, s[0:1], 0x0
	s_cbranch_execz .LBB148_7
	s_branch .LBB148_8
.LBB148_4:
	s_load_dword s21, s[16:17], 0x0
	s_load_dwordx2 s[0:1], s[4:5], 0x38
	s_cbranch_execnz .LBB148_2
.LBB148_5:
	s_waitcnt lgkmcnt(0)
	s_mov_b32 s21, s16
	s_and_b64 vcc, exec, s[2:3]
	s_cbranch_vccnz .LBB148_3
.LBB148_6:
                                        ; implicit-def: $sgpr26
.LBB148_7:
	s_waitcnt lgkmcnt(0)
	s_mov_b32 s26, s0
.LBB148_8:
	s_waitcnt lgkmcnt(0)
	s_cmp_lg_u32 s21, 0
	s_cselect_b64 s[0:1], -1, 0
	s_cmp_lg_u32 s26, 1
	s_cselect_b64 s[2:3], -1, 0
	s_or_b64 s[0:1], s[0:1], s[2:3]
	s_andn2_b64 vcc, exec, s[0:1]
	s_cbranch_vccnz .LBB148_26
; %bb.9:
	s_load_dword s27, s[4:5], 0x4
	v_lshl_or_b32 v1, s6, 8, v0
	v_lshrrev_b32_e32 v2, 6, v1
	s_waitcnt lgkmcnt(0)
	v_cmp_gt_i32_e32 vcc, s27, v2
	s_and_saveexec_b64 s[0:1], vcc
	s_cbranch_execz .LBB148_26
; %bb.10:
	s_load_dword s0, s[4:5], 0x50
	s_load_dwordx2 s[6:7], s[4:5], 0x40
	s_load_dwordx8 s[8:15], s[4:5], 0x18
	v_and_b32_e32 v0, 63, v0
	v_subrev_co_u32_e32 v20, vcc, s20, v0
	s_waitcnt lgkmcnt(0)
	s_lshl_b32 s28, s0, 2
	v_subb_co_u32_e64 v21, s[0:1], 0, 0, vcc
	s_ashr_i32 s0, s20, 31
	s_sub_u32 s29, s14, s20
	v_not_b32_e32 v1, v0
	s_subb_u32 s30, s15, s0
	v_cmp_eq_u32_e64 s[0:1], 63, v0
	v_add_co_u32_e32 v22, vcc, s20, v1
	v_or_b32_e32 v0, 64, v0
	v_addc_co_u32_e64 v23, s[2:3], -1, 0, vcc
	v_subrev_co_u32_e32 v24, vcc, s20, v0
	v_subb_co_u32_e64 v25, s[2:3], 0, 0, vcc
	v_mov_b32_e32 v0, s13
	v_add_co_u32_e32 v1, vcc, s12, v20
	s_cmp_lg_u32 s26, 0
	v_addc_co_u32_e32 v0, vcc, v21, v0, vcc
	s_mov_b32 s16, 0
	s_cselect_b64 s[4:5], -1, 0
	v_add_co_u32_e32 v26, vcc, 64, v1
	s_add_u32 s33, s10, 0x100
	s_mov_b32 s31, s21
	v_addc_co_u32_e32 v27, vcc, 0, v0, vcc
	s_addc_u32 s34, s11, 0
	s_mov_b64 s[14:15], 0
	v_mov_b32_e32 v28, s19
	v_mov_b32_e32 v29, s9
	;; [unrolled: 1-line block ×4, first 2 shown]
	s_branch .LBB148_13
.LBB148_11:                             ;   in Loop: Header=BB148_13 Depth=1
	global_store_dword v[4:5], v0, off
.LBB148_12:                             ;   in Loop: Header=BB148_13 Depth=1
	s_or_b64 exec, exec, s[16:17]
	v_add_u32_e32 v2, s28, v2
	v_cmp_le_i32_e32 vcc, s27, v2
	s_or_b64 s[14:15], vcc, s[14:15]
	s_andn2_b64 exec, exec, s[14:15]
	s_cbranch_execz .LBB148_26
.LBB148_13:                             ; =>This Loop Header: Depth=1
                                        ;     Child Loop BB148_16 Depth 2
                                        ;     Child Loop BB148_20 Depth 2
	v_ashrrev_i32_e32 v3, 31, v2
	v_lshlrev_b64 v[0:1], 3, v[2:3]
	v_add_co_u32_e32 v4, vcc, s8, v0
	v_addc_co_u32_e32 v5, vcc, v29, v1, vcc
	global_load_dwordx2 v[4:5], v[4:5], off
	v_add_co_u32_e32 v0, vcc, s18, v0
	v_addc_co_u32_e32 v1, vcc, v28, v1, vcc
	global_load_dwordx2 v[12:13], v[0:1], off
	v_mov_b32_e32 v6, 0
	s_waitcnt vmcnt(1)
	v_subrev_co_u32_e32 v0, vcc, s20, v4
	v_subb_co_u32_e32 v1, vcc, v5, v30, vcc
	s_waitcnt vmcnt(0)
	v_add_co_u32_e32 v4, vcc, v12, v20
	v_addc_co_u32_e32 v5, vcc, v13, v21, vcc
	v_cmp_lt_i64_e32 vcc, v[4:5], v[0:1]
	s_and_saveexec_b64 s[16:17], vcc
	s_cbranch_execz .LBB148_23
; %bb.14:                               ;   in Loop: Header=BB148_13 Depth=1
	v_add_co_u32_e32 v6, vcc, v24, v12
	v_addc_co_u32_e32 v7, vcc, v25, v13, vcc
	v_cmp_gt_i64_e32 vcc, v[6:7], v[0:1]
	v_cndmask_b32_e32 v6, v0, v6, vcc
	v_cndmask_b32_e32 v7, v1, v7, vcc
	v_add_co_u32_e32 v6, vcc, v22, v6
	v_addc_co_u32_e32 v7, vcc, v23, v7, vcc
	v_sub_co_u32_e32 v8, vcc, v6, v12
	v_subb_co_u32_e32 v9, vcc, v7, v13, vcc
	v_cmp_lt_u64_e32 vcc, 63, v[8:9]
	s_mov_b64 s[2:3], -1
	v_mov_b32_e32 v6, 0
	s_and_saveexec_b64 s[22:23], vcc
	s_cbranch_execz .LBB148_18
; %bb.15:                               ;   in Loop: Header=BB148_13 Depth=1
	v_lshrrev_b64 v[6:7], 6, v[8:9]
	v_add_co_u32_e32 v8, vcc, 1, v6
	v_addc_co_u32_e32 v9, vcc, 0, v7, vcc
	v_add_co_u32_e32 v6, vcc, v26, v12
	v_addc_co_u32_e32 v7, vcc, v27, v13, vcc
	v_lshlrev_b64 v[12:13], 2, v[4:5]
	v_and_b32_e32 v10, -2, v8
	v_mov_b32_e32 v11, v9
	v_mov_b32_e32 v15, s34
	v_add_co_u32_e32 v14, vcc, s33, v12
	v_addc_co_u32_e32 v15, vcc, v15, v13, vcc
	s_mov_b64 s[24:25], 0
	v_mov_b32_e32 v12, 0
	v_pk_mov_b32 v[18:19], v[10:11], v[10:11] op_sel:[0,1]
	v_mov_b32_e32 v16, 0
.LBB148_16:                             ;   Parent Loop BB148_13 Depth=1
                                        ; =>  This Inner Loop Header: Depth=2
	global_load_dword v13, v[14:15], off
	global_load_dword v17, v[14:15], off offset:-256
	global_load_sbyte v36, v[6:7], off
	global_load_sbyte v37, v[6:7], off offset:-64
	s_waitcnt vmcnt(3)
	v_ashrrev_i32_e32 v33, 31, v13
	v_add_co_u32_e32 v32, vcc, s29, v13
	s_waitcnt vmcnt(2)
	v_ashrrev_i32_e32 v35, 31, v17
	v_add_co_u32_e64 v34, s[2:3], s29, v17
	v_addc_co_u32_e32 v33, vcc, v31, v33, vcc
	v_addc_co_u32_e64 v35, s[2:3], v31, v35, s[2:3]
	global_load_sbyte v13, v[32:33], off
	global_load_sbyte v38, v[34:35], off
	v_add_co_u32_e32 v18, vcc, -2, v18
	v_addc_co_u32_e32 v19, vcc, -1, v19, vcc
	v_add_co_u32_e32 v6, vcc, 0x80, v6
	v_addc_co_u32_e32 v7, vcc, 0, v7, vcc
	v_add_co_u32_e32 v14, vcc, 0x200, v14
	v_cmp_eq_u64_e64 s[2:3], 0, v[18:19]
	s_waitcnt vmcnt(2)
	v_mul_lo_u32 v32, s21, v37
	v_mul_lo_u32 v17, s31, v36
	v_addc_co_u32_e32 v15, vcc, 0, v15, vcc
	s_or_b64 s[24:25], s[2:3], s[24:25]
	s_waitcnt vmcnt(1)
	v_mad_u64_u32 v[16:17], s[2:3], v17, v13, v[16:17]
	s_waitcnt vmcnt(0)
	v_mad_u64_u32 v[12:13], s[2:3], v32, v38, v[12:13]
	s_andn2_b64 exec, exec, s[24:25]
	s_cbranch_execnz .LBB148_16
; %bb.17:                               ;   in Loop: Header=BB148_13 Depth=1
	s_or_b64 exec, exec, s[24:25]
	v_lshlrev_b64 v[14:15], 6, v[10:11]
	v_add_co_u32_e32 v4, vcc, v4, v14
	v_addc_co_u32_e32 v5, vcc, v5, v15, vcc
	v_mov_b32_e32 v7, v16
	v_cmp_ne_u64_e32 vcc, v[8:9], v[10:11]
	v_add_u32_e32 v6, v12, v7
	s_orn2_b64 s[2:3], vcc, exec
.LBB148_18:                             ;   in Loop: Header=BB148_13 Depth=1
	s_or_b64 exec, exec, s[22:23]
	s_and_saveexec_b64 s[22:23], s[2:3]
	s_cbranch_execz .LBB148_22
; %bb.19:                               ;   in Loop: Header=BB148_13 Depth=1
	v_lshlrev_b64 v[8:9], 2, v[4:5]
	v_mov_b32_e32 v7, s11
	v_add_co_u32_e32 v8, vcc, s10, v8
	v_addc_co_u32_e32 v9, vcc, v7, v9, vcc
	s_mov_b64 s[24:25], 0
.LBB148_20:                             ;   Parent Loop BB148_13 Depth=1
                                        ; =>  This Inner Loop Header: Depth=2
	global_load_dword v7, v[8:9], off
	v_mov_b32_e32 v11, s13
	v_add_co_u32_e32 v10, vcc, s12, v4
	v_addc_co_u32_e32 v11, vcc, v11, v5, vcc
	v_mov_b32_e32 v12, s30
	global_load_sbyte v13, v[10:11], off
	v_add_co_u32_e64 v4, s[2:3], 64, v4
	v_addc_co_u32_e64 v5, s[2:3], 0, v5, s[2:3]
	s_waitcnt vmcnt(1)
	v_ashrrev_i32_e32 v11, 31, v7
	v_add_co_u32_e32 v10, vcc, s29, v7
	v_addc_co_u32_e32 v11, vcc, v12, v11, vcc
	global_load_sbyte v7, v[10:11], off
	v_add_co_u32_e32 v8, vcc, 0x100, v8
	v_addc_co_u32_e32 v9, vcc, 0, v9, vcc
	v_cmp_ge_i64_e32 vcc, v[4:5], v[0:1]
	s_waitcnt vmcnt(1)
	v_mul_lo_u32 v10, s21, v13
	s_or_b64 s[24:25], vcc, s[24:25]
	s_waitcnt vmcnt(0)
	v_mad_u64_u32 v[6:7], s[2:3], v10, v7, v[6:7]
	s_andn2_b64 exec, exec, s[24:25]
	s_cbranch_execnz .LBB148_20
; %bb.21:                               ;   in Loop: Header=BB148_13 Depth=1
	s_or_b64 exec, exec, s[24:25]
.LBB148_22:                             ;   in Loop: Header=BB148_13 Depth=1
	s_or_b64 exec, exec, s[22:23]
.LBB148_23:                             ;   in Loop: Header=BB148_13 Depth=1
	s_or_b64 exec, exec, s[16:17]
	v_mov_b32_dpp v0, v6 row_shr:1 row_mask:0xf bank_mask:0xf
	v_add_u32_e32 v0, v0, v6
	s_nop 1
	v_mov_b32_dpp v1, v0 row_shr:2 row_mask:0xf bank_mask:0xf
	v_add_u32_e32 v0, v0, v1
	s_nop 1
	;; [unrolled: 3-line block ×4, first 2 shown]
	v_mov_b32_dpp v1, v0 row_bcast:15 row_mask:0xa bank_mask:0xf
	v_add_u32_e32 v0, v0, v1
	s_nop 1
	v_mov_b32_dpp v1, v0 row_bcast:31 row_mask:0xc bank_mask:0xf
	s_and_saveexec_b64 s[16:17], s[0:1]
	s_cbranch_execz .LBB148_12
; %bb.24:                               ;   in Loop: Header=BB148_13 Depth=1
	v_lshlrev_b64 v[4:5], 2, v[2:3]
	v_add_u32_e32 v0, v0, v1
	v_mov_b32_e32 v1, s7
	v_add_co_u32_e64 v4, s[2:3], s6, v4
	s_andn2_b64 vcc, exec, s[4:5]
	v_addc_co_u32_e64 v5, s[2:3], v1, v5, s[2:3]
	s_cbranch_vccnz .LBB148_11
; %bb.25:                               ;   in Loop: Header=BB148_13 Depth=1
	global_load_dword v1, v[4:5], off
	s_waitcnt vmcnt(0)
	v_mad_u64_u32 v[0:1], s[2:3], v1, s26, v[0:1]
	s_branch .LBB148_11
.LBB148_26:
	s_endpgm
	.section	.rodata,"a",@progbits
	.p2align	6, 0x0
	.amdhsa_kernel _ZN9rocsparseL21csrmvn_general_kernelILj256ELj64EliaaiiEEvbT2_NS_24const_host_device_scalarIT6_EEPKT1_S7_PKS1_PKT3_PKT4_S4_PT5_21rocsparse_index_base_b
		.amdhsa_group_segment_fixed_size 0
		.amdhsa_private_segment_fixed_size 0
		.amdhsa_kernarg_size 336
		.amdhsa_user_sgpr_count 6
		.amdhsa_user_sgpr_private_segment_buffer 1
		.amdhsa_user_sgpr_dispatch_ptr 0
		.amdhsa_user_sgpr_queue_ptr 0
		.amdhsa_user_sgpr_kernarg_segment_ptr 1
		.amdhsa_user_sgpr_dispatch_id 0
		.amdhsa_user_sgpr_flat_scratch_init 0
		.amdhsa_user_sgpr_kernarg_preload_length 0
		.amdhsa_user_sgpr_kernarg_preload_offset 0
		.amdhsa_user_sgpr_private_segment_size 0
		.amdhsa_uses_dynamic_stack 0
		.amdhsa_system_sgpr_private_segment_wavefront_offset 0
		.amdhsa_system_sgpr_workgroup_id_x 1
		.amdhsa_system_sgpr_workgroup_id_y 0
		.amdhsa_system_sgpr_workgroup_id_z 0
		.amdhsa_system_sgpr_workgroup_info 0
		.amdhsa_system_vgpr_workitem_id 0
		.amdhsa_next_free_vgpr 39
		.amdhsa_next_free_sgpr 35
		.amdhsa_accum_offset 40
		.amdhsa_reserve_vcc 1
		.amdhsa_reserve_flat_scratch 0
		.amdhsa_float_round_mode_32 0
		.amdhsa_float_round_mode_16_64 0
		.amdhsa_float_denorm_mode_32 3
		.amdhsa_float_denorm_mode_16_64 3
		.amdhsa_dx10_clamp 1
		.amdhsa_ieee_mode 1
		.amdhsa_fp16_overflow 0
		.amdhsa_tg_split 0
		.amdhsa_exception_fp_ieee_invalid_op 0
		.amdhsa_exception_fp_denorm_src 0
		.amdhsa_exception_fp_ieee_div_zero 0
		.amdhsa_exception_fp_ieee_overflow 0
		.amdhsa_exception_fp_ieee_underflow 0
		.amdhsa_exception_fp_ieee_inexact 0
		.amdhsa_exception_int_div_zero 0
	.end_amdhsa_kernel
	.section	.text._ZN9rocsparseL21csrmvn_general_kernelILj256ELj64EliaaiiEEvbT2_NS_24const_host_device_scalarIT6_EEPKT1_S7_PKS1_PKT3_PKT4_S4_PT5_21rocsparse_index_base_b,"axG",@progbits,_ZN9rocsparseL21csrmvn_general_kernelILj256ELj64EliaaiiEEvbT2_NS_24const_host_device_scalarIT6_EEPKT1_S7_PKS1_PKT3_PKT4_S4_PT5_21rocsparse_index_base_b,comdat
.Lfunc_end148:
	.size	_ZN9rocsparseL21csrmvn_general_kernelILj256ELj64EliaaiiEEvbT2_NS_24const_host_device_scalarIT6_EEPKT1_S7_PKS1_PKT3_PKT4_S4_PT5_21rocsparse_index_base_b, .Lfunc_end148-_ZN9rocsparseL21csrmvn_general_kernelILj256ELj64EliaaiiEEvbT2_NS_24const_host_device_scalarIT6_EEPKT1_S7_PKS1_PKT3_PKT4_S4_PT5_21rocsparse_index_base_b
                                        ; -- End function
	.section	.AMDGPU.csdata,"",@progbits
; Kernel info:
; codeLenInByte = 1172
; NumSgprs: 39
; NumVgprs: 39
; NumAgprs: 0
; TotalNumVgprs: 39
; ScratchSize: 0
; MemoryBound: 0
; FloatMode: 240
; IeeeMode: 1
; LDSByteSize: 0 bytes/workgroup (compile time only)
; SGPRBlocks: 4
; VGPRBlocks: 4
; NumSGPRsForWavesPerEU: 39
; NumVGPRsForWavesPerEU: 39
; AccumOffset: 40
; Occupancy: 8
; WaveLimiterHint : 1
; COMPUTE_PGM_RSRC2:SCRATCH_EN: 0
; COMPUTE_PGM_RSRC2:USER_SGPR: 6
; COMPUTE_PGM_RSRC2:TRAP_HANDLER: 0
; COMPUTE_PGM_RSRC2:TGID_X_EN: 1
; COMPUTE_PGM_RSRC2:TGID_Y_EN: 0
; COMPUTE_PGM_RSRC2:TGID_Z_EN: 0
; COMPUTE_PGM_RSRC2:TIDIG_COMP_CNT: 0
; COMPUTE_PGM_RSRC3_GFX90A:ACCUM_OFFSET: 9
; COMPUTE_PGM_RSRC3_GFX90A:TG_SPLIT: 0
	.section	.text._ZN9rocsparseL21csrmvt_general_kernelILj256ELj4EliaaiiEEvbbT2_NS_24const_host_device_scalarIT6_EEPKT1_S7_PKS1_PKT3_PKT4_PT5_21rocsparse_index_base_b,"axG",@progbits,_ZN9rocsparseL21csrmvt_general_kernelILj256ELj4EliaaiiEEvbbT2_NS_24const_host_device_scalarIT6_EEPKT1_S7_PKS1_PKT3_PKT4_PT5_21rocsparse_index_base_b,comdat
	.globl	_ZN9rocsparseL21csrmvt_general_kernelILj256ELj4EliaaiiEEvbbT2_NS_24const_host_device_scalarIT6_EEPKT1_S7_PKS1_PKT3_PKT4_PT5_21rocsparse_index_base_b ; -- Begin function _ZN9rocsparseL21csrmvt_general_kernelILj256ELj4EliaaiiEEvbbT2_NS_24const_host_device_scalarIT6_EEPKT1_S7_PKS1_PKT3_PKT4_PT5_21rocsparse_index_base_b
	.p2align	8
	.type	_ZN9rocsparseL21csrmvt_general_kernelILj256ELj4EliaaiiEEvbbT2_NS_24const_host_device_scalarIT6_EEPKT1_S7_PKS1_PKT3_PKT4_PT5_21rocsparse_index_base_b,@function
_ZN9rocsparseL21csrmvt_general_kernelILj256ELj4EliaaiiEEvbbT2_NS_24const_host_device_scalarIT6_EEPKT1_S7_PKS1_PKT3_PKT4_PT5_21rocsparse_index_base_b: ; @_ZN9rocsparseL21csrmvt_general_kernelILj256ELj4EliaaiiEEvbbT2_NS_24const_host_device_scalarIT6_EEPKT1_S7_PKS1_PKT3_PKT4_PT5_21rocsparse_index_base_b
; %bb.0:
	s_load_dwordx2 s[20:21], s[4:5], 0x40
	s_load_dwordx4 s[16:19], s[4:5], 0x8
	s_waitcnt lgkmcnt(0)
	s_bitcmp0_b32 s21, 0
	s_cbranch_scc0 .LBB149_2
; %bb.1:
	s_load_dword s21, s[16:17], 0x0
	s_cbranch_execz .LBB149_3
	s_branch .LBB149_4
.LBB149_2:
                                        ; implicit-def: $sgpr21
.LBB149_3:
	s_waitcnt lgkmcnt(0)
	s_mov_b32 s21, s16
.LBB149_4:
	s_waitcnt lgkmcnt(0)
	s_cmp_eq_u32 s21, 0
	s_cbranch_scc1 .LBB149_22
; %bb.5:
	s_load_dwordx2 s[16:17], s[4:5], 0x0
	s_load_dword s0, s[4:5], 0x48
	s_load_dwordx2 s[22:23], s[4:5], 0x38
	s_load_dwordx8 s[8:15], s[4:5], 0x18
	v_and_b32_e32 v1, 3, v0
	v_lshl_or_b32 v0, s6, 8, v0
	s_waitcnt lgkmcnt(0)
	s_and_b32 s1, s16, 1
	s_lshl_b32 s16, s0, 6
	v_lshrrev_b32_e32 v0, 2, v0
	s_cmp_eq_u32 s1, 0
	v_cmp_gt_i32_e64 s[0:1], s17, v0
	s_mov_b64 s[2:3], -1
	s_cbranch_scc0 .LBB149_13
; %bb.6:
	s_and_saveexec_b64 s[4:5], s[0:1]
	s_cbranch_execz .LBB149_12
; %bb.7:
	s_mov_b32 s24, 0
	v_subrev_co_u32_e32 v10, vcc, s20, v1
	v_subb_co_u32_e64 v11, s[2:3], 0, 0, vcc
	s_mov_b64 s[6:7], 0
	v_mov_b32_e32 v12, s19
	v_mov_b32_e32 v13, s9
	;; [unrolled: 1-line block ×4, first 2 shown]
	s_branch .LBB149_9
.LBB149_8:                              ;   in Loop: Header=BB149_9 Depth=1
	s_or_b64 exec, exec, s[24:25]
	v_add_u32_e32 v2, s16, v2
	v_cmp_le_i32_e32 vcc, s17, v2
	s_or_b64 s[6:7], vcc, s[6:7]
	s_andn2_b64 exec, exec, s[6:7]
	s_cbranch_execz .LBB149_12
.LBB149_9:                              ; =>This Loop Header: Depth=1
                                        ;     Child Loop BB149_11 Depth 2
	v_ashrrev_i32_e32 v3, 31, v2
	v_lshlrev_b64 v[4:5], 3, v[2:3]
	v_add_co_u32_e32 v6, vcc, s8, v4
	v_addc_co_u32_e32 v7, vcc, v13, v5, vcc
	global_load_dwordx2 v[6:7], v[6:7], off
	v_add_co_u32_e32 v4, vcc, s18, v4
	v_addc_co_u32_e32 v5, vcc, v12, v5, vcc
	global_load_dwordx2 v[8:9], v[4:5], off
	s_waitcnt vmcnt(1)
	v_subrev_co_u32_e32 v4, vcc, s20, v6
	v_subb_co_u32_e32 v5, vcc, v7, v14, vcc
	s_waitcnt vmcnt(0)
	v_add_co_u32_e32 v6, vcc, v8, v10
	v_addc_co_u32_e32 v7, vcc, v9, v11, vcc
	v_cmp_lt_i64_e32 vcc, v[6:7], v[4:5]
	s_and_saveexec_b64 s[24:25], vcc
	s_cbranch_execz .LBB149_8
; %bb.10:                               ;   in Loop: Header=BB149_9 Depth=1
	v_mov_b32_e32 v9, s15
	v_add_co_u32_e32 v8, vcc, s14, v2
	v_addc_co_u32_e32 v9, vcc, v9, v3, vcc
	global_load_sbyte v3, v[8:9], off
	v_lshlrev_b64 v[8:9], 2, v[6:7]
	v_mov_b32_e32 v15, s11
	v_add_co_u32_e32 v8, vcc, s10, v8
	v_addc_co_u32_e32 v9, vcc, v15, v9, vcc
	s_mov_b64 s[26:27], 0
	s_waitcnt vmcnt(0)
	v_mul_lo_u32 v3, s21, v3
.LBB149_11:                             ;   Parent Loop BB149_9 Depth=1
                                        ; =>  This Inner Loop Header: Depth=2
	global_load_dword v15, v[8:9], off
	v_mov_b32_e32 v17, s13
	v_add_co_u32_e32 v16, vcc, s12, v6
	v_addc_co_u32_e32 v17, vcc, v17, v7, vcc
	global_load_sbyte v18, v[16:17], off
	v_mov_b32_e32 v19, s23
	v_add_co_u32_e64 v6, s[2:3], 4, v6
	v_addc_co_u32_e64 v7, s[2:3], 0, v7, s[2:3]
	v_cmp_ge_i64_e64 s[2:3], v[6:7], v[4:5]
	s_or_b64 s[26:27], s[2:3], s[26:27]
	s_waitcnt vmcnt(1)
	v_subrev_u32_e32 v16, s20, v15
	v_ashrrev_i32_e32 v17, 31, v16
	v_lshlrev_b64 v[16:17], 2, v[16:17]
	v_add_co_u32_e32 v16, vcc, s22, v16
	v_addc_co_u32_e32 v17, vcc, v19, v17, vcc
	s_waitcnt vmcnt(0)
	v_mul_lo_u32 v15, v3, v18
	global_atomic_add v[16:17], v15, off
	v_add_co_u32_e32 v8, vcc, 16, v8
	v_addc_co_u32_e32 v9, vcc, 0, v9, vcc
	s_andn2_b64 exec, exec, s[26:27]
	s_cbranch_execnz .LBB149_11
	s_branch .LBB149_8
.LBB149_12:
	s_or_b64 exec, exec, s[4:5]
	s_mov_b64 s[2:3], 0
.LBB149_13:
	s_andn2_b64 vcc, exec, s[2:3]
	s_cbranch_vccnz .LBB149_22
; %bb.14:
	s_and_saveexec_b64 s[2:3], s[0:1]
	s_cbranch_execz .LBB149_22
; %bb.15:
	v_subrev_co_u32_e32 v10, vcc, s20, v1
	s_mov_b32 s2, 0
	v_subb_co_u32_e64 v11, s[0:1], 0, 0, vcc
	s_mov_b64 s[0:1], 0
	v_mov_b32_e32 v12, s19
	v_mov_b32_e32 v13, s9
	;; [unrolled: 1-line block ×3, first 2 shown]
	s_branch .LBB149_17
.LBB149_16:                             ;   in Loop: Header=BB149_17 Depth=1
	s_or_b64 exec, exec, s[2:3]
	v_add_u32_e32 v0, s16, v0
	v_cmp_le_i32_e32 vcc, s17, v0
	s_or_b64 s[0:1], vcc, s[0:1]
	s_andn2_b64 exec, exec, s[0:1]
	s_cbranch_execz .LBB149_22
.LBB149_17:                             ; =>This Loop Header: Depth=1
                                        ;     Child Loop BB149_20 Depth 2
	v_ashrrev_i32_e32 v1, 31, v0
	v_lshlrev_b64 v[2:3], 3, v[0:1]
	v_add_co_u32_e32 v4, vcc, s8, v2
	v_addc_co_u32_e32 v5, vcc, v13, v3, vcc
	global_load_dwordx2 v[4:5], v[4:5], off
	v_add_co_u32_e32 v2, vcc, s18, v2
	v_addc_co_u32_e32 v3, vcc, v12, v3, vcc
	global_load_dwordx2 v[6:7], v[2:3], off
	s_waitcnt vmcnt(1)
	v_subrev_co_u32_e32 v2, vcc, s20, v4
	v_subb_co_u32_e32 v3, vcc, v5, v14, vcc
	s_waitcnt vmcnt(0)
	v_add_co_u32_e32 v4, vcc, v6, v10
	v_addc_co_u32_e32 v5, vcc, v7, v11, vcc
	v_cmp_lt_i64_e32 vcc, v[4:5], v[2:3]
	s_and_saveexec_b64 s[2:3], vcc
	s_cbranch_execz .LBB149_16
; %bb.18:                               ;   in Loop: Header=BB149_17 Depth=1
	v_mov_b32_e32 v7, s15
	v_add_co_u32_e32 v6, vcc, s14, v0
	v_addc_co_u32_e32 v7, vcc, v7, v1, vcc
	global_load_sbyte v1, v[6:7], off
	v_lshlrev_b64 v[6:7], 2, v[4:5]
	v_mov_b32_e32 v8, s11
	v_add_co_u32_e32 v6, vcc, s10, v6
	v_addc_co_u32_e32 v7, vcc, v8, v7, vcc
	s_mov_b64 s[4:5], 0
	s_waitcnt vmcnt(0)
	v_mul_lo_u32 v1, s21, v1
	s_branch .LBB149_20
.LBB149_19:                             ;   in Loop: Header=BB149_20 Depth=2
	s_or_b64 exec, exec, s[6:7]
	v_add_co_u32_e32 v4, vcc, 4, v4
	v_addc_co_u32_e32 v5, vcc, 0, v5, vcc
	v_cmp_ge_i64_e32 vcc, v[4:5], v[2:3]
	s_or_b64 s[4:5], vcc, s[4:5]
	v_add_co_u32_e32 v6, vcc, 16, v6
	v_addc_co_u32_e32 v7, vcc, 0, v7, vcc
	s_andn2_b64 exec, exec, s[4:5]
	s_cbranch_execz .LBB149_16
.LBB149_20:                             ;   Parent Loop BB149_17 Depth=1
                                        ; =>  This Inner Loop Header: Depth=2
	global_load_dword v8, v[6:7], off
	s_waitcnt vmcnt(0)
	v_subrev_u32_e32 v8, s20, v8
	v_cmp_ne_u32_e32 vcc, v8, v0
	s_and_saveexec_b64 s[6:7], vcc
	s_cbranch_execz .LBB149_19
; %bb.21:                               ;   in Loop: Header=BB149_20 Depth=2
	v_mov_b32_e32 v9, s13
	v_add_co_u32_e32 v16, vcc, s12, v4
	v_addc_co_u32_e32 v17, vcc, v9, v5, vcc
	global_load_sbyte v15, v[16:17], off
	v_ashrrev_i32_e32 v9, 31, v8
	v_lshlrev_b64 v[8:9], 2, v[8:9]
	v_mov_b32_e32 v16, s23
	v_add_co_u32_e32 v8, vcc, s22, v8
	v_addc_co_u32_e32 v9, vcc, v16, v9, vcc
	s_waitcnt vmcnt(0)
	v_mul_lo_u32 v15, v1, v15
	global_atomic_add v[8:9], v15, off
	s_branch .LBB149_19
.LBB149_22:
	s_endpgm
	.section	.rodata,"a",@progbits
	.p2align	6, 0x0
	.amdhsa_kernel _ZN9rocsparseL21csrmvt_general_kernelILj256ELj4EliaaiiEEvbbT2_NS_24const_host_device_scalarIT6_EEPKT1_S7_PKS1_PKT3_PKT4_PT5_21rocsparse_index_base_b
		.amdhsa_group_segment_fixed_size 0
		.amdhsa_private_segment_fixed_size 0
		.amdhsa_kernarg_size 328
		.amdhsa_user_sgpr_count 6
		.amdhsa_user_sgpr_private_segment_buffer 1
		.amdhsa_user_sgpr_dispatch_ptr 0
		.amdhsa_user_sgpr_queue_ptr 0
		.amdhsa_user_sgpr_kernarg_segment_ptr 1
		.amdhsa_user_sgpr_dispatch_id 0
		.amdhsa_user_sgpr_flat_scratch_init 0
		.amdhsa_user_sgpr_kernarg_preload_length 0
		.amdhsa_user_sgpr_kernarg_preload_offset 0
		.amdhsa_user_sgpr_private_segment_size 0
		.amdhsa_uses_dynamic_stack 0
		.amdhsa_system_sgpr_private_segment_wavefront_offset 0
		.amdhsa_system_sgpr_workgroup_id_x 1
		.amdhsa_system_sgpr_workgroup_id_y 0
		.amdhsa_system_sgpr_workgroup_id_z 0
		.amdhsa_system_sgpr_workgroup_info 0
		.amdhsa_system_vgpr_workitem_id 0
		.amdhsa_next_free_vgpr 20
		.amdhsa_next_free_sgpr 28
		.amdhsa_accum_offset 20
		.amdhsa_reserve_vcc 1
		.amdhsa_reserve_flat_scratch 0
		.amdhsa_float_round_mode_32 0
		.amdhsa_float_round_mode_16_64 0
		.amdhsa_float_denorm_mode_32 3
		.amdhsa_float_denorm_mode_16_64 3
		.amdhsa_dx10_clamp 1
		.amdhsa_ieee_mode 1
		.amdhsa_fp16_overflow 0
		.amdhsa_tg_split 0
		.amdhsa_exception_fp_ieee_invalid_op 0
		.amdhsa_exception_fp_denorm_src 0
		.amdhsa_exception_fp_ieee_div_zero 0
		.amdhsa_exception_fp_ieee_overflow 0
		.amdhsa_exception_fp_ieee_underflow 0
		.amdhsa_exception_fp_ieee_inexact 0
		.amdhsa_exception_int_div_zero 0
	.end_amdhsa_kernel
	.section	.text._ZN9rocsparseL21csrmvt_general_kernelILj256ELj4EliaaiiEEvbbT2_NS_24const_host_device_scalarIT6_EEPKT1_S7_PKS1_PKT3_PKT4_PT5_21rocsparse_index_base_b,"axG",@progbits,_ZN9rocsparseL21csrmvt_general_kernelILj256ELj4EliaaiiEEvbbT2_NS_24const_host_device_scalarIT6_EEPKT1_S7_PKS1_PKT3_PKT4_PT5_21rocsparse_index_base_b,comdat
.Lfunc_end149:
	.size	_ZN9rocsparseL21csrmvt_general_kernelILj256ELj4EliaaiiEEvbbT2_NS_24const_host_device_scalarIT6_EEPKT1_S7_PKS1_PKT3_PKT4_PT5_21rocsparse_index_base_b, .Lfunc_end149-_ZN9rocsparseL21csrmvt_general_kernelILj256ELj4EliaaiiEEvbbT2_NS_24const_host_device_scalarIT6_EEPKT1_S7_PKS1_PKT3_PKT4_PT5_21rocsparse_index_base_b
                                        ; -- End function
	.section	.AMDGPU.csdata,"",@progbits
; Kernel info:
; codeLenInByte = 840
; NumSgprs: 32
; NumVgprs: 20
; NumAgprs: 0
; TotalNumVgprs: 20
; ScratchSize: 0
; MemoryBound: 0
; FloatMode: 240
; IeeeMode: 1
; LDSByteSize: 0 bytes/workgroup (compile time only)
; SGPRBlocks: 3
; VGPRBlocks: 2
; NumSGPRsForWavesPerEU: 32
; NumVGPRsForWavesPerEU: 20
; AccumOffset: 20
; Occupancy: 8
; WaveLimiterHint : 1
; COMPUTE_PGM_RSRC2:SCRATCH_EN: 0
; COMPUTE_PGM_RSRC2:USER_SGPR: 6
; COMPUTE_PGM_RSRC2:TRAP_HANDLER: 0
; COMPUTE_PGM_RSRC2:TGID_X_EN: 1
; COMPUTE_PGM_RSRC2:TGID_Y_EN: 0
; COMPUTE_PGM_RSRC2:TGID_Z_EN: 0
; COMPUTE_PGM_RSRC2:TIDIG_COMP_CNT: 0
; COMPUTE_PGM_RSRC3_GFX90A:ACCUM_OFFSET: 4
; COMPUTE_PGM_RSRC3_GFX90A:TG_SPLIT: 0
	.section	.text._ZN9rocsparseL21csrmvt_general_kernelILj256ELj8EliaaiiEEvbbT2_NS_24const_host_device_scalarIT6_EEPKT1_S7_PKS1_PKT3_PKT4_PT5_21rocsparse_index_base_b,"axG",@progbits,_ZN9rocsparseL21csrmvt_general_kernelILj256ELj8EliaaiiEEvbbT2_NS_24const_host_device_scalarIT6_EEPKT1_S7_PKS1_PKT3_PKT4_PT5_21rocsparse_index_base_b,comdat
	.globl	_ZN9rocsparseL21csrmvt_general_kernelILj256ELj8EliaaiiEEvbbT2_NS_24const_host_device_scalarIT6_EEPKT1_S7_PKS1_PKT3_PKT4_PT5_21rocsparse_index_base_b ; -- Begin function _ZN9rocsparseL21csrmvt_general_kernelILj256ELj8EliaaiiEEvbbT2_NS_24const_host_device_scalarIT6_EEPKT1_S7_PKS1_PKT3_PKT4_PT5_21rocsparse_index_base_b
	.p2align	8
	.type	_ZN9rocsparseL21csrmvt_general_kernelILj256ELj8EliaaiiEEvbbT2_NS_24const_host_device_scalarIT6_EEPKT1_S7_PKS1_PKT3_PKT4_PT5_21rocsparse_index_base_b,@function
_ZN9rocsparseL21csrmvt_general_kernelILj256ELj8EliaaiiEEvbbT2_NS_24const_host_device_scalarIT6_EEPKT1_S7_PKS1_PKT3_PKT4_PT5_21rocsparse_index_base_b: ; @_ZN9rocsparseL21csrmvt_general_kernelILj256ELj8EliaaiiEEvbbT2_NS_24const_host_device_scalarIT6_EEPKT1_S7_PKS1_PKT3_PKT4_PT5_21rocsparse_index_base_b
; %bb.0:
	s_load_dwordx2 s[20:21], s[4:5], 0x40
	s_load_dwordx4 s[16:19], s[4:5], 0x8
	s_waitcnt lgkmcnt(0)
	s_bitcmp0_b32 s21, 0
	s_cbranch_scc0 .LBB150_2
; %bb.1:
	s_load_dword s21, s[16:17], 0x0
	s_cbranch_execz .LBB150_3
	s_branch .LBB150_4
.LBB150_2:
                                        ; implicit-def: $sgpr21
.LBB150_3:
	s_waitcnt lgkmcnt(0)
	s_mov_b32 s21, s16
.LBB150_4:
	s_waitcnt lgkmcnt(0)
	s_cmp_eq_u32 s21, 0
	s_cbranch_scc1 .LBB150_22
; %bb.5:
	s_load_dwordx2 s[16:17], s[4:5], 0x0
	s_load_dword s0, s[4:5], 0x48
	s_load_dwordx2 s[22:23], s[4:5], 0x38
	s_load_dwordx8 s[8:15], s[4:5], 0x18
	v_and_b32_e32 v1, 7, v0
	v_lshl_or_b32 v0, s6, 8, v0
	s_waitcnt lgkmcnt(0)
	s_and_b32 s1, s16, 1
	s_lshl_b32 s16, s0, 5
	v_lshrrev_b32_e32 v0, 3, v0
	s_cmp_eq_u32 s1, 0
	v_cmp_gt_i32_e64 s[0:1], s17, v0
	s_mov_b64 s[2:3], -1
	s_cbranch_scc0 .LBB150_13
; %bb.6:
	s_and_saveexec_b64 s[4:5], s[0:1]
	s_cbranch_execz .LBB150_12
; %bb.7:
	s_mov_b32 s24, 0
	v_subrev_co_u32_e32 v10, vcc, s20, v1
	v_subb_co_u32_e64 v11, s[2:3], 0, 0, vcc
	s_mov_b64 s[6:7], 0
	v_mov_b32_e32 v12, s19
	v_mov_b32_e32 v13, s9
	v_mov_b32_e32 v14, s24
	v_mov_b32_e32 v2, v0
	s_branch .LBB150_9
.LBB150_8:                              ;   in Loop: Header=BB150_9 Depth=1
	s_or_b64 exec, exec, s[24:25]
	v_add_u32_e32 v2, s16, v2
	v_cmp_le_i32_e32 vcc, s17, v2
	s_or_b64 s[6:7], vcc, s[6:7]
	s_andn2_b64 exec, exec, s[6:7]
	s_cbranch_execz .LBB150_12
.LBB150_9:                              ; =>This Loop Header: Depth=1
                                        ;     Child Loop BB150_11 Depth 2
	v_ashrrev_i32_e32 v3, 31, v2
	v_lshlrev_b64 v[4:5], 3, v[2:3]
	v_add_co_u32_e32 v6, vcc, s8, v4
	v_addc_co_u32_e32 v7, vcc, v13, v5, vcc
	global_load_dwordx2 v[6:7], v[6:7], off
	v_add_co_u32_e32 v4, vcc, s18, v4
	v_addc_co_u32_e32 v5, vcc, v12, v5, vcc
	global_load_dwordx2 v[8:9], v[4:5], off
	s_waitcnt vmcnt(1)
	v_subrev_co_u32_e32 v4, vcc, s20, v6
	v_subb_co_u32_e32 v5, vcc, v7, v14, vcc
	s_waitcnt vmcnt(0)
	v_add_co_u32_e32 v6, vcc, v8, v10
	v_addc_co_u32_e32 v7, vcc, v9, v11, vcc
	v_cmp_lt_i64_e32 vcc, v[6:7], v[4:5]
	s_and_saveexec_b64 s[24:25], vcc
	s_cbranch_execz .LBB150_8
; %bb.10:                               ;   in Loop: Header=BB150_9 Depth=1
	v_mov_b32_e32 v9, s15
	v_add_co_u32_e32 v8, vcc, s14, v2
	v_addc_co_u32_e32 v9, vcc, v9, v3, vcc
	global_load_sbyte v3, v[8:9], off
	v_lshlrev_b64 v[8:9], 2, v[6:7]
	v_mov_b32_e32 v15, s11
	v_add_co_u32_e32 v8, vcc, s10, v8
	v_addc_co_u32_e32 v9, vcc, v15, v9, vcc
	s_mov_b64 s[26:27], 0
	s_waitcnt vmcnt(0)
	v_mul_lo_u32 v3, s21, v3
.LBB150_11:                             ;   Parent Loop BB150_9 Depth=1
                                        ; =>  This Inner Loop Header: Depth=2
	global_load_dword v15, v[8:9], off
	v_mov_b32_e32 v17, s13
	v_add_co_u32_e32 v16, vcc, s12, v6
	v_addc_co_u32_e32 v17, vcc, v17, v7, vcc
	global_load_sbyte v18, v[16:17], off
	v_mov_b32_e32 v19, s23
	v_add_co_u32_e64 v6, s[2:3], 8, v6
	v_addc_co_u32_e64 v7, s[2:3], 0, v7, s[2:3]
	v_cmp_ge_i64_e64 s[2:3], v[6:7], v[4:5]
	s_or_b64 s[26:27], s[2:3], s[26:27]
	s_waitcnt vmcnt(1)
	v_subrev_u32_e32 v16, s20, v15
	v_ashrrev_i32_e32 v17, 31, v16
	v_lshlrev_b64 v[16:17], 2, v[16:17]
	v_add_co_u32_e32 v16, vcc, s22, v16
	v_addc_co_u32_e32 v17, vcc, v19, v17, vcc
	s_waitcnt vmcnt(0)
	v_mul_lo_u32 v15, v3, v18
	global_atomic_add v[16:17], v15, off
	v_add_co_u32_e32 v8, vcc, 32, v8
	v_addc_co_u32_e32 v9, vcc, 0, v9, vcc
	s_andn2_b64 exec, exec, s[26:27]
	s_cbranch_execnz .LBB150_11
	s_branch .LBB150_8
.LBB150_12:
	s_or_b64 exec, exec, s[4:5]
	s_mov_b64 s[2:3], 0
.LBB150_13:
	s_andn2_b64 vcc, exec, s[2:3]
	s_cbranch_vccnz .LBB150_22
; %bb.14:
	s_and_saveexec_b64 s[2:3], s[0:1]
	s_cbranch_execz .LBB150_22
; %bb.15:
	v_subrev_co_u32_e32 v10, vcc, s20, v1
	s_mov_b32 s2, 0
	v_subb_co_u32_e64 v11, s[0:1], 0, 0, vcc
	s_mov_b64 s[0:1], 0
	v_mov_b32_e32 v12, s19
	v_mov_b32_e32 v13, s9
	;; [unrolled: 1-line block ×3, first 2 shown]
	s_branch .LBB150_17
.LBB150_16:                             ;   in Loop: Header=BB150_17 Depth=1
	s_or_b64 exec, exec, s[2:3]
	v_add_u32_e32 v0, s16, v0
	v_cmp_le_i32_e32 vcc, s17, v0
	s_or_b64 s[0:1], vcc, s[0:1]
	s_andn2_b64 exec, exec, s[0:1]
	s_cbranch_execz .LBB150_22
.LBB150_17:                             ; =>This Loop Header: Depth=1
                                        ;     Child Loop BB150_20 Depth 2
	v_ashrrev_i32_e32 v1, 31, v0
	v_lshlrev_b64 v[2:3], 3, v[0:1]
	v_add_co_u32_e32 v4, vcc, s8, v2
	v_addc_co_u32_e32 v5, vcc, v13, v3, vcc
	global_load_dwordx2 v[4:5], v[4:5], off
	v_add_co_u32_e32 v2, vcc, s18, v2
	v_addc_co_u32_e32 v3, vcc, v12, v3, vcc
	global_load_dwordx2 v[6:7], v[2:3], off
	s_waitcnt vmcnt(1)
	v_subrev_co_u32_e32 v2, vcc, s20, v4
	v_subb_co_u32_e32 v3, vcc, v5, v14, vcc
	s_waitcnt vmcnt(0)
	v_add_co_u32_e32 v4, vcc, v6, v10
	v_addc_co_u32_e32 v5, vcc, v7, v11, vcc
	v_cmp_lt_i64_e32 vcc, v[4:5], v[2:3]
	s_and_saveexec_b64 s[2:3], vcc
	s_cbranch_execz .LBB150_16
; %bb.18:                               ;   in Loop: Header=BB150_17 Depth=1
	v_mov_b32_e32 v7, s15
	v_add_co_u32_e32 v6, vcc, s14, v0
	v_addc_co_u32_e32 v7, vcc, v7, v1, vcc
	global_load_sbyte v1, v[6:7], off
	v_lshlrev_b64 v[6:7], 2, v[4:5]
	v_mov_b32_e32 v8, s11
	v_add_co_u32_e32 v6, vcc, s10, v6
	v_addc_co_u32_e32 v7, vcc, v8, v7, vcc
	s_mov_b64 s[4:5], 0
	s_waitcnt vmcnt(0)
	v_mul_lo_u32 v1, s21, v1
	s_branch .LBB150_20
.LBB150_19:                             ;   in Loop: Header=BB150_20 Depth=2
	s_or_b64 exec, exec, s[6:7]
	v_add_co_u32_e32 v4, vcc, 8, v4
	v_addc_co_u32_e32 v5, vcc, 0, v5, vcc
	v_cmp_ge_i64_e32 vcc, v[4:5], v[2:3]
	s_or_b64 s[4:5], vcc, s[4:5]
	v_add_co_u32_e32 v6, vcc, 32, v6
	v_addc_co_u32_e32 v7, vcc, 0, v7, vcc
	s_andn2_b64 exec, exec, s[4:5]
	s_cbranch_execz .LBB150_16
.LBB150_20:                             ;   Parent Loop BB150_17 Depth=1
                                        ; =>  This Inner Loop Header: Depth=2
	global_load_dword v8, v[6:7], off
	s_waitcnt vmcnt(0)
	v_subrev_u32_e32 v8, s20, v8
	v_cmp_ne_u32_e32 vcc, v8, v0
	s_and_saveexec_b64 s[6:7], vcc
	s_cbranch_execz .LBB150_19
; %bb.21:                               ;   in Loop: Header=BB150_20 Depth=2
	v_mov_b32_e32 v9, s13
	v_add_co_u32_e32 v16, vcc, s12, v4
	v_addc_co_u32_e32 v17, vcc, v9, v5, vcc
	global_load_sbyte v15, v[16:17], off
	v_ashrrev_i32_e32 v9, 31, v8
	v_lshlrev_b64 v[8:9], 2, v[8:9]
	v_mov_b32_e32 v16, s23
	v_add_co_u32_e32 v8, vcc, s22, v8
	v_addc_co_u32_e32 v9, vcc, v16, v9, vcc
	s_waitcnt vmcnt(0)
	v_mul_lo_u32 v15, v1, v15
	global_atomic_add v[8:9], v15, off
	s_branch .LBB150_19
.LBB150_22:
	s_endpgm
	.section	.rodata,"a",@progbits
	.p2align	6, 0x0
	.amdhsa_kernel _ZN9rocsparseL21csrmvt_general_kernelILj256ELj8EliaaiiEEvbbT2_NS_24const_host_device_scalarIT6_EEPKT1_S7_PKS1_PKT3_PKT4_PT5_21rocsparse_index_base_b
		.amdhsa_group_segment_fixed_size 0
		.amdhsa_private_segment_fixed_size 0
		.amdhsa_kernarg_size 328
		.amdhsa_user_sgpr_count 6
		.amdhsa_user_sgpr_private_segment_buffer 1
		.amdhsa_user_sgpr_dispatch_ptr 0
		.amdhsa_user_sgpr_queue_ptr 0
		.amdhsa_user_sgpr_kernarg_segment_ptr 1
		.amdhsa_user_sgpr_dispatch_id 0
		.amdhsa_user_sgpr_flat_scratch_init 0
		.amdhsa_user_sgpr_kernarg_preload_length 0
		.amdhsa_user_sgpr_kernarg_preload_offset 0
		.amdhsa_user_sgpr_private_segment_size 0
		.amdhsa_uses_dynamic_stack 0
		.amdhsa_system_sgpr_private_segment_wavefront_offset 0
		.amdhsa_system_sgpr_workgroup_id_x 1
		.amdhsa_system_sgpr_workgroup_id_y 0
		.amdhsa_system_sgpr_workgroup_id_z 0
		.amdhsa_system_sgpr_workgroup_info 0
		.amdhsa_system_vgpr_workitem_id 0
		.amdhsa_next_free_vgpr 20
		.amdhsa_next_free_sgpr 28
		.amdhsa_accum_offset 20
		.amdhsa_reserve_vcc 1
		.amdhsa_reserve_flat_scratch 0
		.amdhsa_float_round_mode_32 0
		.amdhsa_float_round_mode_16_64 0
		.amdhsa_float_denorm_mode_32 3
		.amdhsa_float_denorm_mode_16_64 3
		.amdhsa_dx10_clamp 1
		.amdhsa_ieee_mode 1
		.amdhsa_fp16_overflow 0
		.amdhsa_tg_split 0
		.amdhsa_exception_fp_ieee_invalid_op 0
		.amdhsa_exception_fp_denorm_src 0
		.amdhsa_exception_fp_ieee_div_zero 0
		.amdhsa_exception_fp_ieee_overflow 0
		.amdhsa_exception_fp_ieee_underflow 0
		.amdhsa_exception_fp_ieee_inexact 0
		.amdhsa_exception_int_div_zero 0
	.end_amdhsa_kernel
	.section	.text._ZN9rocsparseL21csrmvt_general_kernelILj256ELj8EliaaiiEEvbbT2_NS_24const_host_device_scalarIT6_EEPKT1_S7_PKS1_PKT3_PKT4_PT5_21rocsparse_index_base_b,"axG",@progbits,_ZN9rocsparseL21csrmvt_general_kernelILj256ELj8EliaaiiEEvbbT2_NS_24const_host_device_scalarIT6_EEPKT1_S7_PKS1_PKT3_PKT4_PT5_21rocsparse_index_base_b,comdat
.Lfunc_end150:
	.size	_ZN9rocsparseL21csrmvt_general_kernelILj256ELj8EliaaiiEEvbbT2_NS_24const_host_device_scalarIT6_EEPKT1_S7_PKS1_PKT3_PKT4_PT5_21rocsparse_index_base_b, .Lfunc_end150-_ZN9rocsparseL21csrmvt_general_kernelILj256ELj8EliaaiiEEvbbT2_NS_24const_host_device_scalarIT6_EEPKT1_S7_PKS1_PKT3_PKT4_PT5_21rocsparse_index_base_b
                                        ; -- End function
	.section	.AMDGPU.csdata,"",@progbits
; Kernel info:
; codeLenInByte = 840
; NumSgprs: 32
; NumVgprs: 20
; NumAgprs: 0
; TotalNumVgprs: 20
; ScratchSize: 0
; MemoryBound: 0
; FloatMode: 240
; IeeeMode: 1
; LDSByteSize: 0 bytes/workgroup (compile time only)
; SGPRBlocks: 3
; VGPRBlocks: 2
; NumSGPRsForWavesPerEU: 32
; NumVGPRsForWavesPerEU: 20
; AccumOffset: 20
; Occupancy: 8
; WaveLimiterHint : 1
; COMPUTE_PGM_RSRC2:SCRATCH_EN: 0
; COMPUTE_PGM_RSRC2:USER_SGPR: 6
; COMPUTE_PGM_RSRC2:TRAP_HANDLER: 0
; COMPUTE_PGM_RSRC2:TGID_X_EN: 1
; COMPUTE_PGM_RSRC2:TGID_Y_EN: 0
; COMPUTE_PGM_RSRC2:TGID_Z_EN: 0
; COMPUTE_PGM_RSRC2:TIDIG_COMP_CNT: 0
; COMPUTE_PGM_RSRC3_GFX90A:ACCUM_OFFSET: 4
; COMPUTE_PGM_RSRC3_GFX90A:TG_SPLIT: 0
	.section	.text._ZN9rocsparseL21csrmvt_general_kernelILj256ELj16EliaaiiEEvbbT2_NS_24const_host_device_scalarIT6_EEPKT1_S7_PKS1_PKT3_PKT4_PT5_21rocsparse_index_base_b,"axG",@progbits,_ZN9rocsparseL21csrmvt_general_kernelILj256ELj16EliaaiiEEvbbT2_NS_24const_host_device_scalarIT6_EEPKT1_S7_PKS1_PKT3_PKT4_PT5_21rocsparse_index_base_b,comdat
	.globl	_ZN9rocsparseL21csrmvt_general_kernelILj256ELj16EliaaiiEEvbbT2_NS_24const_host_device_scalarIT6_EEPKT1_S7_PKS1_PKT3_PKT4_PT5_21rocsparse_index_base_b ; -- Begin function _ZN9rocsparseL21csrmvt_general_kernelILj256ELj16EliaaiiEEvbbT2_NS_24const_host_device_scalarIT6_EEPKT1_S7_PKS1_PKT3_PKT4_PT5_21rocsparse_index_base_b
	.p2align	8
	.type	_ZN9rocsparseL21csrmvt_general_kernelILj256ELj16EliaaiiEEvbbT2_NS_24const_host_device_scalarIT6_EEPKT1_S7_PKS1_PKT3_PKT4_PT5_21rocsparse_index_base_b,@function
_ZN9rocsparseL21csrmvt_general_kernelILj256ELj16EliaaiiEEvbbT2_NS_24const_host_device_scalarIT6_EEPKT1_S7_PKS1_PKT3_PKT4_PT5_21rocsparse_index_base_b: ; @_ZN9rocsparseL21csrmvt_general_kernelILj256ELj16EliaaiiEEvbbT2_NS_24const_host_device_scalarIT6_EEPKT1_S7_PKS1_PKT3_PKT4_PT5_21rocsparse_index_base_b
; %bb.0:
	s_load_dwordx2 s[20:21], s[4:5], 0x40
	s_load_dwordx4 s[16:19], s[4:5], 0x8
	s_waitcnt lgkmcnt(0)
	s_bitcmp0_b32 s21, 0
	s_cbranch_scc0 .LBB151_2
; %bb.1:
	s_load_dword s21, s[16:17], 0x0
	s_cbranch_execz .LBB151_3
	s_branch .LBB151_4
.LBB151_2:
                                        ; implicit-def: $sgpr21
.LBB151_3:
	s_waitcnt lgkmcnt(0)
	s_mov_b32 s21, s16
.LBB151_4:
	s_waitcnt lgkmcnt(0)
	s_cmp_eq_u32 s21, 0
	s_cbranch_scc1 .LBB151_22
; %bb.5:
	s_load_dwordx2 s[16:17], s[4:5], 0x0
	s_load_dword s0, s[4:5], 0x48
	s_load_dwordx2 s[22:23], s[4:5], 0x38
	s_load_dwordx8 s[8:15], s[4:5], 0x18
	v_and_b32_e32 v1, 15, v0
	v_lshl_or_b32 v0, s6, 8, v0
	s_waitcnt lgkmcnt(0)
	s_and_b32 s1, s16, 1
	s_lshl_b32 s16, s0, 4
	v_lshrrev_b32_e32 v0, 4, v0
	s_cmp_eq_u32 s1, 0
	v_cmp_gt_i32_e64 s[0:1], s17, v0
	s_mov_b64 s[2:3], -1
	s_cbranch_scc0 .LBB151_13
; %bb.6:
	s_and_saveexec_b64 s[4:5], s[0:1]
	s_cbranch_execz .LBB151_12
; %bb.7:
	s_mov_b32 s24, 0
	v_subrev_co_u32_e32 v10, vcc, s20, v1
	v_subb_co_u32_e64 v11, s[2:3], 0, 0, vcc
	s_mov_b64 s[6:7], 0
	v_mov_b32_e32 v12, s19
	v_mov_b32_e32 v13, s9
	;; [unrolled: 1-line block ×4, first 2 shown]
	s_branch .LBB151_9
.LBB151_8:                              ;   in Loop: Header=BB151_9 Depth=1
	s_or_b64 exec, exec, s[24:25]
	v_add_u32_e32 v2, s16, v2
	v_cmp_le_i32_e32 vcc, s17, v2
	s_or_b64 s[6:7], vcc, s[6:7]
	s_andn2_b64 exec, exec, s[6:7]
	s_cbranch_execz .LBB151_12
.LBB151_9:                              ; =>This Loop Header: Depth=1
                                        ;     Child Loop BB151_11 Depth 2
	v_ashrrev_i32_e32 v3, 31, v2
	v_lshlrev_b64 v[4:5], 3, v[2:3]
	v_add_co_u32_e32 v6, vcc, s8, v4
	v_addc_co_u32_e32 v7, vcc, v13, v5, vcc
	global_load_dwordx2 v[6:7], v[6:7], off
	v_add_co_u32_e32 v4, vcc, s18, v4
	v_addc_co_u32_e32 v5, vcc, v12, v5, vcc
	global_load_dwordx2 v[8:9], v[4:5], off
	s_waitcnt vmcnt(1)
	v_subrev_co_u32_e32 v4, vcc, s20, v6
	v_subb_co_u32_e32 v5, vcc, v7, v14, vcc
	s_waitcnt vmcnt(0)
	v_add_co_u32_e32 v6, vcc, v8, v10
	v_addc_co_u32_e32 v7, vcc, v9, v11, vcc
	v_cmp_lt_i64_e32 vcc, v[6:7], v[4:5]
	s_and_saveexec_b64 s[24:25], vcc
	s_cbranch_execz .LBB151_8
; %bb.10:                               ;   in Loop: Header=BB151_9 Depth=1
	v_mov_b32_e32 v9, s15
	v_add_co_u32_e32 v8, vcc, s14, v2
	v_addc_co_u32_e32 v9, vcc, v9, v3, vcc
	global_load_sbyte v3, v[8:9], off
	v_lshlrev_b64 v[8:9], 2, v[6:7]
	v_mov_b32_e32 v15, s11
	v_add_co_u32_e32 v8, vcc, s10, v8
	v_addc_co_u32_e32 v9, vcc, v15, v9, vcc
	s_mov_b64 s[26:27], 0
	s_waitcnt vmcnt(0)
	v_mul_lo_u32 v3, s21, v3
.LBB151_11:                             ;   Parent Loop BB151_9 Depth=1
                                        ; =>  This Inner Loop Header: Depth=2
	global_load_dword v15, v[8:9], off
	v_mov_b32_e32 v17, s13
	v_add_co_u32_e32 v16, vcc, s12, v6
	v_addc_co_u32_e32 v17, vcc, v17, v7, vcc
	global_load_sbyte v18, v[16:17], off
	v_mov_b32_e32 v19, s23
	v_add_co_u32_e64 v6, s[2:3], 16, v6
	v_addc_co_u32_e64 v7, s[2:3], 0, v7, s[2:3]
	v_cmp_ge_i64_e64 s[2:3], v[6:7], v[4:5]
	s_or_b64 s[26:27], s[2:3], s[26:27]
	s_waitcnt vmcnt(1)
	v_subrev_u32_e32 v16, s20, v15
	v_ashrrev_i32_e32 v17, 31, v16
	v_lshlrev_b64 v[16:17], 2, v[16:17]
	v_add_co_u32_e32 v16, vcc, s22, v16
	v_addc_co_u32_e32 v17, vcc, v19, v17, vcc
	s_waitcnt vmcnt(0)
	v_mul_lo_u32 v15, v3, v18
	global_atomic_add v[16:17], v15, off
	v_add_co_u32_e32 v8, vcc, 64, v8
	v_addc_co_u32_e32 v9, vcc, 0, v9, vcc
	s_andn2_b64 exec, exec, s[26:27]
	s_cbranch_execnz .LBB151_11
	s_branch .LBB151_8
.LBB151_12:
	s_or_b64 exec, exec, s[4:5]
	s_mov_b64 s[2:3], 0
.LBB151_13:
	s_andn2_b64 vcc, exec, s[2:3]
	s_cbranch_vccnz .LBB151_22
; %bb.14:
	s_and_saveexec_b64 s[2:3], s[0:1]
	s_cbranch_execz .LBB151_22
; %bb.15:
	v_subrev_co_u32_e32 v10, vcc, s20, v1
	s_mov_b32 s2, 0
	v_subb_co_u32_e64 v11, s[0:1], 0, 0, vcc
	s_mov_b64 s[0:1], 0
	v_mov_b32_e32 v12, s19
	v_mov_b32_e32 v13, s9
	;; [unrolled: 1-line block ×3, first 2 shown]
	s_branch .LBB151_17
.LBB151_16:                             ;   in Loop: Header=BB151_17 Depth=1
	s_or_b64 exec, exec, s[2:3]
	v_add_u32_e32 v0, s16, v0
	v_cmp_le_i32_e32 vcc, s17, v0
	s_or_b64 s[0:1], vcc, s[0:1]
	s_andn2_b64 exec, exec, s[0:1]
	s_cbranch_execz .LBB151_22
.LBB151_17:                             ; =>This Loop Header: Depth=1
                                        ;     Child Loop BB151_20 Depth 2
	v_ashrrev_i32_e32 v1, 31, v0
	v_lshlrev_b64 v[2:3], 3, v[0:1]
	v_add_co_u32_e32 v4, vcc, s8, v2
	v_addc_co_u32_e32 v5, vcc, v13, v3, vcc
	global_load_dwordx2 v[4:5], v[4:5], off
	v_add_co_u32_e32 v2, vcc, s18, v2
	v_addc_co_u32_e32 v3, vcc, v12, v3, vcc
	global_load_dwordx2 v[6:7], v[2:3], off
	s_waitcnt vmcnt(1)
	v_subrev_co_u32_e32 v2, vcc, s20, v4
	v_subb_co_u32_e32 v3, vcc, v5, v14, vcc
	s_waitcnt vmcnt(0)
	v_add_co_u32_e32 v4, vcc, v6, v10
	v_addc_co_u32_e32 v5, vcc, v7, v11, vcc
	v_cmp_lt_i64_e32 vcc, v[4:5], v[2:3]
	s_and_saveexec_b64 s[2:3], vcc
	s_cbranch_execz .LBB151_16
; %bb.18:                               ;   in Loop: Header=BB151_17 Depth=1
	v_mov_b32_e32 v7, s15
	v_add_co_u32_e32 v6, vcc, s14, v0
	v_addc_co_u32_e32 v7, vcc, v7, v1, vcc
	global_load_sbyte v1, v[6:7], off
	v_lshlrev_b64 v[6:7], 2, v[4:5]
	v_mov_b32_e32 v8, s11
	v_add_co_u32_e32 v6, vcc, s10, v6
	v_addc_co_u32_e32 v7, vcc, v8, v7, vcc
	s_mov_b64 s[4:5], 0
	s_waitcnt vmcnt(0)
	v_mul_lo_u32 v1, s21, v1
	s_branch .LBB151_20
.LBB151_19:                             ;   in Loop: Header=BB151_20 Depth=2
	s_or_b64 exec, exec, s[6:7]
	v_add_co_u32_e32 v4, vcc, 16, v4
	v_addc_co_u32_e32 v5, vcc, 0, v5, vcc
	v_cmp_ge_i64_e32 vcc, v[4:5], v[2:3]
	s_or_b64 s[4:5], vcc, s[4:5]
	v_add_co_u32_e32 v6, vcc, 64, v6
	v_addc_co_u32_e32 v7, vcc, 0, v7, vcc
	s_andn2_b64 exec, exec, s[4:5]
	s_cbranch_execz .LBB151_16
.LBB151_20:                             ;   Parent Loop BB151_17 Depth=1
                                        ; =>  This Inner Loop Header: Depth=2
	global_load_dword v8, v[6:7], off
	s_waitcnt vmcnt(0)
	v_subrev_u32_e32 v8, s20, v8
	v_cmp_ne_u32_e32 vcc, v8, v0
	s_and_saveexec_b64 s[6:7], vcc
	s_cbranch_execz .LBB151_19
; %bb.21:                               ;   in Loop: Header=BB151_20 Depth=2
	v_mov_b32_e32 v9, s13
	v_add_co_u32_e32 v16, vcc, s12, v4
	v_addc_co_u32_e32 v17, vcc, v9, v5, vcc
	global_load_sbyte v15, v[16:17], off
	v_ashrrev_i32_e32 v9, 31, v8
	v_lshlrev_b64 v[8:9], 2, v[8:9]
	v_mov_b32_e32 v16, s23
	v_add_co_u32_e32 v8, vcc, s22, v8
	v_addc_co_u32_e32 v9, vcc, v16, v9, vcc
	s_waitcnt vmcnt(0)
	v_mul_lo_u32 v15, v1, v15
	global_atomic_add v[8:9], v15, off
	s_branch .LBB151_19
.LBB151_22:
	s_endpgm
	.section	.rodata,"a",@progbits
	.p2align	6, 0x0
	.amdhsa_kernel _ZN9rocsparseL21csrmvt_general_kernelILj256ELj16EliaaiiEEvbbT2_NS_24const_host_device_scalarIT6_EEPKT1_S7_PKS1_PKT3_PKT4_PT5_21rocsparse_index_base_b
		.amdhsa_group_segment_fixed_size 0
		.amdhsa_private_segment_fixed_size 0
		.amdhsa_kernarg_size 328
		.amdhsa_user_sgpr_count 6
		.amdhsa_user_sgpr_private_segment_buffer 1
		.amdhsa_user_sgpr_dispatch_ptr 0
		.amdhsa_user_sgpr_queue_ptr 0
		.amdhsa_user_sgpr_kernarg_segment_ptr 1
		.amdhsa_user_sgpr_dispatch_id 0
		.amdhsa_user_sgpr_flat_scratch_init 0
		.amdhsa_user_sgpr_kernarg_preload_length 0
		.amdhsa_user_sgpr_kernarg_preload_offset 0
		.amdhsa_user_sgpr_private_segment_size 0
		.amdhsa_uses_dynamic_stack 0
		.amdhsa_system_sgpr_private_segment_wavefront_offset 0
		.amdhsa_system_sgpr_workgroup_id_x 1
		.amdhsa_system_sgpr_workgroup_id_y 0
		.amdhsa_system_sgpr_workgroup_id_z 0
		.amdhsa_system_sgpr_workgroup_info 0
		.amdhsa_system_vgpr_workitem_id 0
		.amdhsa_next_free_vgpr 20
		.amdhsa_next_free_sgpr 28
		.amdhsa_accum_offset 20
		.amdhsa_reserve_vcc 1
		.amdhsa_reserve_flat_scratch 0
		.amdhsa_float_round_mode_32 0
		.amdhsa_float_round_mode_16_64 0
		.amdhsa_float_denorm_mode_32 3
		.amdhsa_float_denorm_mode_16_64 3
		.amdhsa_dx10_clamp 1
		.amdhsa_ieee_mode 1
		.amdhsa_fp16_overflow 0
		.amdhsa_tg_split 0
		.amdhsa_exception_fp_ieee_invalid_op 0
		.amdhsa_exception_fp_denorm_src 0
		.amdhsa_exception_fp_ieee_div_zero 0
		.amdhsa_exception_fp_ieee_overflow 0
		.amdhsa_exception_fp_ieee_underflow 0
		.amdhsa_exception_fp_ieee_inexact 0
		.amdhsa_exception_int_div_zero 0
	.end_amdhsa_kernel
	.section	.text._ZN9rocsparseL21csrmvt_general_kernelILj256ELj16EliaaiiEEvbbT2_NS_24const_host_device_scalarIT6_EEPKT1_S7_PKS1_PKT3_PKT4_PT5_21rocsparse_index_base_b,"axG",@progbits,_ZN9rocsparseL21csrmvt_general_kernelILj256ELj16EliaaiiEEvbbT2_NS_24const_host_device_scalarIT6_EEPKT1_S7_PKS1_PKT3_PKT4_PT5_21rocsparse_index_base_b,comdat
.Lfunc_end151:
	.size	_ZN9rocsparseL21csrmvt_general_kernelILj256ELj16EliaaiiEEvbbT2_NS_24const_host_device_scalarIT6_EEPKT1_S7_PKS1_PKT3_PKT4_PT5_21rocsparse_index_base_b, .Lfunc_end151-_ZN9rocsparseL21csrmvt_general_kernelILj256ELj16EliaaiiEEvbbT2_NS_24const_host_device_scalarIT6_EEPKT1_S7_PKS1_PKT3_PKT4_PT5_21rocsparse_index_base_b
                                        ; -- End function
	.section	.AMDGPU.csdata,"",@progbits
; Kernel info:
; codeLenInByte = 840
; NumSgprs: 32
; NumVgprs: 20
; NumAgprs: 0
; TotalNumVgprs: 20
; ScratchSize: 0
; MemoryBound: 0
; FloatMode: 240
; IeeeMode: 1
; LDSByteSize: 0 bytes/workgroup (compile time only)
; SGPRBlocks: 3
; VGPRBlocks: 2
; NumSGPRsForWavesPerEU: 32
; NumVGPRsForWavesPerEU: 20
; AccumOffset: 20
; Occupancy: 8
; WaveLimiterHint : 1
; COMPUTE_PGM_RSRC2:SCRATCH_EN: 0
; COMPUTE_PGM_RSRC2:USER_SGPR: 6
; COMPUTE_PGM_RSRC2:TRAP_HANDLER: 0
; COMPUTE_PGM_RSRC2:TGID_X_EN: 1
; COMPUTE_PGM_RSRC2:TGID_Y_EN: 0
; COMPUTE_PGM_RSRC2:TGID_Z_EN: 0
; COMPUTE_PGM_RSRC2:TIDIG_COMP_CNT: 0
; COMPUTE_PGM_RSRC3_GFX90A:ACCUM_OFFSET: 4
; COMPUTE_PGM_RSRC3_GFX90A:TG_SPLIT: 0
	.section	.text._ZN9rocsparseL21csrmvt_general_kernelILj256ELj32EliaaiiEEvbbT2_NS_24const_host_device_scalarIT6_EEPKT1_S7_PKS1_PKT3_PKT4_PT5_21rocsparse_index_base_b,"axG",@progbits,_ZN9rocsparseL21csrmvt_general_kernelILj256ELj32EliaaiiEEvbbT2_NS_24const_host_device_scalarIT6_EEPKT1_S7_PKS1_PKT3_PKT4_PT5_21rocsparse_index_base_b,comdat
	.globl	_ZN9rocsparseL21csrmvt_general_kernelILj256ELj32EliaaiiEEvbbT2_NS_24const_host_device_scalarIT6_EEPKT1_S7_PKS1_PKT3_PKT4_PT5_21rocsparse_index_base_b ; -- Begin function _ZN9rocsparseL21csrmvt_general_kernelILj256ELj32EliaaiiEEvbbT2_NS_24const_host_device_scalarIT6_EEPKT1_S7_PKS1_PKT3_PKT4_PT5_21rocsparse_index_base_b
	.p2align	8
	.type	_ZN9rocsparseL21csrmvt_general_kernelILj256ELj32EliaaiiEEvbbT2_NS_24const_host_device_scalarIT6_EEPKT1_S7_PKS1_PKT3_PKT4_PT5_21rocsparse_index_base_b,@function
_ZN9rocsparseL21csrmvt_general_kernelILj256ELj32EliaaiiEEvbbT2_NS_24const_host_device_scalarIT6_EEPKT1_S7_PKS1_PKT3_PKT4_PT5_21rocsparse_index_base_b: ; @_ZN9rocsparseL21csrmvt_general_kernelILj256ELj32EliaaiiEEvbbT2_NS_24const_host_device_scalarIT6_EEPKT1_S7_PKS1_PKT3_PKT4_PT5_21rocsparse_index_base_b
; %bb.0:
	s_load_dwordx2 s[20:21], s[4:5], 0x40
	s_load_dwordx4 s[16:19], s[4:5], 0x8
	s_waitcnt lgkmcnt(0)
	s_bitcmp0_b32 s21, 0
	s_cbranch_scc0 .LBB152_2
; %bb.1:
	s_load_dword s21, s[16:17], 0x0
	s_cbranch_execz .LBB152_3
	s_branch .LBB152_4
.LBB152_2:
                                        ; implicit-def: $sgpr21
.LBB152_3:
	s_waitcnt lgkmcnt(0)
	s_mov_b32 s21, s16
.LBB152_4:
	s_waitcnt lgkmcnt(0)
	s_cmp_eq_u32 s21, 0
	s_cbranch_scc1 .LBB152_22
; %bb.5:
	s_load_dwordx2 s[16:17], s[4:5], 0x0
	s_load_dword s0, s[4:5], 0x48
	s_load_dwordx2 s[22:23], s[4:5], 0x38
	s_load_dwordx8 s[8:15], s[4:5], 0x18
	v_and_b32_e32 v1, 31, v0
	v_lshl_or_b32 v0, s6, 8, v0
	s_waitcnt lgkmcnt(0)
	s_and_b32 s1, s16, 1
	s_lshl_b32 s16, s0, 3
	v_lshrrev_b32_e32 v0, 5, v0
	s_cmp_eq_u32 s1, 0
	v_cmp_gt_i32_e64 s[0:1], s17, v0
	s_mov_b64 s[2:3], -1
	s_cbranch_scc0 .LBB152_13
; %bb.6:
	s_and_saveexec_b64 s[4:5], s[0:1]
	s_cbranch_execz .LBB152_12
; %bb.7:
	s_mov_b32 s24, 0
	v_subrev_co_u32_e32 v10, vcc, s20, v1
	v_subb_co_u32_e64 v11, s[2:3], 0, 0, vcc
	s_mov_b64 s[6:7], 0
	v_mov_b32_e32 v12, s19
	v_mov_b32_e32 v13, s9
	;; [unrolled: 1-line block ×4, first 2 shown]
	s_branch .LBB152_9
.LBB152_8:                              ;   in Loop: Header=BB152_9 Depth=1
	s_or_b64 exec, exec, s[24:25]
	v_add_u32_e32 v2, s16, v2
	v_cmp_le_i32_e32 vcc, s17, v2
	s_or_b64 s[6:7], vcc, s[6:7]
	s_andn2_b64 exec, exec, s[6:7]
	s_cbranch_execz .LBB152_12
.LBB152_9:                              ; =>This Loop Header: Depth=1
                                        ;     Child Loop BB152_11 Depth 2
	v_ashrrev_i32_e32 v3, 31, v2
	v_lshlrev_b64 v[4:5], 3, v[2:3]
	v_add_co_u32_e32 v6, vcc, s8, v4
	v_addc_co_u32_e32 v7, vcc, v13, v5, vcc
	global_load_dwordx2 v[6:7], v[6:7], off
	v_add_co_u32_e32 v4, vcc, s18, v4
	v_addc_co_u32_e32 v5, vcc, v12, v5, vcc
	global_load_dwordx2 v[8:9], v[4:5], off
	s_waitcnt vmcnt(1)
	v_subrev_co_u32_e32 v4, vcc, s20, v6
	v_subb_co_u32_e32 v5, vcc, v7, v14, vcc
	s_waitcnt vmcnt(0)
	v_add_co_u32_e32 v6, vcc, v8, v10
	v_addc_co_u32_e32 v7, vcc, v9, v11, vcc
	v_cmp_lt_i64_e32 vcc, v[6:7], v[4:5]
	s_and_saveexec_b64 s[24:25], vcc
	s_cbranch_execz .LBB152_8
; %bb.10:                               ;   in Loop: Header=BB152_9 Depth=1
	v_mov_b32_e32 v9, s15
	v_add_co_u32_e32 v8, vcc, s14, v2
	v_addc_co_u32_e32 v9, vcc, v9, v3, vcc
	global_load_sbyte v3, v[8:9], off
	v_lshlrev_b64 v[8:9], 2, v[6:7]
	v_mov_b32_e32 v15, s11
	v_add_co_u32_e32 v8, vcc, s10, v8
	v_addc_co_u32_e32 v9, vcc, v15, v9, vcc
	s_mov_b64 s[26:27], 0
	s_waitcnt vmcnt(0)
	v_mul_lo_u32 v3, s21, v3
.LBB152_11:                             ;   Parent Loop BB152_9 Depth=1
                                        ; =>  This Inner Loop Header: Depth=2
	global_load_dword v15, v[8:9], off
	v_mov_b32_e32 v17, s13
	v_add_co_u32_e32 v16, vcc, s12, v6
	v_addc_co_u32_e32 v17, vcc, v17, v7, vcc
	global_load_sbyte v18, v[16:17], off
	v_mov_b32_e32 v19, s23
	v_add_co_u32_e64 v6, s[2:3], 32, v6
	v_addc_co_u32_e64 v7, s[2:3], 0, v7, s[2:3]
	v_cmp_ge_i64_e64 s[2:3], v[6:7], v[4:5]
	s_or_b64 s[26:27], s[2:3], s[26:27]
	s_waitcnt vmcnt(1)
	v_subrev_u32_e32 v16, s20, v15
	v_ashrrev_i32_e32 v17, 31, v16
	v_lshlrev_b64 v[16:17], 2, v[16:17]
	v_add_co_u32_e32 v16, vcc, s22, v16
	v_addc_co_u32_e32 v17, vcc, v19, v17, vcc
	s_waitcnt vmcnt(0)
	v_mul_lo_u32 v15, v3, v18
	global_atomic_add v[16:17], v15, off
	v_add_co_u32_e32 v8, vcc, 0x80, v8
	v_addc_co_u32_e32 v9, vcc, 0, v9, vcc
	s_andn2_b64 exec, exec, s[26:27]
	s_cbranch_execnz .LBB152_11
	s_branch .LBB152_8
.LBB152_12:
	s_or_b64 exec, exec, s[4:5]
	s_mov_b64 s[2:3], 0
.LBB152_13:
	s_andn2_b64 vcc, exec, s[2:3]
	s_cbranch_vccnz .LBB152_22
; %bb.14:
	s_and_saveexec_b64 s[2:3], s[0:1]
	s_cbranch_execz .LBB152_22
; %bb.15:
	s_mov_b32 s4, 0
	v_subrev_co_u32_e32 v10, vcc, s20, v1
	v_subb_co_u32_e64 v11, s[0:1], 0, 0, vcc
	s_mov_b64 s[2:3], 0
	v_mov_b32_e32 v12, s19
	v_mov_b32_e32 v13, s9
	;; [unrolled: 1-line block ×3, first 2 shown]
	s_branch .LBB152_17
.LBB152_16:                             ;   in Loop: Header=BB152_17 Depth=1
	s_or_b64 exec, exec, s[4:5]
	v_add_u32_e32 v0, s16, v0
	v_cmp_le_i32_e32 vcc, s17, v0
	s_or_b64 s[2:3], vcc, s[2:3]
	s_andn2_b64 exec, exec, s[2:3]
	s_cbranch_execz .LBB152_22
.LBB152_17:                             ; =>This Loop Header: Depth=1
                                        ;     Child Loop BB152_20 Depth 2
	v_ashrrev_i32_e32 v1, 31, v0
	v_lshlrev_b64 v[2:3], 3, v[0:1]
	v_add_co_u32_e32 v4, vcc, s8, v2
	v_addc_co_u32_e32 v5, vcc, v13, v3, vcc
	global_load_dwordx2 v[4:5], v[4:5], off
	v_add_co_u32_e32 v2, vcc, s18, v2
	v_addc_co_u32_e32 v3, vcc, v12, v3, vcc
	global_load_dwordx2 v[6:7], v[2:3], off
	s_waitcnt vmcnt(1)
	v_subrev_co_u32_e32 v2, vcc, s20, v4
	v_subb_co_u32_e32 v3, vcc, v5, v14, vcc
	s_waitcnt vmcnt(0)
	v_add_co_u32_e32 v4, vcc, v6, v10
	v_addc_co_u32_e32 v5, vcc, v7, v11, vcc
	v_cmp_lt_i64_e32 vcc, v[4:5], v[2:3]
	s_and_saveexec_b64 s[4:5], vcc
	s_cbranch_execz .LBB152_16
; %bb.18:                               ;   in Loop: Header=BB152_17 Depth=1
	v_mov_b32_e32 v7, s15
	v_add_co_u32_e32 v6, vcc, s14, v0
	v_addc_co_u32_e32 v7, vcc, v7, v1, vcc
	global_load_sbyte v1, v[6:7], off
	v_lshlrev_b64 v[6:7], 2, v[4:5]
	v_mov_b32_e32 v8, s11
	v_add_co_u32_e32 v6, vcc, s10, v6
	v_addc_co_u32_e32 v7, vcc, v8, v7, vcc
	s_mov_b64 s[6:7], 0
	s_waitcnt vmcnt(0)
	v_mul_lo_u32 v1, s21, v1
	s_branch .LBB152_20
.LBB152_19:                             ;   in Loop: Header=BB152_20 Depth=2
	s_or_b64 exec, exec, s[0:1]
	v_add_co_u32_e32 v4, vcc, 32, v4
	v_addc_co_u32_e32 v5, vcc, 0, v5, vcc
	v_add_co_u32_e32 v6, vcc, 0x80, v6
	v_cmp_ge_i64_e64 s[0:1], v[4:5], v[2:3]
	s_or_b64 s[6:7], s[0:1], s[6:7]
	v_addc_co_u32_e32 v7, vcc, 0, v7, vcc
	s_andn2_b64 exec, exec, s[6:7]
	s_cbranch_execz .LBB152_16
.LBB152_20:                             ;   Parent Loop BB152_17 Depth=1
                                        ; =>  This Inner Loop Header: Depth=2
	global_load_dword v8, v[6:7], off
	s_waitcnt vmcnt(0)
	v_subrev_u32_e32 v8, s20, v8
	v_cmp_ne_u32_e32 vcc, v8, v0
	s_and_saveexec_b64 s[0:1], vcc
	s_cbranch_execz .LBB152_19
; %bb.21:                               ;   in Loop: Header=BB152_20 Depth=2
	v_mov_b32_e32 v9, s13
	v_add_co_u32_e32 v16, vcc, s12, v4
	v_addc_co_u32_e32 v17, vcc, v9, v5, vcc
	global_load_sbyte v15, v[16:17], off
	v_ashrrev_i32_e32 v9, 31, v8
	v_lshlrev_b64 v[8:9], 2, v[8:9]
	v_mov_b32_e32 v16, s23
	v_add_co_u32_e32 v8, vcc, s22, v8
	v_addc_co_u32_e32 v9, vcc, v16, v9, vcc
	s_waitcnt vmcnt(0)
	v_mul_lo_u32 v15, v1, v15
	global_atomic_add v[8:9], v15, off
	s_branch .LBB152_19
.LBB152_22:
	s_endpgm
	.section	.rodata,"a",@progbits
	.p2align	6, 0x0
	.amdhsa_kernel _ZN9rocsparseL21csrmvt_general_kernelILj256ELj32EliaaiiEEvbbT2_NS_24const_host_device_scalarIT6_EEPKT1_S7_PKS1_PKT3_PKT4_PT5_21rocsparse_index_base_b
		.amdhsa_group_segment_fixed_size 0
		.amdhsa_private_segment_fixed_size 0
		.amdhsa_kernarg_size 328
		.amdhsa_user_sgpr_count 6
		.amdhsa_user_sgpr_private_segment_buffer 1
		.amdhsa_user_sgpr_dispatch_ptr 0
		.amdhsa_user_sgpr_queue_ptr 0
		.amdhsa_user_sgpr_kernarg_segment_ptr 1
		.amdhsa_user_sgpr_dispatch_id 0
		.amdhsa_user_sgpr_flat_scratch_init 0
		.amdhsa_user_sgpr_kernarg_preload_length 0
		.amdhsa_user_sgpr_kernarg_preload_offset 0
		.amdhsa_user_sgpr_private_segment_size 0
		.amdhsa_uses_dynamic_stack 0
		.amdhsa_system_sgpr_private_segment_wavefront_offset 0
		.amdhsa_system_sgpr_workgroup_id_x 1
		.amdhsa_system_sgpr_workgroup_id_y 0
		.amdhsa_system_sgpr_workgroup_id_z 0
		.amdhsa_system_sgpr_workgroup_info 0
		.amdhsa_system_vgpr_workitem_id 0
		.amdhsa_next_free_vgpr 20
		.amdhsa_next_free_sgpr 28
		.amdhsa_accum_offset 20
		.amdhsa_reserve_vcc 1
		.amdhsa_reserve_flat_scratch 0
		.amdhsa_float_round_mode_32 0
		.amdhsa_float_round_mode_16_64 0
		.amdhsa_float_denorm_mode_32 3
		.amdhsa_float_denorm_mode_16_64 3
		.amdhsa_dx10_clamp 1
		.amdhsa_ieee_mode 1
		.amdhsa_fp16_overflow 0
		.amdhsa_tg_split 0
		.amdhsa_exception_fp_ieee_invalid_op 0
		.amdhsa_exception_fp_denorm_src 0
		.amdhsa_exception_fp_ieee_div_zero 0
		.amdhsa_exception_fp_ieee_overflow 0
		.amdhsa_exception_fp_ieee_underflow 0
		.amdhsa_exception_fp_ieee_inexact 0
		.amdhsa_exception_int_div_zero 0
	.end_amdhsa_kernel
	.section	.text._ZN9rocsparseL21csrmvt_general_kernelILj256ELj32EliaaiiEEvbbT2_NS_24const_host_device_scalarIT6_EEPKT1_S7_PKS1_PKT3_PKT4_PT5_21rocsparse_index_base_b,"axG",@progbits,_ZN9rocsparseL21csrmvt_general_kernelILj256ELj32EliaaiiEEvbbT2_NS_24const_host_device_scalarIT6_EEPKT1_S7_PKS1_PKT3_PKT4_PT5_21rocsparse_index_base_b,comdat
.Lfunc_end152:
	.size	_ZN9rocsparseL21csrmvt_general_kernelILj256ELj32EliaaiiEEvbbT2_NS_24const_host_device_scalarIT6_EEPKT1_S7_PKS1_PKT3_PKT4_PT5_21rocsparse_index_base_b, .Lfunc_end152-_ZN9rocsparseL21csrmvt_general_kernelILj256ELj32EliaaiiEEvbbT2_NS_24const_host_device_scalarIT6_EEPKT1_S7_PKS1_PKT3_PKT4_PT5_21rocsparse_index_base_b
                                        ; -- End function
	.section	.AMDGPU.csdata,"",@progbits
; Kernel info:
; codeLenInByte = 852
; NumSgprs: 32
; NumVgprs: 20
; NumAgprs: 0
; TotalNumVgprs: 20
; ScratchSize: 0
; MemoryBound: 0
; FloatMode: 240
; IeeeMode: 1
; LDSByteSize: 0 bytes/workgroup (compile time only)
; SGPRBlocks: 3
; VGPRBlocks: 2
; NumSGPRsForWavesPerEU: 32
; NumVGPRsForWavesPerEU: 20
; AccumOffset: 20
; Occupancy: 8
; WaveLimiterHint : 1
; COMPUTE_PGM_RSRC2:SCRATCH_EN: 0
; COMPUTE_PGM_RSRC2:USER_SGPR: 6
; COMPUTE_PGM_RSRC2:TRAP_HANDLER: 0
; COMPUTE_PGM_RSRC2:TGID_X_EN: 1
; COMPUTE_PGM_RSRC2:TGID_Y_EN: 0
; COMPUTE_PGM_RSRC2:TGID_Z_EN: 0
; COMPUTE_PGM_RSRC2:TIDIG_COMP_CNT: 0
; COMPUTE_PGM_RSRC3_GFX90A:ACCUM_OFFSET: 4
; COMPUTE_PGM_RSRC3_GFX90A:TG_SPLIT: 0
	.section	.text._ZN9rocsparseL21csrmvt_general_kernelILj256ELj64EliaaiiEEvbbT2_NS_24const_host_device_scalarIT6_EEPKT1_S7_PKS1_PKT3_PKT4_PT5_21rocsparse_index_base_b,"axG",@progbits,_ZN9rocsparseL21csrmvt_general_kernelILj256ELj64EliaaiiEEvbbT2_NS_24const_host_device_scalarIT6_EEPKT1_S7_PKS1_PKT3_PKT4_PT5_21rocsparse_index_base_b,comdat
	.globl	_ZN9rocsparseL21csrmvt_general_kernelILj256ELj64EliaaiiEEvbbT2_NS_24const_host_device_scalarIT6_EEPKT1_S7_PKS1_PKT3_PKT4_PT5_21rocsparse_index_base_b ; -- Begin function _ZN9rocsparseL21csrmvt_general_kernelILj256ELj64EliaaiiEEvbbT2_NS_24const_host_device_scalarIT6_EEPKT1_S7_PKS1_PKT3_PKT4_PT5_21rocsparse_index_base_b
	.p2align	8
	.type	_ZN9rocsparseL21csrmvt_general_kernelILj256ELj64EliaaiiEEvbbT2_NS_24const_host_device_scalarIT6_EEPKT1_S7_PKS1_PKT3_PKT4_PT5_21rocsparse_index_base_b,@function
_ZN9rocsparseL21csrmvt_general_kernelILj256ELj64EliaaiiEEvbbT2_NS_24const_host_device_scalarIT6_EEPKT1_S7_PKS1_PKT3_PKT4_PT5_21rocsparse_index_base_b: ; @_ZN9rocsparseL21csrmvt_general_kernelILj256ELj64EliaaiiEEvbbT2_NS_24const_host_device_scalarIT6_EEPKT1_S7_PKS1_PKT3_PKT4_PT5_21rocsparse_index_base_b
; %bb.0:
	s_load_dwordx2 s[20:21], s[4:5], 0x40
	s_load_dwordx4 s[16:19], s[4:5], 0x8
	s_waitcnt lgkmcnt(0)
	s_bitcmp0_b32 s21, 0
	s_cbranch_scc0 .LBB153_2
; %bb.1:
	s_load_dword s21, s[16:17], 0x0
	s_cbranch_execz .LBB153_3
	s_branch .LBB153_4
.LBB153_2:
                                        ; implicit-def: $sgpr21
.LBB153_3:
	s_waitcnt lgkmcnt(0)
	s_mov_b32 s21, s16
.LBB153_4:
	s_waitcnt lgkmcnt(0)
	s_cmp_eq_u32 s21, 0
	s_cbranch_scc1 .LBB153_22
; %bb.5:
	s_load_dwordx2 s[16:17], s[4:5], 0x0
	s_load_dword s0, s[4:5], 0x48
	s_load_dwordx2 s[22:23], s[4:5], 0x38
	s_load_dwordx8 s[8:15], s[4:5], 0x18
	v_and_b32_e32 v1, 63, v0
	v_lshl_or_b32 v0, s6, 8, v0
	s_waitcnt lgkmcnt(0)
	s_and_b32 s1, s16, 1
	s_lshl_b32 s16, s0, 2
	v_lshrrev_b32_e32 v0, 6, v0
	s_cmp_eq_u32 s1, 0
	v_cmp_gt_i32_e64 s[0:1], s17, v0
	s_mov_b64 s[2:3], -1
	s_cbranch_scc0 .LBB153_13
; %bb.6:
	s_and_saveexec_b64 s[4:5], s[0:1]
	s_cbranch_execz .LBB153_12
; %bb.7:
	s_mov_b32 s24, 0
	v_subrev_co_u32_e32 v10, vcc, s20, v1
	v_subb_co_u32_e64 v11, s[2:3], 0, 0, vcc
	s_mov_b64 s[6:7], 0
	v_mov_b32_e32 v12, s19
	v_mov_b32_e32 v13, s9
	;; [unrolled: 1-line block ×4, first 2 shown]
	s_branch .LBB153_9
.LBB153_8:                              ;   in Loop: Header=BB153_9 Depth=1
	s_or_b64 exec, exec, s[24:25]
	v_add_u32_e32 v2, s16, v2
	v_cmp_le_i32_e32 vcc, s17, v2
	s_or_b64 s[6:7], vcc, s[6:7]
	s_andn2_b64 exec, exec, s[6:7]
	s_cbranch_execz .LBB153_12
.LBB153_9:                              ; =>This Loop Header: Depth=1
                                        ;     Child Loop BB153_11 Depth 2
	v_ashrrev_i32_e32 v3, 31, v2
	v_lshlrev_b64 v[4:5], 3, v[2:3]
	v_add_co_u32_e32 v6, vcc, s8, v4
	v_addc_co_u32_e32 v7, vcc, v13, v5, vcc
	global_load_dwordx2 v[6:7], v[6:7], off
	v_add_co_u32_e32 v4, vcc, s18, v4
	v_addc_co_u32_e32 v5, vcc, v12, v5, vcc
	global_load_dwordx2 v[8:9], v[4:5], off
	s_waitcnt vmcnt(1)
	v_subrev_co_u32_e32 v4, vcc, s20, v6
	v_subb_co_u32_e32 v5, vcc, v7, v14, vcc
	s_waitcnt vmcnt(0)
	v_add_co_u32_e32 v6, vcc, v8, v10
	v_addc_co_u32_e32 v7, vcc, v9, v11, vcc
	v_cmp_lt_i64_e32 vcc, v[6:7], v[4:5]
	s_and_saveexec_b64 s[24:25], vcc
	s_cbranch_execz .LBB153_8
; %bb.10:                               ;   in Loop: Header=BB153_9 Depth=1
	v_mov_b32_e32 v9, s15
	v_add_co_u32_e32 v8, vcc, s14, v2
	v_addc_co_u32_e32 v9, vcc, v9, v3, vcc
	global_load_sbyte v3, v[8:9], off
	v_lshlrev_b64 v[8:9], 2, v[6:7]
	v_mov_b32_e32 v15, s11
	v_add_co_u32_e32 v8, vcc, s10, v8
	v_addc_co_u32_e32 v9, vcc, v15, v9, vcc
	s_mov_b64 s[26:27], 0
	s_waitcnt vmcnt(0)
	v_mul_lo_u32 v3, s21, v3
.LBB153_11:                             ;   Parent Loop BB153_9 Depth=1
                                        ; =>  This Inner Loop Header: Depth=2
	global_load_dword v15, v[8:9], off
	v_mov_b32_e32 v17, s13
	v_add_co_u32_e32 v16, vcc, s12, v6
	v_addc_co_u32_e32 v17, vcc, v17, v7, vcc
	global_load_sbyte v18, v[16:17], off
	v_mov_b32_e32 v19, s23
	v_add_co_u32_e64 v6, s[2:3], 64, v6
	v_addc_co_u32_e64 v7, s[2:3], 0, v7, s[2:3]
	v_cmp_ge_i64_e64 s[2:3], v[6:7], v[4:5]
	s_or_b64 s[26:27], s[2:3], s[26:27]
	s_waitcnt vmcnt(1)
	v_subrev_u32_e32 v16, s20, v15
	v_ashrrev_i32_e32 v17, 31, v16
	v_lshlrev_b64 v[16:17], 2, v[16:17]
	v_add_co_u32_e32 v16, vcc, s22, v16
	v_addc_co_u32_e32 v17, vcc, v19, v17, vcc
	s_waitcnt vmcnt(0)
	v_mul_lo_u32 v15, v3, v18
	global_atomic_add v[16:17], v15, off
	v_add_co_u32_e32 v8, vcc, 0x100, v8
	v_addc_co_u32_e32 v9, vcc, 0, v9, vcc
	s_andn2_b64 exec, exec, s[26:27]
	s_cbranch_execnz .LBB153_11
	s_branch .LBB153_8
.LBB153_12:
	s_or_b64 exec, exec, s[4:5]
	s_mov_b64 s[2:3], 0
.LBB153_13:
	s_andn2_b64 vcc, exec, s[2:3]
	s_cbranch_vccnz .LBB153_22
; %bb.14:
	s_and_saveexec_b64 s[2:3], s[0:1]
	s_cbranch_execz .LBB153_22
; %bb.15:
	s_mov_b32 s4, 0
	v_subrev_co_u32_e32 v10, vcc, s20, v1
	v_subb_co_u32_e64 v11, s[0:1], 0, 0, vcc
	s_mov_b64 s[2:3], 0
	v_mov_b32_e32 v12, s19
	v_mov_b32_e32 v13, s9
	;; [unrolled: 1-line block ×3, first 2 shown]
	s_branch .LBB153_17
.LBB153_16:                             ;   in Loop: Header=BB153_17 Depth=1
	s_or_b64 exec, exec, s[4:5]
	v_add_u32_e32 v0, s16, v0
	v_cmp_le_i32_e32 vcc, s17, v0
	s_or_b64 s[2:3], vcc, s[2:3]
	s_andn2_b64 exec, exec, s[2:3]
	s_cbranch_execz .LBB153_22
.LBB153_17:                             ; =>This Loop Header: Depth=1
                                        ;     Child Loop BB153_20 Depth 2
	v_ashrrev_i32_e32 v1, 31, v0
	v_lshlrev_b64 v[2:3], 3, v[0:1]
	v_add_co_u32_e32 v4, vcc, s8, v2
	v_addc_co_u32_e32 v5, vcc, v13, v3, vcc
	global_load_dwordx2 v[4:5], v[4:5], off
	v_add_co_u32_e32 v2, vcc, s18, v2
	v_addc_co_u32_e32 v3, vcc, v12, v3, vcc
	global_load_dwordx2 v[6:7], v[2:3], off
	s_waitcnt vmcnt(1)
	v_subrev_co_u32_e32 v2, vcc, s20, v4
	v_subb_co_u32_e32 v3, vcc, v5, v14, vcc
	s_waitcnt vmcnt(0)
	v_add_co_u32_e32 v4, vcc, v6, v10
	v_addc_co_u32_e32 v5, vcc, v7, v11, vcc
	v_cmp_lt_i64_e32 vcc, v[4:5], v[2:3]
	s_and_saveexec_b64 s[4:5], vcc
	s_cbranch_execz .LBB153_16
; %bb.18:                               ;   in Loop: Header=BB153_17 Depth=1
	v_mov_b32_e32 v7, s15
	v_add_co_u32_e32 v6, vcc, s14, v0
	v_addc_co_u32_e32 v7, vcc, v7, v1, vcc
	global_load_sbyte v1, v[6:7], off
	v_lshlrev_b64 v[6:7], 2, v[4:5]
	v_mov_b32_e32 v8, s11
	v_add_co_u32_e32 v6, vcc, s10, v6
	v_addc_co_u32_e32 v7, vcc, v8, v7, vcc
	s_mov_b64 s[6:7], 0
	s_waitcnt vmcnt(0)
	v_mul_lo_u32 v1, s21, v1
	s_branch .LBB153_20
.LBB153_19:                             ;   in Loop: Header=BB153_20 Depth=2
	s_or_b64 exec, exec, s[0:1]
	v_add_co_u32_e32 v4, vcc, 64, v4
	v_addc_co_u32_e32 v5, vcc, 0, v5, vcc
	v_add_co_u32_e32 v6, vcc, 0x100, v6
	v_cmp_ge_i64_e64 s[0:1], v[4:5], v[2:3]
	s_or_b64 s[6:7], s[0:1], s[6:7]
	v_addc_co_u32_e32 v7, vcc, 0, v7, vcc
	s_andn2_b64 exec, exec, s[6:7]
	s_cbranch_execz .LBB153_16
.LBB153_20:                             ;   Parent Loop BB153_17 Depth=1
                                        ; =>  This Inner Loop Header: Depth=2
	global_load_dword v8, v[6:7], off
	s_waitcnt vmcnt(0)
	v_subrev_u32_e32 v8, s20, v8
	v_cmp_ne_u32_e32 vcc, v8, v0
	s_and_saveexec_b64 s[0:1], vcc
	s_cbranch_execz .LBB153_19
; %bb.21:                               ;   in Loop: Header=BB153_20 Depth=2
	v_mov_b32_e32 v9, s13
	v_add_co_u32_e32 v16, vcc, s12, v4
	v_addc_co_u32_e32 v17, vcc, v9, v5, vcc
	global_load_sbyte v15, v[16:17], off
	v_ashrrev_i32_e32 v9, 31, v8
	v_lshlrev_b64 v[8:9], 2, v[8:9]
	v_mov_b32_e32 v16, s23
	v_add_co_u32_e32 v8, vcc, s22, v8
	v_addc_co_u32_e32 v9, vcc, v16, v9, vcc
	s_waitcnt vmcnt(0)
	v_mul_lo_u32 v15, v1, v15
	global_atomic_add v[8:9], v15, off
	s_branch .LBB153_19
.LBB153_22:
	s_endpgm
	.section	.rodata,"a",@progbits
	.p2align	6, 0x0
	.amdhsa_kernel _ZN9rocsparseL21csrmvt_general_kernelILj256ELj64EliaaiiEEvbbT2_NS_24const_host_device_scalarIT6_EEPKT1_S7_PKS1_PKT3_PKT4_PT5_21rocsparse_index_base_b
		.amdhsa_group_segment_fixed_size 0
		.amdhsa_private_segment_fixed_size 0
		.amdhsa_kernarg_size 328
		.amdhsa_user_sgpr_count 6
		.amdhsa_user_sgpr_private_segment_buffer 1
		.amdhsa_user_sgpr_dispatch_ptr 0
		.amdhsa_user_sgpr_queue_ptr 0
		.amdhsa_user_sgpr_kernarg_segment_ptr 1
		.amdhsa_user_sgpr_dispatch_id 0
		.amdhsa_user_sgpr_flat_scratch_init 0
		.amdhsa_user_sgpr_kernarg_preload_length 0
		.amdhsa_user_sgpr_kernarg_preload_offset 0
		.amdhsa_user_sgpr_private_segment_size 0
		.amdhsa_uses_dynamic_stack 0
		.amdhsa_system_sgpr_private_segment_wavefront_offset 0
		.amdhsa_system_sgpr_workgroup_id_x 1
		.amdhsa_system_sgpr_workgroup_id_y 0
		.amdhsa_system_sgpr_workgroup_id_z 0
		.amdhsa_system_sgpr_workgroup_info 0
		.amdhsa_system_vgpr_workitem_id 0
		.amdhsa_next_free_vgpr 20
		.amdhsa_next_free_sgpr 28
		.amdhsa_accum_offset 20
		.amdhsa_reserve_vcc 1
		.amdhsa_reserve_flat_scratch 0
		.amdhsa_float_round_mode_32 0
		.amdhsa_float_round_mode_16_64 0
		.amdhsa_float_denorm_mode_32 3
		.amdhsa_float_denorm_mode_16_64 3
		.amdhsa_dx10_clamp 1
		.amdhsa_ieee_mode 1
		.amdhsa_fp16_overflow 0
		.amdhsa_tg_split 0
		.amdhsa_exception_fp_ieee_invalid_op 0
		.amdhsa_exception_fp_denorm_src 0
		.amdhsa_exception_fp_ieee_div_zero 0
		.amdhsa_exception_fp_ieee_overflow 0
		.amdhsa_exception_fp_ieee_underflow 0
		.amdhsa_exception_fp_ieee_inexact 0
		.amdhsa_exception_int_div_zero 0
	.end_amdhsa_kernel
	.section	.text._ZN9rocsparseL21csrmvt_general_kernelILj256ELj64EliaaiiEEvbbT2_NS_24const_host_device_scalarIT6_EEPKT1_S7_PKS1_PKT3_PKT4_PT5_21rocsparse_index_base_b,"axG",@progbits,_ZN9rocsparseL21csrmvt_general_kernelILj256ELj64EliaaiiEEvbbT2_NS_24const_host_device_scalarIT6_EEPKT1_S7_PKS1_PKT3_PKT4_PT5_21rocsparse_index_base_b,comdat
.Lfunc_end153:
	.size	_ZN9rocsparseL21csrmvt_general_kernelILj256ELj64EliaaiiEEvbbT2_NS_24const_host_device_scalarIT6_EEPKT1_S7_PKS1_PKT3_PKT4_PT5_21rocsparse_index_base_b, .Lfunc_end153-_ZN9rocsparseL21csrmvt_general_kernelILj256ELj64EliaaiiEEvbbT2_NS_24const_host_device_scalarIT6_EEPKT1_S7_PKS1_PKT3_PKT4_PT5_21rocsparse_index_base_b
                                        ; -- End function
	.section	.AMDGPU.csdata,"",@progbits
; Kernel info:
; codeLenInByte = 852
; NumSgprs: 32
; NumVgprs: 20
; NumAgprs: 0
; TotalNumVgprs: 20
; ScratchSize: 0
; MemoryBound: 0
; FloatMode: 240
; IeeeMode: 1
; LDSByteSize: 0 bytes/workgroup (compile time only)
; SGPRBlocks: 3
; VGPRBlocks: 2
; NumSGPRsForWavesPerEU: 32
; NumVGPRsForWavesPerEU: 20
; AccumOffset: 20
; Occupancy: 8
; WaveLimiterHint : 1
; COMPUTE_PGM_RSRC2:SCRATCH_EN: 0
; COMPUTE_PGM_RSRC2:USER_SGPR: 6
; COMPUTE_PGM_RSRC2:TRAP_HANDLER: 0
; COMPUTE_PGM_RSRC2:TGID_X_EN: 1
; COMPUTE_PGM_RSRC2:TGID_Y_EN: 0
; COMPUTE_PGM_RSRC2:TGID_Z_EN: 0
; COMPUTE_PGM_RSRC2:TIDIG_COMP_CNT: 0
; COMPUTE_PGM_RSRC3_GFX90A:ACCUM_OFFSET: 4
; COMPUTE_PGM_RSRC3_GFX90A:TG_SPLIT: 0
	.section	.text._ZN9rocsparseL21csrmvn_general_kernelILj256ELj2EllaaiiEEvbT2_NS_24const_host_device_scalarIT6_EEPKT1_S7_PKS1_PKT3_PKT4_S4_PT5_21rocsparse_index_base_b,"axG",@progbits,_ZN9rocsparseL21csrmvn_general_kernelILj256ELj2EllaaiiEEvbT2_NS_24const_host_device_scalarIT6_EEPKT1_S7_PKS1_PKT3_PKT4_S4_PT5_21rocsparse_index_base_b,comdat
	.globl	_ZN9rocsparseL21csrmvn_general_kernelILj256ELj2EllaaiiEEvbT2_NS_24const_host_device_scalarIT6_EEPKT1_S7_PKS1_PKT3_PKT4_S4_PT5_21rocsparse_index_base_b ; -- Begin function _ZN9rocsparseL21csrmvn_general_kernelILj256ELj2EllaaiiEEvbT2_NS_24const_host_device_scalarIT6_EEPKT1_S7_PKS1_PKT3_PKT4_S4_PT5_21rocsparse_index_base_b
	.p2align	8
	.type	_ZN9rocsparseL21csrmvn_general_kernelILj256ELj2EllaaiiEEvbT2_NS_24const_host_device_scalarIT6_EEPKT1_S7_PKS1_PKT3_PKT4_S4_PT5_21rocsparse_index_base_b,@function
_ZN9rocsparseL21csrmvn_general_kernelILj256ELj2EllaaiiEEvbT2_NS_24const_host_device_scalarIT6_EEPKT1_S7_PKS1_PKT3_PKT4_S4_PT5_21rocsparse_index_base_b: ; @_ZN9rocsparseL21csrmvn_general_kernelILj256ELj2EllaaiiEEvbT2_NS_24const_host_device_scalarIT6_EEPKT1_S7_PKS1_PKT3_PKT4_S4_PT5_21rocsparse_index_base_b
; %bb.0:
	s_load_dwordx2 s[20:21], s[4:5], 0x50
	s_load_dwordx8 s[8:15], s[4:5], 0x8
	s_mov_b64 s[16:17], -1
	s_waitcnt lgkmcnt(0)
	s_bitcmp1_b32 s21, 0
	s_cselect_b64 s[0:1], -1, 0
	s_xor_b64 s[2:3], s[0:1], -1
	s_and_b64 vcc, exec, s[2:3]
                                        ; implicit-def: $sgpr21
	s_cbranch_vccnz .LBB154_4
; %bb.1:
	s_load_dwordx2 s[0:1], s[4:5], 0x40
	s_andn2_b64 vcc, exec, s[16:17]
	s_cbranch_vccz .LBB154_5
.LBB154_2:
	s_and_b64 vcc, exec, s[2:3]
	s_cbranch_vccz .LBB154_6
.LBB154_3:
	s_waitcnt lgkmcnt(0)
	s_load_dword s24, s[0:1], 0x0
	s_cbranch_execz .LBB154_7
	s_branch .LBB154_8
.LBB154_4:
	s_load_dword s21, s[10:11], 0x0
	s_load_dwordx2 s[0:1], s[4:5], 0x40
	s_cbranch_execnz .LBB154_2
.LBB154_5:
	s_waitcnt lgkmcnt(0)
	s_mov_b32 s21, s10
	s_and_b64 vcc, exec, s[2:3]
	s_cbranch_vccnz .LBB154_3
.LBB154_6:
                                        ; implicit-def: $sgpr24
.LBB154_7:
	s_waitcnt lgkmcnt(0)
	s_mov_b32 s24, s0
.LBB154_8:
	s_waitcnt lgkmcnt(0)
	s_cmp_lg_u32 s21, 0
	s_cselect_b64 s[0:1], -1, 0
	s_cmp_lg_u32 s24, 1
	s_cselect_b64 s[2:3], -1, 0
	s_or_b64 s[0:1], s[0:1], s[2:3]
	s_andn2_b64 vcc, exec, s[0:1]
	s_cbranch_vccnz .LBB154_20
; %bb.9:
	v_lshl_or_b32 v1, s6, 8, v0
	v_lshrrev_b32_e32 v2, 1, v1
	v_mov_b32_e32 v3, 0
	v_cmp_gt_i64_e32 vcc, s[8:9], v[2:3]
	s_and_saveexec_b64 s[0:1], vcc
	s_cbranch_execz .LBB154_20
; %bb.10:
	s_load_dword s2, s[4:5], 0x58
	s_load_dwordx2 s[6:7], s[4:5], 0x48
	s_load_dwordx4 s[16:19], s[4:5], 0x28
	s_load_dwordx2 s[0:1], s[4:5], 0x38
	v_and_b32_e32 v0, 1, v0
	v_subrev_co_u32_e32 v10, vcc, s20, v0
	s_waitcnt lgkmcnt(0)
	s_lshl_b32 s25, s2, 7
	v_subb_co_u32_e64 v11, s[2:3], 0, 0, vcc
	s_ashr_i32 s2, s20, 31
	s_sub_u32 s26, s0, s20
	s_subb_u32 s27, s1, s2
	s_cmp_lg_u32 s24, 0
	s_cselect_b64 s[2:3], -1, 0
	s_mov_b32 s4, 0
	v_cmp_eq_u32_e64 s[0:1], 1, v0
	v_cndmask_b32_e64 v0, 0, 1, s[2:3]
	s_mov_b64 s[10:11], 0
	v_mov_b32_e32 v12, s13
	v_mov_b32_e32 v13, s15
	;; [unrolled: 1-line block ×4, first 2 shown]
	v_cmp_ne_u32_e64 s[2:3], 1, v0
	s_branch .LBB154_13
.LBB154_11:                             ;   in Loop: Header=BB154_13 Depth=1
	global_store_dword v[4:5], v0, off
.LBB154_12:                             ;   in Loop: Header=BB154_13 Depth=1
	s_or_b64 exec, exec, s[22:23]
	v_add_co_u32_e32 v2, vcc, s25, v2
	v_addc_co_u32_e32 v3, vcc, v3, v15, vcc
	v_cmp_le_i64_e32 vcc, s[8:9], v[2:3]
	s_or_b64 s[10:11], vcc, s[10:11]
	s_andn2_b64 exec, exec, s[10:11]
	s_cbranch_execz .LBB154_20
.LBB154_13:                             ; =>This Loop Header: Depth=1
                                        ;     Child Loop BB154_15 Depth 2
	v_lshlrev_b64 v[0:1], 3, v[2:3]
	v_add_co_u32_e32 v4, vcc, s14, v0
	v_addc_co_u32_e32 v5, vcc, v13, v1, vcc
	global_load_dwordx2 v[4:5], v[4:5], off
	v_add_co_u32_e32 v0, vcc, s12, v0
	v_addc_co_u32_e32 v1, vcc, v12, v1, vcc
	global_load_dwordx2 v[6:7], v[0:1], off
	s_waitcnt vmcnt(1)
	v_subrev_co_u32_e32 v0, vcc, s20, v4
	v_subb_co_u32_e32 v1, vcc, v5, v14, vcc
	v_mov_b32_e32 v4, 0
	s_waitcnt vmcnt(0)
	v_add_co_u32_e32 v6, vcc, v6, v10
	v_addc_co_u32_e32 v7, vcc, v7, v11, vcc
	v_cmp_lt_i64_e32 vcc, v[6:7], v[0:1]
	s_and_saveexec_b64 s[4:5], vcc
	s_cbranch_execz .LBB154_17
; %bb.14:                               ;   in Loop: Header=BB154_13 Depth=1
	v_lshlrev_b64 v[4:5], 3, v[6:7]
	v_mov_b32_e32 v9, s17
	v_add_co_u32_e32 v8, vcc, s16, v4
	v_addc_co_u32_e32 v9, vcc, v9, v5, vcc
	s_mov_b64 s[22:23], 0
	v_mov_b32_e32 v4, 0
.LBB154_15:                             ;   Parent Loop BB154_13 Depth=1
                                        ; =>  This Inner Loop Header: Depth=2
	global_load_dwordx2 v[16:17], v[8:9], off
	v_mov_b32_e32 v5, s19
	v_add_co_u32_e32 v18, vcc, s18, v6
	v_addc_co_u32_e32 v19, vcc, v5, v7, vcc
	v_mov_b32_e32 v20, s27
	global_load_sbyte v5, v[18:19], off
	s_waitcnt vmcnt(1)
	v_add_co_u32_e32 v16, vcc, s26, v16
	v_addc_co_u32_e32 v17, vcc, v20, v17, vcc
	global_load_sbyte v16, v[16:17], off
	v_add_co_u32_e32 v8, vcc, 16, v8
	v_addc_co_u32_e32 v9, vcc, 0, v9, vcc
	v_add_co_u32_e32 v6, vcc, 2, v6
	v_addc_co_u32_e32 v7, vcc, 0, v7, vcc
	v_cmp_ge_i64_e32 vcc, v[6:7], v[0:1]
	s_waitcnt vmcnt(1)
	v_mul_lo_u32 v5, s21, v5
	s_or_b64 s[22:23], vcc, s[22:23]
	s_waitcnt vmcnt(0)
	v_mad_u64_u32 v[4:5], s[28:29], v5, v16, v[4:5]
	s_andn2_b64 exec, exec, s[22:23]
	s_cbranch_execnz .LBB154_15
; %bb.16:                               ;   in Loop: Header=BB154_13 Depth=1
	s_or_b64 exec, exec, s[22:23]
.LBB154_17:                             ;   in Loop: Header=BB154_13 Depth=1
	s_or_b64 exec, exec, s[4:5]
	v_mov_b32_dpp v0, v4 row_shr:1 row_mask:0xf bank_mask:0xf
	s_and_saveexec_b64 s[22:23], s[0:1]
	s_cbranch_execz .LBB154_12
; %bb.18:                               ;   in Loop: Header=BB154_13 Depth=1
	v_add_u32_e32 v0, v0, v4
	v_lshlrev_b64 v[4:5], 2, v[2:3]
	v_mov_b32_e32 v1, s7
	v_add_co_u32_e64 v4, s[4:5], s6, v4
	s_and_b64 vcc, exec, s[2:3]
	v_addc_co_u32_e64 v5, s[4:5], v1, v5, s[4:5]
	s_cbranch_vccnz .LBB154_11
; %bb.19:                               ;   in Loop: Header=BB154_13 Depth=1
	global_load_dword v1, v[4:5], off
	s_waitcnt vmcnt(0)
	v_mad_u64_u32 v[0:1], s[4:5], v1, s24, v[0:1]
	s_branch .LBB154_11
.LBB154_20:
	s_endpgm
	.section	.rodata,"a",@progbits
	.p2align	6, 0x0
	.amdhsa_kernel _ZN9rocsparseL21csrmvn_general_kernelILj256ELj2EllaaiiEEvbT2_NS_24const_host_device_scalarIT6_EEPKT1_S7_PKS1_PKT3_PKT4_S4_PT5_21rocsparse_index_base_b
		.amdhsa_group_segment_fixed_size 0
		.amdhsa_private_segment_fixed_size 0
		.amdhsa_kernarg_size 344
		.amdhsa_user_sgpr_count 6
		.amdhsa_user_sgpr_private_segment_buffer 1
		.amdhsa_user_sgpr_dispatch_ptr 0
		.amdhsa_user_sgpr_queue_ptr 0
		.amdhsa_user_sgpr_kernarg_segment_ptr 1
		.amdhsa_user_sgpr_dispatch_id 0
		.amdhsa_user_sgpr_flat_scratch_init 0
		.amdhsa_user_sgpr_kernarg_preload_length 0
		.amdhsa_user_sgpr_kernarg_preload_offset 0
		.amdhsa_user_sgpr_private_segment_size 0
		.amdhsa_uses_dynamic_stack 0
		.amdhsa_system_sgpr_private_segment_wavefront_offset 0
		.amdhsa_system_sgpr_workgroup_id_x 1
		.amdhsa_system_sgpr_workgroup_id_y 0
		.amdhsa_system_sgpr_workgroup_id_z 0
		.amdhsa_system_sgpr_workgroup_info 0
		.amdhsa_system_vgpr_workitem_id 0
		.amdhsa_next_free_vgpr 21
		.amdhsa_next_free_sgpr 30
		.amdhsa_accum_offset 24
		.amdhsa_reserve_vcc 1
		.amdhsa_reserve_flat_scratch 0
		.amdhsa_float_round_mode_32 0
		.amdhsa_float_round_mode_16_64 0
		.amdhsa_float_denorm_mode_32 3
		.amdhsa_float_denorm_mode_16_64 3
		.amdhsa_dx10_clamp 1
		.amdhsa_ieee_mode 1
		.amdhsa_fp16_overflow 0
		.amdhsa_tg_split 0
		.amdhsa_exception_fp_ieee_invalid_op 0
		.amdhsa_exception_fp_denorm_src 0
		.amdhsa_exception_fp_ieee_div_zero 0
		.amdhsa_exception_fp_ieee_overflow 0
		.amdhsa_exception_fp_ieee_underflow 0
		.amdhsa_exception_fp_ieee_inexact 0
		.amdhsa_exception_int_div_zero 0
	.end_amdhsa_kernel
	.section	.text._ZN9rocsparseL21csrmvn_general_kernelILj256ELj2EllaaiiEEvbT2_NS_24const_host_device_scalarIT6_EEPKT1_S7_PKS1_PKT3_PKT4_S4_PT5_21rocsparse_index_base_b,"axG",@progbits,_ZN9rocsparseL21csrmvn_general_kernelILj256ELj2EllaaiiEEvbT2_NS_24const_host_device_scalarIT6_EEPKT1_S7_PKS1_PKT3_PKT4_S4_PT5_21rocsparse_index_base_b,comdat
.Lfunc_end154:
	.size	_ZN9rocsparseL21csrmvn_general_kernelILj256ELj2EllaaiiEEvbT2_NS_24const_host_device_scalarIT6_EEPKT1_S7_PKS1_PKT3_PKT4_S4_PT5_21rocsparse_index_base_b, .Lfunc_end154-_ZN9rocsparseL21csrmvn_general_kernelILj256ELj2EllaaiiEEvbT2_NS_24const_host_device_scalarIT6_EEPKT1_S7_PKS1_PKT3_PKT4_S4_PT5_21rocsparse_index_base_b
                                        ; -- End function
	.section	.AMDGPU.csdata,"",@progbits
; Kernel info:
; codeLenInByte = 664
; NumSgprs: 34
; NumVgprs: 21
; NumAgprs: 0
; TotalNumVgprs: 21
; ScratchSize: 0
; MemoryBound: 0
; FloatMode: 240
; IeeeMode: 1
; LDSByteSize: 0 bytes/workgroup (compile time only)
; SGPRBlocks: 4
; VGPRBlocks: 2
; NumSGPRsForWavesPerEU: 34
; NumVGPRsForWavesPerEU: 21
; AccumOffset: 24
; Occupancy: 8
; WaveLimiterHint : 1
; COMPUTE_PGM_RSRC2:SCRATCH_EN: 0
; COMPUTE_PGM_RSRC2:USER_SGPR: 6
; COMPUTE_PGM_RSRC2:TRAP_HANDLER: 0
; COMPUTE_PGM_RSRC2:TGID_X_EN: 1
; COMPUTE_PGM_RSRC2:TGID_Y_EN: 0
; COMPUTE_PGM_RSRC2:TGID_Z_EN: 0
; COMPUTE_PGM_RSRC2:TIDIG_COMP_CNT: 0
; COMPUTE_PGM_RSRC3_GFX90A:ACCUM_OFFSET: 5
; COMPUTE_PGM_RSRC3_GFX90A:TG_SPLIT: 0
	.section	.text._ZN9rocsparseL21csrmvn_general_kernelILj256ELj4EllaaiiEEvbT2_NS_24const_host_device_scalarIT6_EEPKT1_S7_PKS1_PKT3_PKT4_S4_PT5_21rocsparse_index_base_b,"axG",@progbits,_ZN9rocsparseL21csrmvn_general_kernelILj256ELj4EllaaiiEEvbT2_NS_24const_host_device_scalarIT6_EEPKT1_S7_PKS1_PKT3_PKT4_S4_PT5_21rocsparse_index_base_b,comdat
	.globl	_ZN9rocsparseL21csrmvn_general_kernelILj256ELj4EllaaiiEEvbT2_NS_24const_host_device_scalarIT6_EEPKT1_S7_PKS1_PKT3_PKT4_S4_PT5_21rocsparse_index_base_b ; -- Begin function _ZN9rocsparseL21csrmvn_general_kernelILj256ELj4EllaaiiEEvbT2_NS_24const_host_device_scalarIT6_EEPKT1_S7_PKS1_PKT3_PKT4_S4_PT5_21rocsparse_index_base_b
	.p2align	8
	.type	_ZN9rocsparseL21csrmvn_general_kernelILj256ELj4EllaaiiEEvbT2_NS_24const_host_device_scalarIT6_EEPKT1_S7_PKS1_PKT3_PKT4_S4_PT5_21rocsparse_index_base_b,@function
_ZN9rocsparseL21csrmvn_general_kernelILj256ELj4EllaaiiEEvbT2_NS_24const_host_device_scalarIT6_EEPKT1_S7_PKS1_PKT3_PKT4_S4_PT5_21rocsparse_index_base_b: ; @_ZN9rocsparseL21csrmvn_general_kernelILj256ELj4EllaaiiEEvbT2_NS_24const_host_device_scalarIT6_EEPKT1_S7_PKS1_PKT3_PKT4_S4_PT5_21rocsparse_index_base_b
; %bb.0:
	s_load_dwordx2 s[20:21], s[4:5], 0x50
	s_load_dwordx8 s[8:15], s[4:5], 0x8
	s_mov_b64 s[16:17], -1
	s_waitcnt lgkmcnt(0)
	s_bitcmp1_b32 s21, 0
	s_cselect_b64 s[0:1], -1, 0
	s_xor_b64 s[2:3], s[0:1], -1
	s_and_b64 vcc, exec, s[2:3]
                                        ; implicit-def: $sgpr21
	s_cbranch_vccnz .LBB155_4
; %bb.1:
	s_load_dwordx2 s[0:1], s[4:5], 0x40
	s_andn2_b64 vcc, exec, s[16:17]
	s_cbranch_vccz .LBB155_5
.LBB155_2:
	s_and_b64 vcc, exec, s[2:3]
	s_cbranch_vccz .LBB155_6
.LBB155_3:
	s_waitcnt lgkmcnt(0)
	s_load_dword s24, s[0:1], 0x0
	s_cbranch_execz .LBB155_7
	s_branch .LBB155_8
.LBB155_4:
	s_load_dword s21, s[10:11], 0x0
	s_load_dwordx2 s[0:1], s[4:5], 0x40
	s_cbranch_execnz .LBB155_2
.LBB155_5:
	s_waitcnt lgkmcnt(0)
	s_mov_b32 s21, s10
	s_and_b64 vcc, exec, s[2:3]
	s_cbranch_vccnz .LBB155_3
.LBB155_6:
                                        ; implicit-def: $sgpr24
.LBB155_7:
	s_waitcnt lgkmcnt(0)
	s_mov_b32 s24, s0
.LBB155_8:
	s_waitcnt lgkmcnt(0)
	s_cmp_lg_u32 s21, 0
	s_cselect_b64 s[0:1], -1, 0
	s_cmp_lg_u32 s24, 1
	s_cselect_b64 s[2:3], -1, 0
	s_or_b64 s[0:1], s[0:1], s[2:3]
	s_andn2_b64 vcc, exec, s[0:1]
	s_cbranch_vccnz .LBB155_20
; %bb.9:
	v_lshl_or_b32 v1, s6, 8, v0
	v_lshrrev_b32_e32 v2, 2, v1
	v_mov_b32_e32 v3, 0
	v_cmp_gt_i64_e32 vcc, s[8:9], v[2:3]
	s_and_saveexec_b64 s[0:1], vcc
	s_cbranch_execz .LBB155_20
; %bb.10:
	s_load_dword s2, s[4:5], 0x58
	s_load_dwordx2 s[6:7], s[4:5], 0x48
	s_load_dwordx4 s[16:19], s[4:5], 0x28
	s_load_dwordx2 s[0:1], s[4:5], 0x38
	v_and_b32_e32 v0, 3, v0
	v_subrev_co_u32_e32 v10, vcc, s20, v0
	s_waitcnt lgkmcnt(0)
	s_lshl_b32 s25, s2, 6
	v_subb_co_u32_e64 v11, s[2:3], 0, 0, vcc
	s_ashr_i32 s2, s20, 31
	s_sub_u32 s26, s0, s20
	s_subb_u32 s27, s1, s2
	s_cmp_lg_u32 s24, 0
	s_cselect_b64 s[2:3], -1, 0
	s_mov_b32 s4, 0
	v_cmp_eq_u32_e64 s[0:1], 3, v0
	v_cndmask_b32_e64 v0, 0, 1, s[2:3]
	s_mov_b64 s[10:11], 0
	v_mov_b32_e32 v12, s13
	v_mov_b32_e32 v13, s15
	;; [unrolled: 1-line block ×4, first 2 shown]
	v_cmp_ne_u32_e64 s[2:3], 1, v0
	s_branch .LBB155_13
.LBB155_11:                             ;   in Loop: Header=BB155_13 Depth=1
	global_store_dword v[4:5], v0, off
.LBB155_12:                             ;   in Loop: Header=BB155_13 Depth=1
	s_or_b64 exec, exec, s[22:23]
	v_add_co_u32_e32 v2, vcc, s25, v2
	v_addc_co_u32_e32 v3, vcc, v3, v15, vcc
	v_cmp_le_i64_e32 vcc, s[8:9], v[2:3]
	s_or_b64 s[10:11], vcc, s[10:11]
	s_andn2_b64 exec, exec, s[10:11]
	s_cbranch_execz .LBB155_20
.LBB155_13:                             ; =>This Loop Header: Depth=1
                                        ;     Child Loop BB155_15 Depth 2
	v_lshlrev_b64 v[0:1], 3, v[2:3]
	v_add_co_u32_e32 v4, vcc, s14, v0
	v_addc_co_u32_e32 v5, vcc, v13, v1, vcc
	global_load_dwordx2 v[4:5], v[4:5], off
	v_add_co_u32_e32 v0, vcc, s12, v0
	v_addc_co_u32_e32 v1, vcc, v12, v1, vcc
	global_load_dwordx2 v[6:7], v[0:1], off
	s_waitcnt vmcnt(1)
	v_subrev_co_u32_e32 v0, vcc, s20, v4
	v_subb_co_u32_e32 v1, vcc, v5, v14, vcc
	s_waitcnt vmcnt(0)
	v_add_co_u32_e32 v4, vcc, v6, v10
	v_addc_co_u32_e32 v5, vcc, v7, v11, vcc
	v_cmp_lt_i64_e32 vcc, v[4:5], v[0:1]
	v_mov_b32_e32 v6, 0
	s_and_saveexec_b64 s[4:5], vcc
	s_cbranch_execz .LBB155_17
; %bb.14:                               ;   in Loop: Header=BB155_13 Depth=1
	v_lshlrev_b64 v[6:7], 3, v[4:5]
	v_mov_b32_e32 v9, s17
	v_add_co_u32_e32 v8, vcc, s16, v6
	v_addc_co_u32_e32 v9, vcc, v9, v7, vcc
	s_mov_b64 s[22:23], 0
	v_mov_b32_e32 v6, 0
.LBB155_15:                             ;   Parent Loop BB155_13 Depth=1
                                        ; =>  This Inner Loop Header: Depth=2
	global_load_dwordx2 v[16:17], v[8:9], off
	v_mov_b32_e32 v7, s19
	v_add_co_u32_e32 v18, vcc, s18, v4
	v_addc_co_u32_e32 v19, vcc, v7, v5, vcc
	v_mov_b32_e32 v20, s27
	global_load_sbyte v7, v[18:19], off
	s_waitcnt vmcnt(1)
	v_add_co_u32_e32 v16, vcc, s26, v16
	v_addc_co_u32_e32 v17, vcc, v20, v17, vcc
	global_load_sbyte v16, v[16:17], off
	v_add_co_u32_e32 v8, vcc, 32, v8
	v_addc_co_u32_e32 v9, vcc, 0, v9, vcc
	v_add_co_u32_e32 v4, vcc, 4, v4
	v_addc_co_u32_e32 v5, vcc, 0, v5, vcc
	v_cmp_ge_i64_e32 vcc, v[4:5], v[0:1]
	s_waitcnt vmcnt(1)
	v_mul_lo_u32 v7, s21, v7
	s_or_b64 s[22:23], vcc, s[22:23]
	s_waitcnt vmcnt(0)
	v_mad_u64_u32 v[6:7], s[28:29], v7, v16, v[6:7]
	s_andn2_b64 exec, exec, s[22:23]
	s_cbranch_execnz .LBB155_15
; %bb.16:                               ;   in Loop: Header=BB155_13 Depth=1
	s_or_b64 exec, exec, s[22:23]
.LBB155_17:                             ;   in Loop: Header=BB155_13 Depth=1
	s_or_b64 exec, exec, s[4:5]
	v_mov_b32_dpp v0, v6 row_shr:1 row_mask:0xf bank_mask:0xf
	v_add_u32_e32 v0, v0, v6
	s_nop 1
	v_mov_b32_dpp v1, v0 row_shr:2 row_mask:0xf bank_mask:0xf
	s_and_saveexec_b64 s[22:23], s[0:1]
	s_cbranch_execz .LBB155_12
; %bb.18:                               ;   in Loop: Header=BB155_13 Depth=1
	v_lshlrev_b64 v[4:5], 2, v[2:3]
	v_add_u32_e32 v0, v0, v1
	v_mov_b32_e32 v1, s7
	v_add_co_u32_e64 v4, s[4:5], s6, v4
	s_and_b64 vcc, exec, s[2:3]
	v_addc_co_u32_e64 v5, s[4:5], v1, v5, s[4:5]
	s_cbranch_vccnz .LBB155_11
; %bb.19:                               ;   in Loop: Header=BB155_13 Depth=1
	global_load_dword v1, v[4:5], off
	s_waitcnt vmcnt(0)
	v_mad_u64_u32 v[0:1], s[4:5], v1, s24, v[0:1]
	s_branch .LBB155_11
.LBB155_20:
	s_endpgm
	.section	.rodata,"a",@progbits
	.p2align	6, 0x0
	.amdhsa_kernel _ZN9rocsparseL21csrmvn_general_kernelILj256ELj4EllaaiiEEvbT2_NS_24const_host_device_scalarIT6_EEPKT1_S7_PKS1_PKT3_PKT4_S4_PT5_21rocsparse_index_base_b
		.amdhsa_group_segment_fixed_size 0
		.amdhsa_private_segment_fixed_size 0
		.amdhsa_kernarg_size 344
		.amdhsa_user_sgpr_count 6
		.amdhsa_user_sgpr_private_segment_buffer 1
		.amdhsa_user_sgpr_dispatch_ptr 0
		.amdhsa_user_sgpr_queue_ptr 0
		.amdhsa_user_sgpr_kernarg_segment_ptr 1
		.amdhsa_user_sgpr_dispatch_id 0
		.amdhsa_user_sgpr_flat_scratch_init 0
		.amdhsa_user_sgpr_kernarg_preload_length 0
		.amdhsa_user_sgpr_kernarg_preload_offset 0
		.amdhsa_user_sgpr_private_segment_size 0
		.amdhsa_uses_dynamic_stack 0
		.amdhsa_system_sgpr_private_segment_wavefront_offset 0
		.amdhsa_system_sgpr_workgroup_id_x 1
		.amdhsa_system_sgpr_workgroup_id_y 0
		.amdhsa_system_sgpr_workgroup_id_z 0
		.amdhsa_system_sgpr_workgroup_info 0
		.amdhsa_system_vgpr_workitem_id 0
		.amdhsa_next_free_vgpr 21
		.amdhsa_next_free_sgpr 30
		.amdhsa_accum_offset 24
		.amdhsa_reserve_vcc 1
		.amdhsa_reserve_flat_scratch 0
		.amdhsa_float_round_mode_32 0
		.amdhsa_float_round_mode_16_64 0
		.amdhsa_float_denorm_mode_32 3
		.amdhsa_float_denorm_mode_16_64 3
		.amdhsa_dx10_clamp 1
		.amdhsa_ieee_mode 1
		.amdhsa_fp16_overflow 0
		.amdhsa_tg_split 0
		.amdhsa_exception_fp_ieee_invalid_op 0
		.amdhsa_exception_fp_denorm_src 0
		.amdhsa_exception_fp_ieee_div_zero 0
		.amdhsa_exception_fp_ieee_overflow 0
		.amdhsa_exception_fp_ieee_underflow 0
		.amdhsa_exception_fp_ieee_inexact 0
		.amdhsa_exception_int_div_zero 0
	.end_amdhsa_kernel
	.section	.text._ZN9rocsparseL21csrmvn_general_kernelILj256ELj4EllaaiiEEvbT2_NS_24const_host_device_scalarIT6_EEPKT1_S7_PKS1_PKT3_PKT4_S4_PT5_21rocsparse_index_base_b,"axG",@progbits,_ZN9rocsparseL21csrmvn_general_kernelILj256ELj4EllaaiiEEvbT2_NS_24const_host_device_scalarIT6_EEPKT1_S7_PKS1_PKT3_PKT4_S4_PT5_21rocsparse_index_base_b,comdat
.Lfunc_end155:
	.size	_ZN9rocsparseL21csrmvn_general_kernelILj256ELj4EllaaiiEEvbT2_NS_24const_host_device_scalarIT6_EEPKT1_S7_PKS1_PKT3_PKT4_S4_PT5_21rocsparse_index_base_b, .Lfunc_end155-_ZN9rocsparseL21csrmvn_general_kernelILj256ELj4EllaaiiEEvbT2_NS_24const_host_device_scalarIT6_EEPKT1_S7_PKS1_PKT3_PKT4_S4_PT5_21rocsparse_index_base_b
                                        ; -- End function
	.section	.AMDGPU.csdata,"",@progbits
; Kernel info:
; codeLenInByte = 680
; NumSgprs: 34
; NumVgprs: 21
; NumAgprs: 0
; TotalNumVgprs: 21
; ScratchSize: 0
; MemoryBound: 0
; FloatMode: 240
; IeeeMode: 1
; LDSByteSize: 0 bytes/workgroup (compile time only)
; SGPRBlocks: 4
; VGPRBlocks: 2
; NumSGPRsForWavesPerEU: 34
; NumVGPRsForWavesPerEU: 21
; AccumOffset: 24
; Occupancy: 8
; WaveLimiterHint : 1
; COMPUTE_PGM_RSRC2:SCRATCH_EN: 0
; COMPUTE_PGM_RSRC2:USER_SGPR: 6
; COMPUTE_PGM_RSRC2:TRAP_HANDLER: 0
; COMPUTE_PGM_RSRC2:TGID_X_EN: 1
; COMPUTE_PGM_RSRC2:TGID_Y_EN: 0
; COMPUTE_PGM_RSRC2:TGID_Z_EN: 0
; COMPUTE_PGM_RSRC2:TIDIG_COMP_CNT: 0
; COMPUTE_PGM_RSRC3_GFX90A:ACCUM_OFFSET: 5
; COMPUTE_PGM_RSRC3_GFX90A:TG_SPLIT: 0
	.section	.text._ZN9rocsparseL21csrmvn_general_kernelILj256ELj8EllaaiiEEvbT2_NS_24const_host_device_scalarIT6_EEPKT1_S7_PKS1_PKT3_PKT4_S4_PT5_21rocsparse_index_base_b,"axG",@progbits,_ZN9rocsparseL21csrmvn_general_kernelILj256ELj8EllaaiiEEvbT2_NS_24const_host_device_scalarIT6_EEPKT1_S7_PKS1_PKT3_PKT4_S4_PT5_21rocsparse_index_base_b,comdat
	.globl	_ZN9rocsparseL21csrmvn_general_kernelILj256ELj8EllaaiiEEvbT2_NS_24const_host_device_scalarIT6_EEPKT1_S7_PKS1_PKT3_PKT4_S4_PT5_21rocsparse_index_base_b ; -- Begin function _ZN9rocsparseL21csrmvn_general_kernelILj256ELj8EllaaiiEEvbT2_NS_24const_host_device_scalarIT6_EEPKT1_S7_PKS1_PKT3_PKT4_S4_PT5_21rocsparse_index_base_b
	.p2align	8
	.type	_ZN9rocsparseL21csrmvn_general_kernelILj256ELj8EllaaiiEEvbT2_NS_24const_host_device_scalarIT6_EEPKT1_S7_PKS1_PKT3_PKT4_S4_PT5_21rocsparse_index_base_b,@function
_ZN9rocsparseL21csrmvn_general_kernelILj256ELj8EllaaiiEEvbT2_NS_24const_host_device_scalarIT6_EEPKT1_S7_PKS1_PKT3_PKT4_S4_PT5_21rocsparse_index_base_b: ; @_ZN9rocsparseL21csrmvn_general_kernelILj256ELj8EllaaiiEEvbT2_NS_24const_host_device_scalarIT6_EEPKT1_S7_PKS1_PKT3_PKT4_S4_PT5_21rocsparse_index_base_b
; %bb.0:
	s_load_dwordx2 s[20:21], s[4:5], 0x50
	s_load_dwordx8 s[8:15], s[4:5], 0x8
	s_mov_b64 s[16:17], -1
	s_waitcnt lgkmcnt(0)
	s_bitcmp1_b32 s21, 0
	s_cselect_b64 s[0:1], -1, 0
	s_xor_b64 s[2:3], s[0:1], -1
	s_and_b64 vcc, exec, s[2:3]
                                        ; implicit-def: $sgpr21
	s_cbranch_vccnz .LBB156_4
; %bb.1:
	s_load_dwordx2 s[0:1], s[4:5], 0x40
	s_andn2_b64 vcc, exec, s[16:17]
	s_cbranch_vccz .LBB156_5
.LBB156_2:
	s_and_b64 vcc, exec, s[2:3]
	s_cbranch_vccz .LBB156_6
.LBB156_3:
	s_waitcnt lgkmcnt(0)
	s_load_dword s24, s[0:1], 0x0
	s_cbranch_execz .LBB156_7
	s_branch .LBB156_8
.LBB156_4:
	s_load_dword s21, s[10:11], 0x0
	s_load_dwordx2 s[0:1], s[4:5], 0x40
	s_cbranch_execnz .LBB156_2
.LBB156_5:
	s_waitcnt lgkmcnt(0)
	s_mov_b32 s21, s10
	s_and_b64 vcc, exec, s[2:3]
	s_cbranch_vccnz .LBB156_3
.LBB156_6:
                                        ; implicit-def: $sgpr24
.LBB156_7:
	s_waitcnt lgkmcnt(0)
	s_mov_b32 s24, s0
.LBB156_8:
	s_waitcnt lgkmcnt(0)
	s_cmp_lg_u32 s21, 0
	s_cselect_b64 s[0:1], -1, 0
	s_cmp_lg_u32 s24, 1
	s_cselect_b64 s[2:3], -1, 0
	s_or_b64 s[0:1], s[0:1], s[2:3]
	s_andn2_b64 vcc, exec, s[0:1]
	s_cbranch_vccnz .LBB156_20
; %bb.9:
	v_lshl_or_b32 v1, s6, 8, v0
	v_lshrrev_b32_e32 v2, 3, v1
	v_mov_b32_e32 v3, 0
	v_cmp_gt_i64_e32 vcc, s[8:9], v[2:3]
	s_and_saveexec_b64 s[0:1], vcc
	s_cbranch_execz .LBB156_20
; %bb.10:
	s_load_dword s2, s[4:5], 0x58
	s_load_dwordx2 s[6:7], s[4:5], 0x48
	s_load_dwordx4 s[16:19], s[4:5], 0x28
	s_load_dwordx2 s[0:1], s[4:5], 0x38
	v_and_b32_e32 v0, 7, v0
	v_subrev_co_u32_e32 v10, vcc, s20, v0
	s_waitcnt lgkmcnt(0)
	s_lshl_b32 s25, s2, 5
	v_subb_co_u32_e64 v11, s[2:3], 0, 0, vcc
	s_ashr_i32 s2, s20, 31
	s_sub_u32 s26, s0, s20
	s_subb_u32 s27, s1, s2
	s_cmp_lg_u32 s24, 0
	s_cselect_b64 s[2:3], -1, 0
	s_mov_b32 s4, 0
	v_cmp_eq_u32_e64 s[0:1], 7, v0
	v_cndmask_b32_e64 v0, 0, 1, s[2:3]
	s_mov_b64 s[10:11], 0
	v_mov_b32_e32 v12, s13
	v_mov_b32_e32 v13, s15
	v_mov_b32_e32 v14, s4
	v_cmp_ne_u32_e64 s[2:3], 1, v0
	v_mov_b32_e32 v15, s4
	s_branch .LBB156_13
.LBB156_11:                             ;   in Loop: Header=BB156_13 Depth=1
	global_store_dword v[4:5], v0, off
.LBB156_12:                             ;   in Loop: Header=BB156_13 Depth=1
	s_or_b64 exec, exec, s[22:23]
	v_add_co_u32_e32 v2, vcc, s25, v2
	v_addc_co_u32_e32 v3, vcc, v3, v15, vcc
	v_cmp_le_i64_e32 vcc, s[8:9], v[2:3]
	s_or_b64 s[10:11], vcc, s[10:11]
	s_andn2_b64 exec, exec, s[10:11]
	s_cbranch_execz .LBB156_20
.LBB156_13:                             ; =>This Loop Header: Depth=1
                                        ;     Child Loop BB156_15 Depth 2
	v_lshlrev_b64 v[0:1], 3, v[2:3]
	v_add_co_u32_e32 v4, vcc, s14, v0
	v_addc_co_u32_e32 v5, vcc, v13, v1, vcc
	global_load_dwordx2 v[4:5], v[4:5], off
	v_add_co_u32_e32 v0, vcc, s12, v0
	v_addc_co_u32_e32 v1, vcc, v12, v1, vcc
	global_load_dwordx2 v[6:7], v[0:1], off
	s_waitcnt vmcnt(1)
	v_subrev_co_u32_e32 v0, vcc, s20, v4
	v_subb_co_u32_e32 v1, vcc, v5, v14, vcc
	s_waitcnt vmcnt(0)
	v_add_co_u32_e32 v4, vcc, v6, v10
	v_addc_co_u32_e32 v5, vcc, v7, v11, vcc
	v_cmp_lt_i64_e32 vcc, v[4:5], v[0:1]
	v_mov_b32_e32 v6, 0
	s_and_saveexec_b64 s[4:5], vcc
	s_cbranch_execz .LBB156_17
; %bb.14:                               ;   in Loop: Header=BB156_13 Depth=1
	v_lshlrev_b64 v[6:7], 3, v[4:5]
	v_mov_b32_e32 v9, s17
	v_add_co_u32_e32 v8, vcc, s16, v6
	v_addc_co_u32_e32 v9, vcc, v9, v7, vcc
	s_mov_b64 s[22:23], 0
	v_mov_b32_e32 v6, 0
.LBB156_15:                             ;   Parent Loop BB156_13 Depth=1
                                        ; =>  This Inner Loop Header: Depth=2
	global_load_dwordx2 v[16:17], v[8:9], off
	v_mov_b32_e32 v7, s19
	v_add_co_u32_e32 v18, vcc, s18, v4
	v_addc_co_u32_e32 v19, vcc, v7, v5, vcc
	v_mov_b32_e32 v20, s27
	global_load_sbyte v7, v[18:19], off
	s_waitcnt vmcnt(1)
	v_add_co_u32_e32 v16, vcc, s26, v16
	v_addc_co_u32_e32 v17, vcc, v20, v17, vcc
	global_load_sbyte v16, v[16:17], off
	v_add_co_u32_e32 v8, vcc, 64, v8
	v_addc_co_u32_e32 v9, vcc, 0, v9, vcc
	v_add_co_u32_e32 v4, vcc, 8, v4
	v_addc_co_u32_e32 v5, vcc, 0, v5, vcc
	v_cmp_ge_i64_e32 vcc, v[4:5], v[0:1]
	s_waitcnt vmcnt(1)
	v_mul_lo_u32 v7, s21, v7
	s_or_b64 s[22:23], vcc, s[22:23]
	s_waitcnt vmcnt(0)
	v_mad_u64_u32 v[6:7], s[28:29], v7, v16, v[6:7]
	s_andn2_b64 exec, exec, s[22:23]
	s_cbranch_execnz .LBB156_15
; %bb.16:                               ;   in Loop: Header=BB156_13 Depth=1
	s_or_b64 exec, exec, s[22:23]
.LBB156_17:                             ;   in Loop: Header=BB156_13 Depth=1
	s_or_b64 exec, exec, s[4:5]
	v_mov_b32_dpp v0, v6 row_shr:1 row_mask:0xf bank_mask:0xf
	v_add_u32_e32 v0, v0, v6
	s_nop 1
	v_mov_b32_dpp v1, v0 row_shr:2 row_mask:0xf bank_mask:0xf
	v_add_u32_e32 v0, v0, v1
	s_nop 1
	v_mov_b32_dpp v1, v0 row_shr:4 row_mask:0xf bank_mask:0xe
	s_and_saveexec_b64 s[22:23], s[0:1]
	s_cbranch_execz .LBB156_12
; %bb.18:                               ;   in Loop: Header=BB156_13 Depth=1
	v_lshlrev_b64 v[4:5], 2, v[2:3]
	v_add_u32_e32 v0, v0, v1
	v_mov_b32_e32 v1, s7
	v_add_co_u32_e64 v4, s[4:5], s6, v4
	s_and_b64 vcc, exec, s[2:3]
	v_addc_co_u32_e64 v5, s[4:5], v1, v5, s[4:5]
	s_cbranch_vccnz .LBB156_11
; %bb.19:                               ;   in Loop: Header=BB156_13 Depth=1
	global_load_dword v1, v[4:5], off
	s_waitcnt vmcnt(0)
	v_mad_u64_u32 v[0:1], s[4:5], v1, s24, v[0:1]
	s_branch .LBB156_11
.LBB156_20:
	s_endpgm
	.section	.rodata,"a",@progbits
	.p2align	6, 0x0
	.amdhsa_kernel _ZN9rocsparseL21csrmvn_general_kernelILj256ELj8EllaaiiEEvbT2_NS_24const_host_device_scalarIT6_EEPKT1_S7_PKS1_PKT3_PKT4_S4_PT5_21rocsparse_index_base_b
		.amdhsa_group_segment_fixed_size 0
		.amdhsa_private_segment_fixed_size 0
		.amdhsa_kernarg_size 344
		.amdhsa_user_sgpr_count 6
		.amdhsa_user_sgpr_private_segment_buffer 1
		.amdhsa_user_sgpr_dispatch_ptr 0
		.amdhsa_user_sgpr_queue_ptr 0
		.amdhsa_user_sgpr_kernarg_segment_ptr 1
		.amdhsa_user_sgpr_dispatch_id 0
		.amdhsa_user_sgpr_flat_scratch_init 0
		.amdhsa_user_sgpr_kernarg_preload_length 0
		.amdhsa_user_sgpr_kernarg_preload_offset 0
		.amdhsa_user_sgpr_private_segment_size 0
		.amdhsa_uses_dynamic_stack 0
		.amdhsa_system_sgpr_private_segment_wavefront_offset 0
		.amdhsa_system_sgpr_workgroup_id_x 1
		.amdhsa_system_sgpr_workgroup_id_y 0
		.amdhsa_system_sgpr_workgroup_id_z 0
		.amdhsa_system_sgpr_workgroup_info 0
		.amdhsa_system_vgpr_workitem_id 0
		.amdhsa_next_free_vgpr 21
		.amdhsa_next_free_sgpr 30
		.amdhsa_accum_offset 24
		.amdhsa_reserve_vcc 1
		.amdhsa_reserve_flat_scratch 0
		.amdhsa_float_round_mode_32 0
		.amdhsa_float_round_mode_16_64 0
		.amdhsa_float_denorm_mode_32 3
		.amdhsa_float_denorm_mode_16_64 3
		.amdhsa_dx10_clamp 1
		.amdhsa_ieee_mode 1
		.amdhsa_fp16_overflow 0
		.amdhsa_tg_split 0
		.amdhsa_exception_fp_ieee_invalid_op 0
		.amdhsa_exception_fp_denorm_src 0
		.amdhsa_exception_fp_ieee_div_zero 0
		.amdhsa_exception_fp_ieee_overflow 0
		.amdhsa_exception_fp_ieee_underflow 0
		.amdhsa_exception_fp_ieee_inexact 0
		.amdhsa_exception_int_div_zero 0
	.end_amdhsa_kernel
	.section	.text._ZN9rocsparseL21csrmvn_general_kernelILj256ELj8EllaaiiEEvbT2_NS_24const_host_device_scalarIT6_EEPKT1_S7_PKS1_PKT3_PKT4_S4_PT5_21rocsparse_index_base_b,"axG",@progbits,_ZN9rocsparseL21csrmvn_general_kernelILj256ELj8EllaaiiEEvbT2_NS_24const_host_device_scalarIT6_EEPKT1_S7_PKS1_PKT3_PKT4_S4_PT5_21rocsparse_index_base_b,comdat
.Lfunc_end156:
	.size	_ZN9rocsparseL21csrmvn_general_kernelILj256ELj8EllaaiiEEvbT2_NS_24const_host_device_scalarIT6_EEPKT1_S7_PKS1_PKT3_PKT4_S4_PT5_21rocsparse_index_base_b, .Lfunc_end156-_ZN9rocsparseL21csrmvn_general_kernelILj256ELj8EllaaiiEEvbT2_NS_24const_host_device_scalarIT6_EEPKT1_S7_PKS1_PKT3_PKT4_S4_PT5_21rocsparse_index_base_b
                                        ; -- End function
	.section	.AMDGPU.csdata,"",@progbits
; Kernel info:
; codeLenInByte = 696
; NumSgprs: 34
; NumVgprs: 21
; NumAgprs: 0
; TotalNumVgprs: 21
; ScratchSize: 0
; MemoryBound: 0
; FloatMode: 240
; IeeeMode: 1
; LDSByteSize: 0 bytes/workgroup (compile time only)
; SGPRBlocks: 4
; VGPRBlocks: 2
; NumSGPRsForWavesPerEU: 34
; NumVGPRsForWavesPerEU: 21
; AccumOffset: 24
; Occupancy: 8
; WaveLimiterHint : 1
; COMPUTE_PGM_RSRC2:SCRATCH_EN: 0
; COMPUTE_PGM_RSRC2:USER_SGPR: 6
; COMPUTE_PGM_RSRC2:TRAP_HANDLER: 0
; COMPUTE_PGM_RSRC2:TGID_X_EN: 1
; COMPUTE_PGM_RSRC2:TGID_Y_EN: 0
; COMPUTE_PGM_RSRC2:TGID_Z_EN: 0
; COMPUTE_PGM_RSRC2:TIDIG_COMP_CNT: 0
; COMPUTE_PGM_RSRC3_GFX90A:ACCUM_OFFSET: 5
; COMPUTE_PGM_RSRC3_GFX90A:TG_SPLIT: 0
	.section	.text._ZN9rocsparseL21csrmvn_general_kernelILj256ELj16EllaaiiEEvbT2_NS_24const_host_device_scalarIT6_EEPKT1_S7_PKS1_PKT3_PKT4_S4_PT5_21rocsparse_index_base_b,"axG",@progbits,_ZN9rocsparseL21csrmvn_general_kernelILj256ELj16EllaaiiEEvbT2_NS_24const_host_device_scalarIT6_EEPKT1_S7_PKS1_PKT3_PKT4_S4_PT5_21rocsparse_index_base_b,comdat
	.globl	_ZN9rocsparseL21csrmvn_general_kernelILj256ELj16EllaaiiEEvbT2_NS_24const_host_device_scalarIT6_EEPKT1_S7_PKS1_PKT3_PKT4_S4_PT5_21rocsparse_index_base_b ; -- Begin function _ZN9rocsparseL21csrmvn_general_kernelILj256ELj16EllaaiiEEvbT2_NS_24const_host_device_scalarIT6_EEPKT1_S7_PKS1_PKT3_PKT4_S4_PT5_21rocsparse_index_base_b
	.p2align	8
	.type	_ZN9rocsparseL21csrmvn_general_kernelILj256ELj16EllaaiiEEvbT2_NS_24const_host_device_scalarIT6_EEPKT1_S7_PKS1_PKT3_PKT4_S4_PT5_21rocsparse_index_base_b,@function
_ZN9rocsparseL21csrmvn_general_kernelILj256ELj16EllaaiiEEvbT2_NS_24const_host_device_scalarIT6_EEPKT1_S7_PKS1_PKT3_PKT4_S4_PT5_21rocsparse_index_base_b: ; @_ZN9rocsparseL21csrmvn_general_kernelILj256ELj16EllaaiiEEvbT2_NS_24const_host_device_scalarIT6_EEPKT1_S7_PKS1_PKT3_PKT4_S4_PT5_21rocsparse_index_base_b
; %bb.0:
	s_load_dwordx2 s[20:21], s[4:5], 0x50
	s_load_dwordx8 s[8:15], s[4:5], 0x8
	s_mov_b64 s[16:17], -1
	s_waitcnt lgkmcnt(0)
	s_bitcmp1_b32 s21, 0
	s_cselect_b64 s[0:1], -1, 0
	s_xor_b64 s[2:3], s[0:1], -1
	s_and_b64 vcc, exec, s[2:3]
                                        ; implicit-def: $sgpr21
	s_cbranch_vccnz .LBB157_4
; %bb.1:
	s_load_dwordx2 s[0:1], s[4:5], 0x40
	s_andn2_b64 vcc, exec, s[16:17]
	s_cbranch_vccz .LBB157_5
.LBB157_2:
	s_and_b64 vcc, exec, s[2:3]
	s_cbranch_vccz .LBB157_6
.LBB157_3:
	s_waitcnt lgkmcnt(0)
	s_load_dword s26, s[0:1], 0x0
	s_cbranch_execz .LBB157_7
	s_branch .LBB157_8
.LBB157_4:
	s_load_dword s21, s[10:11], 0x0
	s_load_dwordx2 s[0:1], s[4:5], 0x40
	s_cbranch_execnz .LBB157_2
.LBB157_5:
	s_waitcnt lgkmcnt(0)
	s_mov_b32 s21, s10
	s_and_b64 vcc, exec, s[2:3]
	s_cbranch_vccnz .LBB157_3
.LBB157_6:
                                        ; implicit-def: $sgpr26
.LBB157_7:
	s_waitcnt lgkmcnt(0)
	s_mov_b32 s26, s0
.LBB157_8:
	s_waitcnt lgkmcnt(0)
	s_cmp_lg_u32 s21, 0
	s_cselect_b64 s[0:1], -1, 0
	s_cmp_lg_u32 s26, 1
	s_cselect_b64 s[2:3], -1, 0
	s_or_b64 s[0:1], s[0:1], s[2:3]
	s_andn2_b64 vcc, exec, s[0:1]
	s_cbranch_vccnz .LBB157_20
; %bb.9:
	v_lshl_or_b32 v1, s6, 8, v0
	v_lshrrev_b32_e32 v2, 4, v1
	v_mov_b32_e32 v3, 0
	v_cmp_gt_i64_e32 vcc, s[8:9], v[2:3]
	s_and_saveexec_b64 s[0:1], vcc
	s_cbranch_execz .LBB157_20
; %bb.10:
	s_load_dword s2, s[4:5], 0x58
	s_load_dwordx2 s[6:7], s[4:5], 0x48
	s_load_dwordx4 s[16:19], s[4:5], 0x28
	s_load_dwordx2 s[0:1], s[4:5], 0x38
	v_and_b32_e32 v0, 15, v0
	v_subrev_co_u32_e32 v10, vcc, s20, v0
	s_waitcnt lgkmcnt(0)
	s_lshl_b32 s27, s2, 4
	v_subb_co_u32_e64 v11, s[2:3], 0, 0, vcc
	s_ashr_i32 s2, s20, 31
	s_sub_u32 s28, s0, s20
	s_subb_u32 s29, s1, s2
	s_cmp_lg_u32 s26, 0
	s_cselect_b64 s[2:3], -1, 0
	s_mov_b32 s4, 0
	v_cmp_eq_u32_e64 s[0:1], 15, v0
	v_cndmask_b32_e64 v0, 0, 1, s[2:3]
	s_mov_b64 s[10:11], 0
	v_mov_b32_e32 v12, s13
	v_mov_b32_e32 v13, s15
	;; [unrolled: 1-line block ×3, first 2 shown]
	v_cmp_ne_u32_e64 s[2:3], 1, v0
	v_mov_b32_e32 v15, s4
	s_branch .LBB157_13
.LBB157_11:                             ;   in Loop: Header=BB157_13 Depth=1
	global_store_dword v[4:5], v0, off
.LBB157_12:                             ;   in Loop: Header=BB157_13 Depth=1
	s_or_b64 exec, exec, s[22:23]
	v_add_co_u32_e32 v2, vcc, s27, v2
	v_addc_co_u32_e32 v3, vcc, v3, v15, vcc
	v_cmp_le_i64_e32 vcc, s[8:9], v[2:3]
	s_or_b64 s[10:11], vcc, s[10:11]
	s_andn2_b64 exec, exec, s[10:11]
	s_cbranch_execz .LBB157_20
.LBB157_13:                             ; =>This Loop Header: Depth=1
                                        ;     Child Loop BB157_15 Depth 2
	v_lshlrev_b64 v[0:1], 3, v[2:3]
	v_add_co_u32_e32 v4, vcc, s14, v0
	v_addc_co_u32_e32 v5, vcc, v13, v1, vcc
	global_load_dwordx2 v[4:5], v[4:5], off
	v_add_co_u32_e32 v0, vcc, s12, v0
	v_addc_co_u32_e32 v1, vcc, v12, v1, vcc
	global_load_dwordx2 v[6:7], v[0:1], off
	s_waitcnt vmcnt(1)
	v_subrev_co_u32_e32 v0, vcc, s20, v4
	v_subb_co_u32_e32 v1, vcc, v5, v14, vcc
	s_waitcnt vmcnt(0)
	v_add_co_u32_e32 v4, vcc, v6, v10
	v_addc_co_u32_e32 v5, vcc, v7, v11, vcc
	v_cmp_lt_i64_e32 vcc, v[4:5], v[0:1]
	v_mov_b32_e32 v6, 0
	s_and_saveexec_b64 s[22:23], vcc
	s_cbranch_execz .LBB157_17
; %bb.14:                               ;   in Loop: Header=BB157_13 Depth=1
	v_lshlrev_b64 v[6:7], 3, v[4:5]
	v_mov_b32_e32 v9, s17
	v_add_co_u32_e32 v8, vcc, s16, v6
	v_addc_co_u32_e32 v9, vcc, v9, v7, vcc
	s_mov_b64 s[24:25], 0
	v_mov_b32_e32 v6, 0
.LBB157_15:                             ;   Parent Loop BB157_13 Depth=1
                                        ; =>  This Inner Loop Header: Depth=2
	global_load_dwordx2 v[16:17], v[8:9], off
	v_mov_b32_e32 v7, s19
	v_add_co_u32_e32 v18, vcc, s18, v4
	v_addc_co_u32_e32 v19, vcc, v7, v5, vcc
	v_mov_b32_e32 v20, s29
	global_load_sbyte v7, v[18:19], off
	v_add_co_u32_e64 v4, s[4:5], 16, v4
	v_addc_co_u32_e64 v5, s[4:5], 0, v5, s[4:5]
	s_waitcnt vmcnt(1)
	v_add_co_u32_e32 v16, vcc, s28, v16
	v_addc_co_u32_e32 v17, vcc, v20, v17, vcc
	global_load_sbyte v16, v[16:17], off
	v_add_co_u32_e32 v8, vcc, 0x80, v8
	v_addc_co_u32_e32 v9, vcc, 0, v9, vcc
	v_cmp_ge_i64_e32 vcc, v[4:5], v[0:1]
	s_waitcnt vmcnt(1)
	v_mul_lo_u32 v7, s21, v7
	s_or_b64 s[24:25], vcc, s[24:25]
	s_waitcnt vmcnt(0)
	v_mad_u64_u32 v[6:7], s[4:5], v7, v16, v[6:7]
	s_andn2_b64 exec, exec, s[24:25]
	s_cbranch_execnz .LBB157_15
; %bb.16:                               ;   in Loop: Header=BB157_13 Depth=1
	s_or_b64 exec, exec, s[24:25]
.LBB157_17:                             ;   in Loop: Header=BB157_13 Depth=1
	s_or_b64 exec, exec, s[22:23]
	v_mov_b32_dpp v0, v6 row_shr:1 row_mask:0xf bank_mask:0xf
	v_add_u32_e32 v0, v0, v6
	s_nop 1
	v_mov_b32_dpp v1, v0 row_shr:2 row_mask:0xf bank_mask:0xf
	v_add_u32_e32 v0, v0, v1
	s_nop 1
	;; [unrolled: 3-line block ×3, first 2 shown]
	v_mov_b32_dpp v1, v0 row_shr:8 row_mask:0xf bank_mask:0xc
	s_and_saveexec_b64 s[22:23], s[0:1]
	s_cbranch_execz .LBB157_12
; %bb.18:                               ;   in Loop: Header=BB157_13 Depth=1
	v_lshlrev_b64 v[4:5], 2, v[2:3]
	v_add_u32_e32 v0, v0, v1
	v_mov_b32_e32 v1, s7
	v_add_co_u32_e64 v4, s[4:5], s6, v4
	s_and_b64 vcc, exec, s[2:3]
	v_addc_co_u32_e64 v5, s[4:5], v1, v5, s[4:5]
	s_cbranch_vccnz .LBB157_11
; %bb.19:                               ;   in Loop: Header=BB157_13 Depth=1
	global_load_dword v1, v[4:5], off
	s_waitcnt vmcnt(0)
	v_mad_u64_u32 v[0:1], s[4:5], v1, s26, v[0:1]
	s_branch .LBB157_11
.LBB157_20:
	s_endpgm
	.section	.rodata,"a",@progbits
	.p2align	6, 0x0
	.amdhsa_kernel _ZN9rocsparseL21csrmvn_general_kernelILj256ELj16EllaaiiEEvbT2_NS_24const_host_device_scalarIT6_EEPKT1_S7_PKS1_PKT3_PKT4_S4_PT5_21rocsparse_index_base_b
		.amdhsa_group_segment_fixed_size 0
		.amdhsa_private_segment_fixed_size 0
		.amdhsa_kernarg_size 344
		.amdhsa_user_sgpr_count 6
		.amdhsa_user_sgpr_private_segment_buffer 1
		.amdhsa_user_sgpr_dispatch_ptr 0
		.amdhsa_user_sgpr_queue_ptr 0
		.amdhsa_user_sgpr_kernarg_segment_ptr 1
		.amdhsa_user_sgpr_dispatch_id 0
		.amdhsa_user_sgpr_flat_scratch_init 0
		.amdhsa_user_sgpr_kernarg_preload_length 0
		.amdhsa_user_sgpr_kernarg_preload_offset 0
		.amdhsa_user_sgpr_private_segment_size 0
		.amdhsa_uses_dynamic_stack 0
		.amdhsa_system_sgpr_private_segment_wavefront_offset 0
		.amdhsa_system_sgpr_workgroup_id_x 1
		.amdhsa_system_sgpr_workgroup_id_y 0
		.amdhsa_system_sgpr_workgroup_id_z 0
		.amdhsa_system_sgpr_workgroup_info 0
		.amdhsa_system_vgpr_workitem_id 0
		.amdhsa_next_free_vgpr 21
		.amdhsa_next_free_sgpr 30
		.amdhsa_accum_offset 24
		.amdhsa_reserve_vcc 1
		.amdhsa_reserve_flat_scratch 0
		.amdhsa_float_round_mode_32 0
		.amdhsa_float_round_mode_16_64 0
		.amdhsa_float_denorm_mode_32 3
		.amdhsa_float_denorm_mode_16_64 3
		.amdhsa_dx10_clamp 1
		.amdhsa_ieee_mode 1
		.amdhsa_fp16_overflow 0
		.amdhsa_tg_split 0
		.amdhsa_exception_fp_ieee_invalid_op 0
		.amdhsa_exception_fp_denorm_src 0
		.amdhsa_exception_fp_ieee_div_zero 0
		.amdhsa_exception_fp_ieee_overflow 0
		.amdhsa_exception_fp_ieee_underflow 0
		.amdhsa_exception_fp_ieee_inexact 0
		.amdhsa_exception_int_div_zero 0
	.end_amdhsa_kernel
	.section	.text._ZN9rocsparseL21csrmvn_general_kernelILj256ELj16EllaaiiEEvbT2_NS_24const_host_device_scalarIT6_EEPKT1_S7_PKS1_PKT3_PKT4_S4_PT5_21rocsparse_index_base_b,"axG",@progbits,_ZN9rocsparseL21csrmvn_general_kernelILj256ELj16EllaaiiEEvbT2_NS_24const_host_device_scalarIT6_EEPKT1_S7_PKS1_PKT3_PKT4_S4_PT5_21rocsparse_index_base_b,comdat
.Lfunc_end157:
	.size	_ZN9rocsparseL21csrmvn_general_kernelILj256ELj16EllaaiiEEvbT2_NS_24const_host_device_scalarIT6_EEPKT1_S7_PKS1_PKT3_PKT4_S4_PT5_21rocsparse_index_base_b, .Lfunc_end157-_ZN9rocsparseL21csrmvn_general_kernelILj256ELj16EllaaiiEEvbT2_NS_24const_host_device_scalarIT6_EEPKT1_S7_PKS1_PKT3_PKT4_S4_PT5_21rocsparse_index_base_b
                                        ; -- End function
	.section	.AMDGPU.csdata,"",@progbits
; Kernel info:
; codeLenInByte = 724
; NumSgprs: 34
; NumVgprs: 21
; NumAgprs: 0
; TotalNumVgprs: 21
; ScratchSize: 0
; MemoryBound: 0
; FloatMode: 240
; IeeeMode: 1
; LDSByteSize: 0 bytes/workgroup (compile time only)
; SGPRBlocks: 4
; VGPRBlocks: 2
; NumSGPRsForWavesPerEU: 34
; NumVGPRsForWavesPerEU: 21
; AccumOffset: 24
; Occupancy: 8
; WaveLimiterHint : 1
; COMPUTE_PGM_RSRC2:SCRATCH_EN: 0
; COMPUTE_PGM_RSRC2:USER_SGPR: 6
; COMPUTE_PGM_RSRC2:TRAP_HANDLER: 0
; COMPUTE_PGM_RSRC2:TGID_X_EN: 1
; COMPUTE_PGM_RSRC2:TGID_Y_EN: 0
; COMPUTE_PGM_RSRC2:TGID_Z_EN: 0
; COMPUTE_PGM_RSRC2:TIDIG_COMP_CNT: 0
; COMPUTE_PGM_RSRC3_GFX90A:ACCUM_OFFSET: 5
; COMPUTE_PGM_RSRC3_GFX90A:TG_SPLIT: 0
	.section	.text._ZN9rocsparseL21csrmvn_general_kernelILj256ELj32EllaaiiEEvbT2_NS_24const_host_device_scalarIT6_EEPKT1_S7_PKS1_PKT3_PKT4_S4_PT5_21rocsparse_index_base_b,"axG",@progbits,_ZN9rocsparseL21csrmvn_general_kernelILj256ELj32EllaaiiEEvbT2_NS_24const_host_device_scalarIT6_EEPKT1_S7_PKS1_PKT3_PKT4_S4_PT5_21rocsparse_index_base_b,comdat
	.globl	_ZN9rocsparseL21csrmvn_general_kernelILj256ELj32EllaaiiEEvbT2_NS_24const_host_device_scalarIT6_EEPKT1_S7_PKS1_PKT3_PKT4_S4_PT5_21rocsparse_index_base_b ; -- Begin function _ZN9rocsparseL21csrmvn_general_kernelILj256ELj32EllaaiiEEvbT2_NS_24const_host_device_scalarIT6_EEPKT1_S7_PKS1_PKT3_PKT4_S4_PT5_21rocsparse_index_base_b
	.p2align	8
	.type	_ZN9rocsparseL21csrmvn_general_kernelILj256ELj32EllaaiiEEvbT2_NS_24const_host_device_scalarIT6_EEPKT1_S7_PKS1_PKT3_PKT4_S4_PT5_21rocsparse_index_base_b,@function
_ZN9rocsparseL21csrmvn_general_kernelILj256ELj32EllaaiiEEvbT2_NS_24const_host_device_scalarIT6_EEPKT1_S7_PKS1_PKT3_PKT4_S4_PT5_21rocsparse_index_base_b: ; @_ZN9rocsparseL21csrmvn_general_kernelILj256ELj32EllaaiiEEvbT2_NS_24const_host_device_scalarIT6_EEPKT1_S7_PKS1_PKT3_PKT4_S4_PT5_21rocsparse_index_base_b
; %bb.0:
	s_load_dwordx2 s[20:21], s[4:5], 0x50
	s_load_dwordx8 s[8:15], s[4:5], 0x8
	s_mov_b64 s[16:17], -1
	s_waitcnt lgkmcnt(0)
	s_bitcmp1_b32 s21, 0
	s_cselect_b64 s[0:1], -1, 0
	s_xor_b64 s[2:3], s[0:1], -1
	s_and_b64 vcc, exec, s[2:3]
                                        ; implicit-def: $sgpr21
	s_cbranch_vccnz .LBB158_4
; %bb.1:
	s_load_dwordx2 s[0:1], s[4:5], 0x40
	s_andn2_b64 vcc, exec, s[16:17]
	s_cbranch_vccz .LBB158_5
.LBB158_2:
	s_and_b64 vcc, exec, s[2:3]
	s_cbranch_vccz .LBB158_6
.LBB158_3:
	s_waitcnt lgkmcnt(0)
	s_load_dword s26, s[0:1], 0x0
	s_cbranch_execz .LBB158_7
	s_branch .LBB158_8
.LBB158_4:
	s_load_dword s21, s[10:11], 0x0
	s_load_dwordx2 s[0:1], s[4:5], 0x40
	s_cbranch_execnz .LBB158_2
.LBB158_5:
	s_waitcnt lgkmcnt(0)
	s_mov_b32 s21, s10
	s_and_b64 vcc, exec, s[2:3]
	s_cbranch_vccnz .LBB158_3
.LBB158_6:
                                        ; implicit-def: $sgpr26
.LBB158_7:
	s_waitcnt lgkmcnt(0)
	s_mov_b32 s26, s0
.LBB158_8:
	s_waitcnt lgkmcnt(0)
	s_cmp_lg_u32 s21, 0
	s_cselect_b64 s[0:1], -1, 0
	s_cmp_lg_u32 s26, 1
	s_cselect_b64 s[2:3], -1, 0
	s_or_b64 s[0:1], s[0:1], s[2:3]
	s_andn2_b64 vcc, exec, s[0:1]
	s_cbranch_vccnz .LBB158_20
; %bb.9:
	v_lshl_or_b32 v1, s6, 8, v0
	v_lshrrev_b32_e32 v2, 5, v1
	v_mov_b32_e32 v3, 0
	v_cmp_gt_i64_e32 vcc, s[8:9], v[2:3]
	s_and_saveexec_b64 s[0:1], vcc
	s_cbranch_execz .LBB158_20
; %bb.10:
	s_load_dword s2, s[4:5], 0x58
	s_load_dwordx2 s[6:7], s[4:5], 0x48
	s_load_dwordx4 s[16:19], s[4:5], 0x28
	s_load_dwordx2 s[0:1], s[4:5], 0x38
	v_and_b32_e32 v0, 31, v0
	v_subrev_co_u32_e32 v10, vcc, s20, v0
	s_waitcnt lgkmcnt(0)
	s_lshl_b32 s27, s2, 3
	v_subb_co_u32_e64 v11, s[2:3], 0, 0, vcc
	s_ashr_i32 s2, s20, 31
	s_sub_u32 s28, s0, s20
	s_subb_u32 s29, s1, s2
	s_cmp_lg_u32 s26, 0
	s_cselect_b64 s[2:3], -1, 0
	s_mov_b32 s4, 0
	v_cmp_eq_u32_e64 s[0:1], 31, v0
	v_cndmask_b32_e64 v0, 0, 1, s[2:3]
	s_mov_b64 s[10:11], 0
	v_mov_b32_e32 v12, s13
	v_mov_b32_e32 v13, s15
	;; [unrolled: 1-line block ×3, first 2 shown]
	v_cmp_ne_u32_e64 s[2:3], 1, v0
	v_mov_b32_e32 v15, s4
	s_branch .LBB158_13
.LBB158_11:                             ;   in Loop: Header=BB158_13 Depth=1
	global_store_dword v[4:5], v0, off
.LBB158_12:                             ;   in Loop: Header=BB158_13 Depth=1
	s_or_b64 exec, exec, s[22:23]
	v_add_co_u32_e32 v2, vcc, s27, v2
	v_addc_co_u32_e32 v3, vcc, v3, v15, vcc
	v_cmp_le_i64_e32 vcc, s[8:9], v[2:3]
	s_or_b64 s[10:11], vcc, s[10:11]
	s_andn2_b64 exec, exec, s[10:11]
	s_cbranch_execz .LBB158_20
.LBB158_13:                             ; =>This Loop Header: Depth=1
                                        ;     Child Loop BB158_15 Depth 2
	v_lshlrev_b64 v[0:1], 3, v[2:3]
	v_add_co_u32_e32 v4, vcc, s14, v0
	v_addc_co_u32_e32 v5, vcc, v13, v1, vcc
	global_load_dwordx2 v[4:5], v[4:5], off
	v_add_co_u32_e32 v0, vcc, s12, v0
	v_addc_co_u32_e32 v1, vcc, v12, v1, vcc
	global_load_dwordx2 v[6:7], v[0:1], off
	s_waitcnt vmcnt(1)
	v_subrev_co_u32_e32 v0, vcc, s20, v4
	v_subb_co_u32_e32 v1, vcc, v5, v14, vcc
	s_waitcnt vmcnt(0)
	v_add_co_u32_e32 v4, vcc, v6, v10
	v_addc_co_u32_e32 v5, vcc, v7, v11, vcc
	v_cmp_lt_i64_e32 vcc, v[4:5], v[0:1]
	v_mov_b32_e32 v6, 0
	s_and_saveexec_b64 s[22:23], vcc
	s_cbranch_execz .LBB158_17
; %bb.14:                               ;   in Loop: Header=BB158_13 Depth=1
	v_lshlrev_b64 v[6:7], 3, v[4:5]
	v_mov_b32_e32 v9, s17
	v_add_co_u32_e32 v8, vcc, s16, v6
	v_addc_co_u32_e32 v9, vcc, v9, v7, vcc
	s_mov_b64 s[24:25], 0
	v_mov_b32_e32 v6, 0
.LBB158_15:                             ;   Parent Loop BB158_13 Depth=1
                                        ; =>  This Inner Loop Header: Depth=2
	global_load_dwordx2 v[16:17], v[8:9], off
	v_mov_b32_e32 v7, s19
	v_add_co_u32_e32 v18, vcc, s18, v4
	v_addc_co_u32_e32 v19, vcc, v7, v5, vcc
	v_mov_b32_e32 v20, s29
	global_load_sbyte v7, v[18:19], off
	v_add_co_u32_e64 v4, s[4:5], 32, v4
	v_addc_co_u32_e64 v5, s[4:5], 0, v5, s[4:5]
	s_waitcnt vmcnt(1)
	v_add_co_u32_e32 v16, vcc, s28, v16
	v_addc_co_u32_e32 v17, vcc, v20, v17, vcc
	global_load_sbyte v16, v[16:17], off
	v_add_co_u32_e32 v8, vcc, 0x100, v8
	v_addc_co_u32_e32 v9, vcc, 0, v9, vcc
	v_cmp_ge_i64_e32 vcc, v[4:5], v[0:1]
	s_waitcnt vmcnt(1)
	v_mul_lo_u32 v7, s21, v7
	s_or_b64 s[24:25], vcc, s[24:25]
	s_waitcnt vmcnt(0)
	v_mad_u64_u32 v[6:7], s[4:5], v7, v16, v[6:7]
	s_andn2_b64 exec, exec, s[24:25]
	s_cbranch_execnz .LBB158_15
; %bb.16:                               ;   in Loop: Header=BB158_13 Depth=1
	s_or_b64 exec, exec, s[24:25]
.LBB158_17:                             ;   in Loop: Header=BB158_13 Depth=1
	s_or_b64 exec, exec, s[22:23]
	v_mov_b32_dpp v0, v6 row_shr:1 row_mask:0xf bank_mask:0xf
	v_add_u32_e32 v0, v0, v6
	s_nop 1
	v_mov_b32_dpp v1, v0 row_shr:2 row_mask:0xf bank_mask:0xf
	v_add_u32_e32 v0, v0, v1
	s_nop 1
	;; [unrolled: 3-line block ×4, first 2 shown]
	v_mov_b32_dpp v1, v0 row_bcast:15 row_mask:0xa bank_mask:0xf
	s_and_saveexec_b64 s[22:23], s[0:1]
	s_cbranch_execz .LBB158_12
; %bb.18:                               ;   in Loop: Header=BB158_13 Depth=1
	v_lshlrev_b64 v[4:5], 2, v[2:3]
	v_add_u32_e32 v0, v0, v1
	v_mov_b32_e32 v1, s7
	v_add_co_u32_e64 v4, s[4:5], s6, v4
	s_and_b64 vcc, exec, s[2:3]
	v_addc_co_u32_e64 v5, s[4:5], v1, v5, s[4:5]
	s_cbranch_vccnz .LBB158_11
; %bb.19:                               ;   in Loop: Header=BB158_13 Depth=1
	global_load_dword v1, v[4:5], off
	s_waitcnt vmcnt(0)
	v_mad_u64_u32 v[0:1], s[4:5], v1, s26, v[0:1]
	s_branch .LBB158_11
.LBB158_20:
	s_endpgm
	.section	.rodata,"a",@progbits
	.p2align	6, 0x0
	.amdhsa_kernel _ZN9rocsparseL21csrmvn_general_kernelILj256ELj32EllaaiiEEvbT2_NS_24const_host_device_scalarIT6_EEPKT1_S7_PKS1_PKT3_PKT4_S4_PT5_21rocsparse_index_base_b
		.amdhsa_group_segment_fixed_size 0
		.amdhsa_private_segment_fixed_size 0
		.amdhsa_kernarg_size 344
		.amdhsa_user_sgpr_count 6
		.amdhsa_user_sgpr_private_segment_buffer 1
		.amdhsa_user_sgpr_dispatch_ptr 0
		.amdhsa_user_sgpr_queue_ptr 0
		.amdhsa_user_sgpr_kernarg_segment_ptr 1
		.amdhsa_user_sgpr_dispatch_id 0
		.amdhsa_user_sgpr_flat_scratch_init 0
		.amdhsa_user_sgpr_kernarg_preload_length 0
		.amdhsa_user_sgpr_kernarg_preload_offset 0
		.amdhsa_user_sgpr_private_segment_size 0
		.amdhsa_uses_dynamic_stack 0
		.amdhsa_system_sgpr_private_segment_wavefront_offset 0
		.amdhsa_system_sgpr_workgroup_id_x 1
		.amdhsa_system_sgpr_workgroup_id_y 0
		.amdhsa_system_sgpr_workgroup_id_z 0
		.amdhsa_system_sgpr_workgroup_info 0
		.amdhsa_system_vgpr_workitem_id 0
		.amdhsa_next_free_vgpr 21
		.amdhsa_next_free_sgpr 30
		.amdhsa_accum_offset 24
		.amdhsa_reserve_vcc 1
		.amdhsa_reserve_flat_scratch 0
		.amdhsa_float_round_mode_32 0
		.amdhsa_float_round_mode_16_64 0
		.amdhsa_float_denorm_mode_32 3
		.amdhsa_float_denorm_mode_16_64 3
		.amdhsa_dx10_clamp 1
		.amdhsa_ieee_mode 1
		.amdhsa_fp16_overflow 0
		.amdhsa_tg_split 0
		.amdhsa_exception_fp_ieee_invalid_op 0
		.amdhsa_exception_fp_denorm_src 0
		.amdhsa_exception_fp_ieee_div_zero 0
		.amdhsa_exception_fp_ieee_overflow 0
		.amdhsa_exception_fp_ieee_underflow 0
		.amdhsa_exception_fp_ieee_inexact 0
		.amdhsa_exception_int_div_zero 0
	.end_amdhsa_kernel
	.section	.text._ZN9rocsparseL21csrmvn_general_kernelILj256ELj32EllaaiiEEvbT2_NS_24const_host_device_scalarIT6_EEPKT1_S7_PKS1_PKT3_PKT4_S4_PT5_21rocsparse_index_base_b,"axG",@progbits,_ZN9rocsparseL21csrmvn_general_kernelILj256ELj32EllaaiiEEvbT2_NS_24const_host_device_scalarIT6_EEPKT1_S7_PKS1_PKT3_PKT4_S4_PT5_21rocsparse_index_base_b,comdat
.Lfunc_end158:
	.size	_ZN9rocsparseL21csrmvn_general_kernelILj256ELj32EllaaiiEEvbT2_NS_24const_host_device_scalarIT6_EEPKT1_S7_PKS1_PKT3_PKT4_S4_PT5_21rocsparse_index_base_b, .Lfunc_end158-_ZN9rocsparseL21csrmvn_general_kernelILj256ELj32EllaaiiEEvbT2_NS_24const_host_device_scalarIT6_EEPKT1_S7_PKS1_PKT3_PKT4_S4_PT5_21rocsparse_index_base_b
                                        ; -- End function
	.section	.AMDGPU.csdata,"",@progbits
; Kernel info:
; codeLenInByte = 740
; NumSgprs: 34
; NumVgprs: 21
; NumAgprs: 0
; TotalNumVgprs: 21
; ScratchSize: 0
; MemoryBound: 0
; FloatMode: 240
; IeeeMode: 1
; LDSByteSize: 0 bytes/workgroup (compile time only)
; SGPRBlocks: 4
; VGPRBlocks: 2
; NumSGPRsForWavesPerEU: 34
; NumVGPRsForWavesPerEU: 21
; AccumOffset: 24
; Occupancy: 8
; WaveLimiterHint : 1
; COMPUTE_PGM_RSRC2:SCRATCH_EN: 0
; COMPUTE_PGM_RSRC2:USER_SGPR: 6
; COMPUTE_PGM_RSRC2:TRAP_HANDLER: 0
; COMPUTE_PGM_RSRC2:TGID_X_EN: 1
; COMPUTE_PGM_RSRC2:TGID_Y_EN: 0
; COMPUTE_PGM_RSRC2:TGID_Z_EN: 0
; COMPUTE_PGM_RSRC2:TIDIG_COMP_CNT: 0
; COMPUTE_PGM_RSRC3_GFX90A:ACCUM_OFFSET: 5
; COMPUTE_PGM_RSRC3_GFX90A:TG_SPLIT: 0
	.section	.text._ZN9rocsparseL21csrmvn_general_kernelILj256ELj64EllaaiiEEvbT2_NS_24const_host_device_scalarIT6_EEPKT1_S7_PKS1_PKT3_PKT4_S4_PT5_21rocsparse_index_base_b,"axG",@progbits,_ZN9rocsparseL21csrmvn_general_kernelILj256ELj64EllaaiiEEvbT2_NS_24const_host_device_scalarIT6_EEPKT1_S7_PKS1_PKT3_PKT4_S4_PT5_21rocsparse_index_base_b,comdat
	.globl	_ZN9rocsparseL21csrmvn_general_kernelILj256ELj64EllaaiiEEvbT2_NS_24const_host_device_scalarIT6_EEPKT1_S7_PKS1_PKT3_PKT4_S4_PT5_21rocsparse_index_base_b ; -- Begin function _ZN9rocsparseL21csrmvn_general_kernelILj256ELj64EllaaiiEEvbT2_NS_24const_host_device_scalarIT6_EEPKT1_S7_PKS1_PKT3_PKT4_S4_PT5_21rocsparse_index_base_b
	.p2align	8
	.type	_ZN9rocsparseL21csrmvn_general_kernelILj256ELj64EllaaiiEEvbT2_NS_24const_host_device_scalarIT6_EEPKT1_S7_PKS1_PKT3_PKT4_S4_PT5_21rocsparse_index_base_b,@function
_ZN9rocsparseL21csrmvn_general_kernelILj256ELj64EllaaiiEEvbT2_NS_24const_host_device_scalarIT6_EEPKT1_S7_PKS1_PKT3_PKT4_S4_PT5_21rocsparse_index_base_b: ; @_ZN9rocsparseL21csrmvn_general_kernelILj256ELj64EllaaiiEEvbT2_NS_24const_host_device_scalarIT6_EEPKT1_S7_PKS1_PKT3_PKT4_S4_PT5_21rocsparse_index_base_b
; %bb.0:
	s_load_dwordx2 s[20:21], s[4:5], 0x50
	s_load_dwordx8 s[8:15], s[4:5], 0x8
	s_mov_b64 s[16:17], -1
	s_waitcnt lgkmcnt(0)
	s_bitcmp1_b32 s21, 0
	s_cselect_b64 s[0:1], -1, 0
	s_xor_b64 s[2:3], s[0:1], -1
	s_and_b64 vcc, exec, s[2:3]
                                        ; implicit-def: $sgpr21
	s_cbranch_vccnz .LBB159_4
; %bb.1:
	s_load_dwordx2 s[0:1], s[4:5], 0x40
	s_andn2_b64 vcc, exec, s[16:17]
	s_cbranch_vccz .LBB159_5
.LBB159_2:
	s_and_b64 vcc, exec, s[2:3]
	s_cbranch_vccz .LBB159_6
.LBB159_3:
	s_waitcnt lgkmcnt(0)
	s_load_dword s26, s[0:1], 0x0
	s_cbranch_execz .LBB159_7
	s_branch .LBB159_8
.LBB159_4:
	s_load_dword s21, s[10:11], 0x0
	s_load_dwordx2 s[0:1], s[4:5], 0x40
	s_cbranch_execnz .LBB159_2
.LBB159_5:
	s_waitcnt lgkmcnt(0)
	s_mov_b32 s21, s10
	s_and_b64 vcc, exec, s[2:3]
	s_cbranch_vccnz .LBB159_3
.LBB159_6:
                                        ; implicit-def: $sgpr26
.LBB159_7:
	s_waitcnt lgkmcnt(0)
	s_mov_b32 s26, s0
.LBB159_8:
	s_waitcnt lgkmcnt(0)
	s_cmp_lg_u32 s21, 0
	s_cselect_b64 s[0:1], -1, 0
	s_cmp_lg_u32 s26, 1
	s_cselect_b64 s[2:3], -1, 0
	s_or_b64 s[0:1], s[0:1], s[2:3]
	s_andn2_b64 vcc, exec, s[0:1]
	s_cbranch_vccnz .LBB159_20
; %bb.9:
	v_lshl_or_b32 v1, s6, 8, v0
	v_lshrrev_b32_e32 v2, 6, v1
	v_mov_b32_e32 v3, 0
	v_cmp_gt_i64_e32 vcc, s[8:9], v[2:3]
	s_and_saveexec_b64 s[0:1], vcc
	s_cbranch_execz .LBB159_20
; %bb.10:
	s_load_dword s2, s[4:5], 0x58
	s_load_dwordx2 s[6:7], s[4:5], 0x48
	s_load_dwordx4 s[16:19], s[4:5], 0x28
	s_load_dwordx2 s[0:1], s[4:5], 0x38
	v_and_b32_e32 v0, 63, v0
	v_subrev_co_u32_e32 v10, vcc, s20, v0
	s_waitcnt lgkmcnt(0)
	s_lshl_b32 s27, s2, 2
	v_subb_co_u32_e64 v11, s[2:3], 0, 0, vcc
	s_ashr_i32 s2, s20, 31
	s_sub_u32 s28, s0, s20
	s_subb_u32 s29, s1, s2
	s_cmp_lg_u32 s26, 0
	s_cselect_b64 s[2:3], -1, 0
	s_mov_b32 s4, 0
	v_cmp_eq_u32_e64 s[0:1], 63, v0
	v_cndmask_b32_e64 v0, 0, 1, s[2:3]
	s_mov_b64 s[10:11], 0
	v_mov_b32_e32 v12, s13
	v_mov_b32_e32 v13, s15
	;; [unrolled: 1-line block ×3, first 2 shown]
	v_cmp_ne_u32_e64 s[2:3], 1, v0
	v_mov_b32_e32 v15, s4
	s_branch .LBB159_13
.LBB159_11:                             ;   in Loop: Header=BB159_13 Depth=1
	global_store_dword v[4:5], v0, off
.LBB159_12:                             ;   in Loop: Header=BB159_13 Depth=1
	s_or_b64 exec, exec, s[22:23]
	v_add_co_u32_e32 v2, vcc, s27, v2
	v_addc_co_u32_e32 v3, vcc, v3, v15, vcc
	v_cmp_le_i64_e32 vcc, s[8:9], v[2:3]
	s_or_b64 s[10:11], vcc, s[10:11]
	s_andn2_b64 exec, exec, s[10:11]
	s_cbranch_execz .LBB159_20
.LBB159_13:                             ; =>This Loop Header: Depth=1
                                        ;     Child Loop BB159_15 Depth 2
	v_lshlrev_b64 v[0:1], 3, v[2:3]
	v_add_co_u32_e32 v4, vcc, s14, v0
	v_addc_co_u32_e32 v5, vcc, v13, v1, vcc
	global_load_dwordx2 v[4:5], v[4:5], off
	v_add_co_u32_e32 v0, vcc, s12, v0
	v_addc_co_u32_e32 v1, vcc, v12, v1, vcc
	global_load_dwordx2 v[6:7], v[0:1], off
	s_waitcnt vmcnt(1)
	v_subrev_co_u32_e32 v0, vcc, s20, v4
	v_subb_co_u32_e32 v1, vcc, v5, v14, vcc
	s_waitcnt vmcnt(0)
	v_add_co_u32_e32 v4, vcc, v6, v10
	v_addc_co_u32_e32 v5, vcc, v7, v11, vcc
	v_cmp_lt_i64_e32 vcc, v[4:5], v[0:1]
	v_mov_b32_e32 v6, 0
	s_and_saveexec_b64 s[22:23], vcc
	s_cbranch_execz .LBB159_17
; %bb.14:                               ;   in Loop: Header=BB159_13 Depth=1
	v_lshlrev_b64 v[6:7], 3, v[4:5]
	v_mov_b32_e32 v9, s17
	v_add_co_u32_e32 v8, vcc, s16, v6
	v_addc_co_u32_e32 v9, vcc, v9, v7, vcc
	s_mov_b64 s[24:25], 0
	v_mov_b32_e32 v6, 0
.LBB159_15:                             ;   Parent Loop BB159_13 Depth=1
                                        ; =>  This Inner Loop Header: Depth=2
	global_load_dwordx2 v[16:17], v[8:9], off
	v_mov_b32_e32 v7, s19
	v_add_co_u32_e32 v18, vcc, s18, v4
	v_addc_co_u32_e32 v19, vcc, v7, v5, vcc
	v_mov_b32_e32 v20, s29
	global_load_sbyte v7, v[18:19], off
	v_add_co_u32_e64 v4, s[4:5], 64, v4
	v_addc_co_u32_e64 v5, s[4:5], 0, v5, s[4:5]
	s_waitcnt vmcnt(1)
	v_add_co_u32_e32 v16, vcc, s28, v16
	v_addc_co_u32_e32 v17, vcc, v20, v17, vcc
	global_load_sbyte v16, v[16:17], off
	v_add_co_u32_e32 v8, vcc, 0x200, v8
	v_addc_co_u32_e32 v9, vcc, 0, v9, vcc
	v_cmp_ge_i64_e32 vcc, v[4:5], v[0:1]
	s_waitcnt vmcnt(1)
	v_mul_lo_u32 v7, s21, v7
	s_or_b64 s[24:25], vcc, s[24:25]
	s_waitcnt vmcnt(0)
	v_mad_u64_u32 v[6:7], s[4:5], v7, v16, v[6:7]
	s_andn2_b64 exec, exec, s[24:25]
	s_cbranch_execnz .LBB159_15
; %bb.16:                               ;   in Loop: Header=BB159_13 Depth=1
	s_or_b64 exec, exec, s[24:25]
.LBB159_17:                             ;   in Loop: Header=BB159_13 Depth=1
	s_or_b64 exec, exec, s[22:23]
	v_mov_b32_dpp v0, v6 row_shr:1 row_mask:0xf bank_mask:0xf
	v_add_u32_e32 v0, v0, v6
	s_nop 1
	v_mov_b32_dpp v1, v0 row_shr:2 row_mask:0xf bank_mask:0xf
	v_add_u32_e32 v0, v0, v1
	s_nop 1
	;; [unrolled: 3-line block ×4, first 2 shown]
	v_mov_b32_dpp v1, v0 row_bcast:15 row_mask:0xa bank_mask:0xf
	v_add_u32_e32 v0, v0, v1
	s_nop 1
	v_mov_b32_dpp v1, v0 row_bcast:31 row_mask:0xc bank_mask:0xf
	s_and_saveexec_b64 s[22:23], s[0:1]
	s_cbranch_execz .LBB159_12
; %bb.18:                               ;   in Loop: Header=BB159_13 Depth=1
	v_lshlrev_b64 v[4:5], 2, v[2:3]
	v_add_u32_e32 v0, v0, v1
	v_mov_b32_e32 v1, s7
	v_add_co_u32_e64 v4, s[4:5], s6, v4
	s_and_b64 vcc, exec, s[2:3]
	v_addc_co_u32_e64 v5, s[4:5], v1, v5, s[4:5]
	s_cbranch_vccnz .LBB159_11
; %bb.19:                               ;   in Loop: Header=BB159_13 Depth=1
	global_load_dword v1, v[4:5], off
	s_waitcnt vmcnt(0)
	v_mad_u64_u32 v[0:1], s[4:5], v1, s26, v[0:1]
	s_branch .LBB159_11
.LBB159_20:
	s_endpgm
	.section	.rodata,"a",@progbits
	.p2align	6, 0x0
	.amdhsa_kernel _ZN9rocsparseL21csrmvn_general_kernelILj256ELj64EllaaiiEEvbT2_NS_24const_host_device_scalarIT6_EEPKT1_S7_PKS1_PKT3_PKT4_S4_PT5_21rocsparse_index_base_b
		.amdhsa_group_segment_fixed_size 0
		.amdhsa_private_segment_fixed_size 0
		.amdhsa_kernarg_size 344
		.amdhsa_user_sgpr_count 6
		.amdhsa_user_sgpr_private_segment_buffer 1
		.amdhsa_user_sgpr_dispatch_ptr 0
		.amdhsa_user_sgpr_queue_ptr 0
		.amdhsa_user_sgpr_kernarg_segment_ptr 1
		.amdhsa_user_sgpr_dispatch_id 0
		.amdhsa_user_sgpr_flat_scratch_init 0
		.amdhsa_user_sgpr_kernarg_preload_length 0
		.amdhsa_user_sgpr_kernarg_preload_offset 0
		.amdhsa_user_sgpr_private_segment_size 0
		.amdhsa_uses_dynamic_stack 0
		.amdhsa_system_sgpr_private_segment_wavefront_offset 0
		.amdhsa_system_sgpr_workgroup_id_x 1
		.amdhsa_system_sgpr_workgroup_id_y 0
		.amdhsa_system_sgpr_workgroup_id_z 0
		.amdhsa_system_sgpr_workgroup_info 0
		.amdhsa_system_vgpr_workitem_id 0
		.amdhsa_next_free_vgpr 21
		.amdhsa_next_free_sgpr 30
		.amdhsa_accum_offset 24
		.amdhsa_reserve_vcc 1
		.amdhsa_reserve_flat_scratch 0
		.amdhsa_float_round_mode_32 0
		.amdhsa_float_round_mode_16_64 0
		.amdhsa_float_denorm_mode_32 3
		.amdhsa_float_denorm_mode_16_64 3
		.amdhsa_dx10_clamp 1
		.amdhsa_ieee_mode 1
		.amdhsa_fp16_overflow 0
		.amdhsa_tg_split 0
		.amdhsa_exception_fp_ieee_invalid_op 0
		.amdhsa_exception_fp_denorm_src 0
		.amdhsa_exception_fp_ieee_div_zero 0
		.amdhsa_exception_fp_ieee_overflow 0
		.amdhsa_exception_fp_ieee_underflow 0
		.amdhsa_exception_fp_ieee_inexact 0
		.amdhsa_exception_int_div_zero 0
	.end_amdhsa_kernel
	.section	.text._ZN9rocsparseL21csrmvn_general_kernelILj256ELj64EllaaiiEEvbT2_NS_24const_host_device_scalarIT6_EEPKT1_S7_PKS1_PKT3_PKT4_S4_PT5_21rocsparse_index_base_b,"axG",@progbits,_ZN9rocsparseL21csrmvn_general_kernelILj256ELj64EllaaiiEEvbT2_NS_24const_host_device_scalarIT6_EEPKT1_S7_PKS1_PKT3_PKT4_S4_PT5_21rocsparse_index_base_b,comdat
.Lfunc_end159:
	.size	_ZN9rocsparseL21csrmvn_general_kernelILj256ELj64EllaaiiEEvbT2_NS_24const_host_device_scalarIT6_EEPKT1_S7_PKS1_PKT3_PKT4_S4_PT5_21rocsparse_index_base_b, .Lfunc_end159-_ZN9rocsparseL21csrmvn_general_kernelILj256ELj64EllaaiiEEvbT2_NS_24const_host_device_scalarIT6_EEPKT1_S7_PKS1_PKT3_PKT4_S4_PT5_21rocsparse_index_base_b
                                        ; -- End function
	.section	.AMDGPU.csdata,"",@progbits
; Kernel info:
; codeLenInByte = 756
; NumSgprs: 34
; NumVgprs: 21
; NumAgprs: 0
; TotalNumVgprs: 21
; ScratchSize: 0
; MemoryBound: 0
; FloatMode: 240
; IeeeMode: 1
; LDSByteSize: 0 bytes/workgroup (compile time only)
; SGPRBlocks: 4
; VGPRBlocks: 2
; NumSGPRsForWavesPerEU: 34
; NumVGPRsForWavesPerEU: 21
; AccumOffset: 24
; Occupancy: 8
; WaveLimiterHint : 1
; COMPUTE_PGM_RSRC2:SCRATCH_EN: 0
; COMPUTE_PGM_RSRC2:USER_SGPR: 6
; COMPUTE_PGM_RSRC2:TRAP_HANDLER: 0
; COMPUTE_PGM_RSRC2:TGID_X_EN: 1
; COMPUTE_PGM_RSRC2:TGID_Y_EN: 0
; COMPUTE_PGM_RSRC2:TGID_Z_EN: 0
; COMPUTE_PGM_RSRC2:TIDIG_COMP_CNT: 0
; COMPUTE_PGM_RSRC3_GFX90A:ACCUM_OFFSET: 5
; COMPUTE_PGM_RSRC3_GFX90A:TG_SPLIT: 0
	.section	.text._ZN9rocsparseL21csrmvt_general_kernelILj256ELj4EllaaiiEEvbbT2_NS_24const_host_device_scalarIT6_EEPKT1_S7_PKS1_PKT3_PKT4_PT5_21rocsparse_index_base_b,"axG",@progbits,_ZN9rocsparseL21csrmvt_general_kernelILj256ELj4EllaaiiEEvbbT2_NS_24const_host_device_scalarIT6_EEPKT1_S7_PKS1_PKT3_PKT4_PT5_21rocsparse_index_base_b,comdat
	.globl	_ZN9rocsparseL21csrmvt_general_kernelILj256ELj4EllaaiiEEvbbT2_NS_24const_host_device_scalarIT6_EEPKT1_S7_PKS1_PKT3_PKT4_PT5_21rocsparse_index_base_b ; -- Begin function _ZN9rocsparseL21csrmvt_general_kernelILj256ELj4EllaaiiEEvbbT2_NS_24const_host_device_scalarIT6_EEPKT1_S7_PKS1_PKT3_PKT4_PT5_21rocsparse_index_base_b
	.p2align	8
	.type	_ZN9rocsparseL21csrmvt_general_kernelILj256ELj4EllaaiiEEvbbT2_NS_24const_host_device_scalarIT6_EEPKT1_S7_PKS1_PKT3_PKT4_PT5_21rocsparse_index_base_b,@function
_ZN9rocsparseL21csrmvt_general_kernelILj256ELj4EllaaiiEEvbbT2_NS_24const_host_device_scalarIT6_EEPKT1_S7_PKS1_PKT3_PKT4_PT5_21rocsparse_index_base_b: ; @_ZN9rocsparseL21csrmvt_general_kernelILj256ELj4EllaaiiEEvbbT2_NS_24const_host_device_scalarIT6_EEPKT1_S7_PKS1_PKT3_PKT4_PT5_21rocsparse_index_base_b
; %bb.0:
	s_load_dwordx2 s[24:25], s[4:5], 0x48
	s_load_dwordx8 s[8:15], s[4:5], 0x8
	s_waitcnt lgkmcnt(0)
	s_bitcmp0_b32 s25, 0
	s_cbranch_scc0 .LBB160_2
; %bb.1:
	s_load_dword s25, s[10:11], 0x0
	s_cbranch_execz .LBB160_3
	s_branch .LBB160_4
.LBB160_2:
                                        ; implicit-def: $sgpr25
.LBB160_3:
	s_waitcnt lgkmcnt(0)
	s_mov_b32 s25, s10
.LBB160_4:
	s_waitcnt lgkmcnt(0)
	s_cmp_eq_u32 s25, 0
	s_cbranch_scc1 .LBB160_22
; %bb.5:
	s_load_dword s0, s[4:5], 0x0
	s_load_dword s1, s[4:5], 0x50
	s_load_dwordx8 s[16:23], s[4:5], 0x28
	v_and_b32_e32 v10, 3, v0
	v_lshl_or_b32 v0, s6, 8, v0
	s_waitcnt lgkmcnt(0)
	s_and_b32 s0, s0, 1
	s_lshl_b32 s28, s1, 6
	v_lshrrev_b32_e32 v0, 2, v0
	v_mov_b32_e32 v1, 0
	s_cmp_eq_u32 s0, 0
	v_cmp_gt_i64_e64 s[0:1], s[8:9], v[0:1]
	s_mov_b64 s[2:3], -1
	s_cbranch_scc0 .LBB160_13
; %bb.6:
	s_and_saveexec_b64 s[4:5], s[0:1]
	s_cbranch_execz .LBB160_12
; %bb.7:
	s_mov_b32 s10, 0
	v_subrev_co_u32_e32 v11, vcc, s24, v10
	v_subb_co_u32_e64 v12, s[2:3], 0, 0, vcc
	s_mov_b64 s[6:7], 0
	v_mov_b32_e32 v13, s13
	v_mov_b32_e32 v14, s15
	;; [unrolled: 1-line block ×3, first 2 shown]
	v_pk_mov_b32 v[2:3], v[0:1], v[0:1] op_sel:[0,1]
	s_branch .LBB160_9
.LBB160_8:                              ;   in Loop: Header=BB160_9 Depth=1
	s_or_b64 exec, exec, s[10:11]
	v_add_co_u32_e32 v2, vcc, s28, v2
	v_addc_co_u32_e32 v3, vcc, 0, v3, vcc
	v_cmp_le_i64_e32 vcc, s[8:9], v[2:3]
	s_or_b64 s[6:7], vcc, s[6:7]
	s_andn2_b64 exec, exec, s[6:7]
	s_cbranch_execz .LBB160_12
.LBB160_9:                              ; =>This Loop Header: Depth=1
                                        ;     Child Loop BB160_11 Depth 2
	v_lshlrev_b64 v[4:5], 3, v[2:3]
	v_add_co_u32_e32 v6, vcc, s14, v4
	v_addc_co_u32_e32 v7, vcc, v14, v5, vcc
	global_load_dwordx2 v[6:7], v[6:7], off
	v_add_co_u32_e32 v4, vcc, s12, v4
	v_addc_co_u32_e32 v5, vcc, v13, v5, vcc
	global_load_dwordx2 v[8:9], v[4:5], off
	s_waitcnt vmcnt(1)
	v_subrev_co_u32_e32 v4, vcc, s24, v6
	v_subb_co_u32_e32 v5, vcc, v7, v15, vcc
	s_waitcnt vmcnt(0)
	v_add_co_u32_e32 v6, vcc, v8, v11
	v_addc_co_u32_e32 v7, vcc, v9, v12, vcc
	v_cmp_lt_i64_e32 vcc, v[6:7], v[4:5]
	s_and_saveexec_b64 s[10:11], vcc
	s_cbranch_execz .LBB160_8
; %bb.10:                               ;   in Loop: Header=BB160_9 Depth=1
	v_mov_b32_e32 v9, s21
	v_add_co_u32_e32 v8, vcc, s20, v2
	v_addc_co_u32_e32 v9, vcc, v9, v3, vcc
	global_load_sbyte v16, v[8:9], off
	v_lshlrev_b64 v[8:9], 3, v[6:7]
	v_mov_b32_e32 v17, s17
	v_add_co_u32_e32 v8, vcc, s16, v8
	v_addc_co_u32_e32 v9, vcc, v17, v9, vcc
	s_mov_b64 s[26:27], 0
	s_waitcnt vmcnt(0)
	v_mul_lo_u32 v16, s25, v16
.LBB160_11:                             ;   Parent Loop BB160_9 Depth=1
                                        ; =>  This Inner Loop Header: Depth=2
	global_load_dwordx2 v[18:19], v[8:9], off
	v_mov_b32_e32 v17, s19
	v_add_co_u32_e32 v20, vcc, s18, v6
	v_addc_co_u32_e32 v21, vcc, v17, v7, vcc
	global_load_sbyte v17, v[20:21], off
	v_mov_b32_e32 v20, s23
	v_add_co_u32_e64 v6, s[2:3], 4, v6
	v_addc_co_u32_e64 v7, s[2:3], 0, v7, s[2:3]
	v_cmp_ge_i64_e64 s[2:3], v[6:7], v[4:5]
	s_or_b64 s[26:27], s[2:3], s[26:27]
	s_waitcnt vmcnt(1)
	v_subrev_co_u32_e32 v18, vcc, s24, v18
	v_subb_co_u32_e32 v19, vcc, v19, v15, vcc
	v_lshlrev_b64 v[18:19], 2, v[18:19]
	v_add_co_u32_e32 v18, vcc, s22, v18
	v_addc_co_u32_e32 v19, vcc, v20, v19, vcc
	s_waitcnt vmcnt(0)
	v_mul_lo_u32 v17, v16, v17
	global_atomic_add v[18:19], v17, off
	v_add_co_u32_e32 v8, vcc, 32, v8
	v_addc_co_u32_e32 v9, vcc, 0, v9, vcc
	s_andn2_b64 exec, exec, s[26:27]
	s_cbranch_execnz .LBB160_11
	s_branch .LBB160_8
.LBB160_12:
	s_or_b64 exec, exec, s[4:5]
	s_mov_b64 s[2:3], 0
.LBB160_13:
	s_andn2_b64 vcc, exec, s[2:3]
	s_cbranch_vccnz .LBB160_22
; %bb.14:
	s_and_saveexec_b64 s[2:3], s[0:1]
	s_cbranch_execz .LBB160_22
; %bb.15:
	v_subrev_co_u32_e32 v10, vcc, s24, v10
	s_mov_b32 s2, 0
	v_subb_co_u32_e64 v11, s[0:1], 0, 0, vcc
	s_mov_b64 s[0:1], 0
	v_mov_b32_e32 v12, s13
	v_mov_b32_e32 v13, s15
	;; [unrolled: 1-line block ×3, first 2 shown]
	s_branch .LBB160_17
.LBB160_16:                             ;   in Loop: Header=BB160_17 Depth=1
	s_or_b64 exec, exec, s[2:3]
	v_add_co_u32_e32 v0, vcc, s28, v0
	v_addc_co_u32_e32 v1, vcc, 0, v1, vcc
	v_cmp_le_i64_e32 vcc, s[8:9], v[0:1]
	s_or_b64 s[0:1], vcc, s[0:1]
	s_andn2_b64 exec, exec, s[0:1]
	s_cbranch_execz .LBB160_22
.LBB160_17:                             ; =>This Loop Header: Depth=1
                                        ;     Child Loop BB160_20 Depth 2
	v_lshlrev_b64 v[2:3], 3, v[0:1]
	v_add_co_u32_e32 v4, vcc, s14, v2
	v_addc_co_u32_e32 v5, vcc, v13, v3, vcc
	global_load_dwordx2 v[4:5], v[4:5], off
	v_add_co_u32_e32 v2, vcc, s12, v2
	v_addc_co_u32_e32 v3, vcc, v12, v3, vcc
	global_load_dwordx2 v[6:7], v[2:3], off
	s_waitcnt vmcnt(1)
	v_subrev_co_u32_e32 v2, vcc, s24, v4
	v_subb_co_u32_e32 v3, vcc, v5, v14, vcc
	s_waitcnt vmcnt(0)
	v_add_co_u32_e32 v4, vcc, v6, v10
	v_addc_co_u32_e32 v5, vcc, v7, v11, vcc
	v_cmp_lt_i64_e32 vcc, v[4:5], v[2:3]
	s_and_saveexec_b64 s[2:3], vcc
	s_cbranch_execz .LBB160_16
; %bb.18:                               ;   in Loop: Header=BB160_17 Depth=1
	v_mov_b32_e32 v7, s21
	v_add_co_u32_e32 v6, vcc, s20, v0
	v_addc_co_u32_e32 v7, vcc, v7, v1, vcc
	global_load_sbyte v8, v[6:7], off
	v_lshlrev_b64 v[6:7], 3, v[4:5]
	v_mov_b32_e32 v9, s17
	v_add_co_u32_e32 v6, vcc, s16, v6
	v_addc_co_u32_e32 v7, vcc, v9, v7, vcc
	s_mov_b64 s[4:5], 0
	s_waitcnt vmcnt(0)
	v_mul_lo_u32 v15, s25, v8
	s_branch .LBB160_20
.LBB160_19:                             ;   in Loop: Header=BB160_20 Depth=2
	s_or_b64 exec, exec, s[6:7]
	v_add_co_u32_e32 v4, vcc, 4, v4
	v_addc_co_u32_e32 v5, vcc, 0, v5, vcc
	v_cmp_ge_i64_e32 vcc, v[4:5], v[2:3]
	s_or_b64 s[4:5], vcc, s[4:5]
	v_add_co_u32_e32 v6, vcc, 32, v6
	v_addc_co_u32_e32 v7, vcc, 0, v7, vcc
	s_andn2_b64 exec, exec, s[4:5]
	s_cbranch_execz .LBB160_16
.LBB160_20:                             ;   Parent Loop BB160_17 Depth=1
                                        ; =>  This Inner Loop Header: Depth=2
	global_load_dwordx2 v[8:9], v[6:7], off
	s_waitcnt vmcnt(0)
	v_subrev_co_u32_e32 v8, vcc, s24, v8
	v_subb_co_u32_e32 v9, vcc, v9, v14, vcc
	v_cmp_ne_u64_e32 vcc, v[8:9], v[0:1]
	s_and_saveexec_b64 s[6:7], vcc
	s_cbranch_execz .LBB160_19
; %bb.21:                               ;   in Loop: Header=BB160_20 Depth=2
	v_mov_b32_e32 v17, s19
	v_add_co_u32_e32 v16, vcc, s18, v4
	v_addc_co_u32_e32 v17, vcc, v17, v5, vcc
	global_load_sbyte v16, v[16:17], off
	v_lshlrev_b64 v[8:9], 2, v[8:9]
	v_mov_b32_e32 v17, s23
	v_add_co_u32_e32 v8, vcc, s22, v8
	v_addc_co_u32_e32 v9, vcc, v17, v9, vcc
	s_waitcnt vmcnt(0)
	v_mul_lo_u32 v16, v15, v16
	global_atomic_add v[8:9], v16, off
	s_branch .LBB160_19
.LBB160_22:
	s_endpgm
	.section	.rodata,"a",@progbits
	.p2align	6, 0x0
	.amdhsa_kernel _ZN9rocsparseL21csrmvt_general_kernelILj256ELj4EllaaiiEEvbbT2_NS_24const_host_device_scalarIT6_EEPKT1_S7_PKS1_PKT3_PKT4_PT5_21rocsparse_index_base_b
		.amdhsa_group_segment_fixed_size 0
		.amdhsa_private_segment_fixed_size 0
		.amdhsa_kernarg_size 336
		.amdhsa_user_sgpr_count 6
		.amdhsa_user_sgpr_private_segment_buffer 1
		.amdhsa_user_sgpr_dispatch_ptr 0
		.amdhsa_user_sgpr_queue_ptr 0
		.amdhsa_user_sgpr_kernarg_segment_ptr 1
		.amdhsa_user_sgpr_dispatch_id 0
		.amdhsa_user_sgpr_flat_scratch_init 0
		.amdhsa_user_sgpr_kernarg_preload_length 0
		.amdhsa_user_sgpr_kernarg_preload_offset 0
		.amdhsa_user_sgpr_private_segment_size 0
		.amdhsa_uses_dynamic_stack 0
		.amdhsa_system_sgpr_private_segment_wavefront_offset 0
		.amdhsa_system_sgpr_workgroup_id_x 1
		.amdhsa_system_sgpr_workgroup_id_y 0
		.amdhsa_system_sgpr_workgroup_id_z 0
		.amdhsa_system_sgpr_workgroup_info 0
		.amdhsa_system_vgpr_workitem_id 0
		.amdhsa_next_free_vgpr 22
		.amdhsa_next_free_sgpr 29
		.amdhsa_accum_offset 24
		.amdhsa_reserve_vcc 1
		.amdhsa_reserve_flat_scratch 0
		.amdhsa_float_round_mode_32 0
		.amdhsa_float_round_mode_16_64 0
		.amdhsa_float_denorm_mode_32 3
		.amdhsa_float_denorm_mode_16_64 3
		.amdhsa_dx10_clamp 1
		.amdhsa_ieee_mode 1
		.amdhsa_fp16_overflow 0
		.amdhsa_tg_split 0
		.amdhsa_exception_fp_ieee_invalid_op 0
		.amdhsa_exception_fp_denorm_src 0
		.amdhsa_exception_fp_ieee_div_zero 0
		.amdhsa_exception_fp_ieee_overflow 0
		.amdhsa_exception_fp_ieee_underflow 0
		.amdhsa_exception_fp_ieee_inexact 0
		.amdhsa_exception_int_div_zero 0
	.end_amdhsa_kernel
	.section	.text._ZN9rocsparseL21csrmvt_general_kernelILj256ELj4EllaaiiEEvbbT2_NS_24const_host_device_scalarIT6_EEPKT1_S7_PKS1_PKT3_PKT4_PT5_21rocsparse_index_base_b,"axG",@progbits,_ZN9rocsparseL21csrmvt_general_kernelILj256ELj4EllaaiiEEvbbT2_NS_24const_host_device_scalarIT6_EEPKT1_S7_PKS1_PKT3_PKT4_PT5_21rocsparse_index_base_b,comdat
.Lfunc_end160:
	.size	_ZN9rocsparseL21csrmvt_general_kernelILj256ELj4EllaaiiEEvbbT2_NS_24const_host_device_scalarIT6_EEPKT1_S7_PKS1_PKT3_PKT4_PT5_21rocsparse_index_base_b, .Lfunc_end160-_ZN9rocsparseL21csrmvt_general_kernelILj256ELj4EllaaiiEEvbbT2_NS_24const_host_device_scalarIT6_EEPKT1_S7_PKS1_PKT3_PKT4_PT5_21rocsparse_index_base_b
                                        ; -- End function
	.section	.AMDGPU.csdata,"",@progbits
; Kernel info:
; codeLenInByte = 840
; NumSgprs: 33
; NumVgprs: 22
; NumAgprs: 0
; TotalNumVgprs: 22
; ScratchSize: 0
; MemoryBound: 0
; FloatMode: 240
; IeeeMode: 1
; LDSByteSize: 0 bytes/workgroup (compile time only)
; SGPRBlocks: 4
; VGPRBlocks: 2
; NumSGPRsForWavesPerEU: 33
; NumVGPRsForWavesPerEU: 22
; AccumOffset: 24
; Occupancy: 8
; WaveLimiterHint : 1
; COMPUTE_PGM_RSRC2:SCRATCH_EN: 0
; COMPUTE_PGM_RSRC2:USER_SGPR: 6
; COMPUTE_PGM_RSRC2:TRAP_HANDLER: 0
; COMPUTE_PGM_RSRC2:TGID_X_EN: 1
; COMPUTE_PGM_RSRC2:TGID_Y_EN: 0
; COMPUTE_PGM_RSRC2:TGID_Z_EN: 0
; COMPUTE_PGM_RSRC2:TIDIG_COMP_CNT: 0
; COMPUTE_PGM_RSRC3_GFX90A:ACCUM_OFFSET: 5
; COMPUTE_PGM_RSRC3_GFX90A:TG_SPLIT: 0
	.section	.text._ZN9rocsparseL21csrmvt_general_kernelILj256ELj8EllaaiiEEvbbT2_NS_24const_host_device_scalarIT6_EEPKT1_S7_PKS1_PKT3_PKT4_PT5_21rocsparse_index_base_b,"axG",@progbits,_ZN9rocsparseL21csrmvt_general_kernelILj256ELj8EllaaiiEEvbbT2_NS_24const_host_device_scalarIT6_EEPKT1_S7_PKS1_PKT3_PKT4_PT5_21rocsparse_index_base_b,comdat
	.globl	_ZN9rocsparseL21csrmvt_general_kernelILj256ELj8EllaaiiEEvbbT2_NS_24const_host_device_scalarIT6_EEPKT1_S7_PKS1_PKT3_PKT4_PT5_21rocsparse_index_base_b ; -- Begin function _ZN9rocsparseL21csrmvt_general_kernelILj256ELj8EllaaiiEEvbbT2_NS_24const_host_device_scalarIT6_EEPKT1_S7_PKS1_PKT3_PKT4_PT5_21rocsparse_index_base_b
	.p2align	8
	.type	_ZN9rocsparseL21csrmvt_general_kernelILj256ELj8EllaaiiEEvbbT2_NS_24const_host_device_scalarIT6_EEPKT1_S7_PKS1_PKT3_PKT4_PT5_21rocsparse_index_base_b,@function
_ZN9rocsparseL21csrmvt_general_kernelILj256ELj8EllaaiiEEvbbT2_NS_24const_host_device_scalarIT6_EEPKT1_S7_PKS1_PKT3_PKT4_PT5_21rocsparse_index_base_b: ; @_ZN9rocsparseL21csrmvt_general_kernelILj256ELj8EllaaiiEEvbbT2_NS_24const_host_device_scalarIT6_EEPKT1_S7_PKS1_PKT3_PKT4_PT5_21rocsparse_index_base_b
; %bb.0:
	s_load_dwordx2 s[24:25], s[4:5], 0x48
	s_load_dwordx8 s[8:15], s[4:5], 0x8
	s_waitcnt lgkmcnt(0)
	s_bitcmp0_b32 s25, 0
	s_cbranch_scc0 .LBB161_2
; %bb.1:
	s_load_dword s25, s[10:11], 0x0
	s_cbranch_execz .LBB161_3
	s_branch .LBB161_4
.LBB161_2:
                                        ; implicit-def: $sgpr25
.LBB161_3:
	s_waitcnt lgkmcnt(0)
	s_mov_b32 s25, s10
.LBB161_4:
	s_waitcnt lgkmcnt(0)
	s_cmp_eq_u32 s25, 0
	s_cbranch_scc1 .LBB161_22
; %bb.5:
	s_load_dword s0, s[4:5], 0x0
	s_load_dword s1, s[4:5], 0x50
	s_load_dwordx8 s[16:23], s[4:5], 0x28
	v_and_b32_e32 v10, 7, v0
	v_lshl_or_b32 v0, s6, 8, v0
	s_waitcnt lgkmcnt(0)
	s_and_b32 s0, s0, 1
	s_lshl_b32 s28, s1, 5
	v_lshrrev_b32_e32 v0, 3, v0
	v_mov_b32_e32 v1, 0
	s_cmp_eq_u32 s0, 0
	v_cmp_gt_i64_e64 s[0:1], s[8:9], v[0:1]
	s_mov_b64 s[2:3], -1
	s_cbranch_scc0 .LBB161_13
; %bb.6:
	s_and_saveexec_b64 s[4:5], s[0:1]
	s_cbranch_execz .LBB161_12
; %bb.7:
	s_mov_b32 s10, 0
	v_subrev_co_u32_e32 v11, vcc, s24, v10
	v_subb_co_u32_e64 v12, s[2:3], 0, 0, vcc
	s_mov_b64 s[6:7], 0
	v_mov_b32_e32 v13, s13
	v_mov_b32_e32 v14, s15
	;; [unrolled: 1-line block ×3, first 2 shown]
	v_pk_mov_b32 v[2:3], v[0:1], v[0:1] op_sel:[0,1]
	s_branch .LBB161_9
.LBB161_8:                              ;   in Loop: Header=BB161_9 Depth=1
	s_or_b64 exec, exec, s[10:11]
	v_add_co_u32_e32 v2, vcc, s28, v2
	v_addc_co_u32_e32 v3, vcc, 0, v3, vcc
	v_cmp_le_i64_e32 vcc, s[8:9], v[2:3]
	s_or_b64 s[6:7], vcc, s[6:7]
	s_andn2_b64 exec, exec, s[6:7]
	s_cbranch_execz .LBB161_12
.LBB161_9:                              ; =>This Loop Header: Depth=1
                                        ;     Child Loop BB161_11 Depth 2
	v_lshlrev_b64 v[4:5], 3, v[2:3]
	v_add_co_u32_e32 v6, vcc, s14, v4
	v_addc_co_u32_e32 v7, vcc, v14, v5, vcc
	global_load_dwordx2 v[6:7], v[6:7], off
	v_add_co_u32_e32 v4, vcc, s12, v4
	v_addc_co_u32_e32 v5, vcc, v13, v5, vcc
	global_load_dwordx2 v[8:9], v[4:5], off
	s_waitcnt vmcnt(1)
	v_subrev_co_u32_e32 v4, vcc, s24, v6
	v_subb_co_u32_e32 v5, vcc, v7, v15, vcc
	s_waitcnt vmcnt(0)
	v_add_co_u32_e32 v6, vcc, v8, v11
	v_addc_co_u32_e32 v7, vcc, v9, v12, vcc
	v_cmp_lt_i64_e32 vcc, v[6:7], v[4:5]
	s_and_saveexec_b64 s[10:11], vcc
	s_cbranch_execz .LBB161_8
; %bb.10:                               ;   in Loop: Header=BB161_9 Depth=1
	v_mov_b32_e32 v9, s21
	v_add_co_u32_e32 v8, vcc, s20, v2
	v_addc_co_u32_e32 v9, vcc, v9, v3, vcc
	global_load_sbyte v16, v[8:9], off
	v_lshlrev_b64 v[8:9], 3, v[6:7]
	v_mov_b32_e32 v17, s17
	v_add_co_u32_e32 v8, vcc, s16, v8
	v_addc_co_u32_e32 v9, vcc, v17, v9, vcc
	s_mov_b64 s[26:27], 0
	s_waitcnt vmcnt(0)
	v_mul_lo_u32 v16, s25, v16
.LBB161_11:                             ;   Parent Loop BB161_9 Depth=1
                                        ; =>  This Inner Loop Header: Depth=2
	global_load_dwordx2 v[18:19], v[8:9], off
	v_mov_b32_e32 v17, s19
	v_add_co_u32_e32 v20, vcc, s18, v6
	v_addc_co_u32_e32 v21, vcc, v17, v7, vcc
	global_load_sbyte v17, v[20:21], off
	v_mov_b32_e32 v20, s23
	v_add_co_u32_e64 v6, s[2:3], 8, v6
	v_addc_co_u32_e64 v7, s[2:3], 0, v7, s[2:3]
	v_cmp_ge_i64_e64 s[2:3], v[6:7], v[4:5]
	s_or_b64 s[26:27], s[2:3], s[26:27]
	s_waitcnt vmcnt(1)
	v_subrev_co_u32_e32 v18, vcc, s24, v18
	v_subb_co_u32_e32 v19, vcc, v19, v15, vcc
	v_lshlrev_b64 v[18:19], 2, v[18:19]
	v_add_co_u32_e32 v18, vcc, s22, v18
	v_addc_co_u32_e32 v19, vcc, v20, v19, vcc
	s_waitcnt vmcnt(0)
	v_mul_lo_u32 v17, v16, v17
	global_atomic_add v[18:19], v17, off
	v_add_co_u32_e32 v8, vcc, 64, v8
	v_addc_co_u32_e32 v9, vcc, 0, v9, vcc
	s_andn2_b64 exec, exec, s[26:27]
	s_cbranch_execnz .LBB161_11
	s_branch .LBB161_8
.LBB161_12:
	s_or_b64 exec, exec, s[4:5]
	s_mov_b64 s[2:3], 0
.LBB161_13:
	s_andn2_b64 vcc, exec, s[2:3]
	s_cbranch_vccnz .LBB161_22
; %bb.14:
	s_and_saveexec_b64 s[2:3], s[0:1]
	s_cbranch_execz .LBB161_22
; %bb.15:
	v_subrev_co_u32_e32 v10, vcc, s24, v10
	s_mov_b32 s2, 0
	v_subb_co_u32_e64 v11, s[0:1], 0, 0, vcc
	s_mov_b64 s[0:1], 0
	v_mov_b32_e32 v12, s13
	v_mov_b32_e32 v13, s15
	;; [unrolled: 1-line block ×3, first 2 shown]
	s_branch .LBB161_17
.LBB161_16:                             ;   in Loop: Header=BB161_17 Depth=1
	s_or_b64 exec, exec, s[2:3]
	v_add_co_u32_e32 v0, vcc, s28, v0
	v_addc_co_u32_e32 v1, vcc, 0, v1, vcc
	v_cmp_le_i64_e32 vcc, s[8:9], v[0:1]
	s_or_b64 s[0:1], vcc, s[0:1]
	s_andn2_b64 exec, exec, s[0:1]
	s_cbranch_execz .LBB161_22
.LBB161_17:                             ; =>This Loop Header: Depth=1
                                        ;     Child Loop BB161_20 Depth 2
	v_lshlrev_b64 v[2:3], 3, v[0:1]
	v_add_co_u32_e32 v4, vcc, s14, v2
	v_addc_co_u32_e32 v5, vcc, v13, v3, vcc
	global_load_dwordx2 v[4:5], v[4:5], off
	v_add_co_u32_e32 v2, vcc, s12, v2
	v_addc_co_u32_e32 v3, vcc, v12, v3, vcc
	global_load_dwordx2 v[6:7], v[2:3], off
	s_waitcnt vmcnt(1)
	v_subrev_co_u32_e32 v2, vcc, s24, v4
	v_subb_co_u32_e32 v3, vcc, v5, v14, vcc
	s_waitcnt vmcnt(0)
	v_add_co_u32_e32 v4, vcc, v6, v10
	v_addc_co_u32_e32 v5, vcc, v7, v11, vcc
	v_cmp_lt_i64_e32 vcc, v[4:5], v[2:3]
	s_and_saveexec_b64 s[2:3], vcc
	s_cbranch_execz .LBB161_16
; %bb.18:                               ;   in Loop: Header=BB161_17 Depth=1
	v_mov_b32_e32 v7, s21
	v_add_co_u32_e32 v6, vcc, s20, v0
	v_addc_co_u32_e32 v7, vcc, v7, v1, vcc
	global_load_sbyte v8, v[6:7], off
	v_lshlrev_b64 v[6:7], 3, v[4:5]
	v_mov_b32_e32 v9, s17
	v_add_co_u32_e32 v6, vcc, s16, v6
	v_addc_co_u32_e32 v7, vcc, v9, v7, vcc
	s_mov_b64 s[4:5], 0
	s_waitcnt vmcnt(0)
	v_mul_lo_u32 v15, s25, v8
	s_branch .LBB161_20
.LBB161_19:                             ;   in Loop: Header=BB161_20 Depth=2
	s_or_b64 exec, exec, s[6:7]
	v_add_co_u32_e32 v4, vcc, 8, v4
	v_addc_co_u32_e32 v5, vcc, 0, v5, vcc
	v_cmp_ge_i64_e32 vcc, v[4:5], v[2:3]
	s_or_b64 s[4:5], vcc, s[4:5]
	v_add_co_u32_e32 v6, vcc, 64, v6
	v_addc_co_u32_e32 v7, vcc, 0, v7, vcc
	s_andn2_b64 exec, exec, s[4:5]
	s_cbranch_execz .LBB161_16
.LBB161_20:                             ;   Parent Loop BB161_17 Depth=1
                                        ; =>  This Inner Loop Header: Depth=2
	global_load_dwordx2 v[8:9], v[6:7], off
	s_waitcnt vmcnt(0)
	v_subrev_co_u32_e32 v8, vcc, s24, v8
	v_subb_co_u32_e32 v9, vcc, v9, v14, vcc
	v_cmp_ne_u64_e32 vcc, v[8:9], v[0:1]
	s_and_saveexec_b64 s[6:7], vcc
	s_cbranch_execz .LBB161_19
; %bb.21:                               ;   in Loop: Header=BB161_20 Depth=2
	v_mov_b32_e32 v17, s19
	v_add_co_u32_e32 v16, vcc, s18, v4
	v_addc_co_u32_e32 v17, vcc, v17, v5, vcc
	global_load_sbyte v16, v[16:17], off
	v_lshlrev_b64 v[8:9], 2, v[8:9]
	v_mov_b32_e32 v17, s23
	v_add_co_u32_e32 v8, vcc, s22, v8
	v_addc_co_u32_e32 v9, vcc, v17, v9, vcc
	s_waitcnt vmcnt(0)
	v_mul_lo_u32 v16, v15, v16
	global_atomic_add v[8:9], v16, off
	s_branch .LBB161_19
.LBB161_22:
	s_endpgm
	.section	.rodata,"a",@progbits
	.p2align	6, 0x0
	.amdhsa_kernel _ZN9rocsparseL21csrmvt_general_kernelILj256ELj8EllaaiiEEvbbT2_NS_24const_host_device_scalarIT6_EEPKT1_S7_PKS1_PKT3_PKT4_PT5_21rocsparse_index_base_b
		.amdhsa_group_segment_fixed_size 0
		.amdhsa_private_segment_fixed_size 0
		.amdhsa_kernarg_size 336
		.amdhsa_user_sgpr_count 6
		.amdhsa_user_sgpr_private_segment_buffer 1
		.amdhsa_user_sgpr_dispatch_ptr 0
		.amdhsa_user_sgpr_queue_ptr 0
		.amdhsa_user_sgpr_kernarg_segment_ptr 1
		.amdhsa_user_sgpr_dispatch_id 0
		.amdhsa_user_sgpr_flat_scratch_init 0
		.amdhsa_user_sgpr_kernarg_preload_length 0
		.amdhsa_user_sgpr_kernarg_preload_offset 0
		.amdhsa_user_sgpr_private_segment_size 0
		.amdhsa_uses_dynamic_stack 0
		.amdhsa_system_sgpr_private_segment_wavefront_offset 0
		.amdhsa_system_sgpr_workgroup_id_x 1
		.amdhsa_system_sgpr_workgroup_id_y 0
		.amdhsa_system_sgpr_workgroup_id_z 0
		.amdhsa_system_sgpr_workgroup_info 0
		.amdhsa_system_vgpr_workitem_id 0
		.amdhsa_next_free_vgpr 22
		.amdhsa_next_free_sgpr 29
		.amdhsa_accum_offset 24
		.amdhsa_reserve_vcc 1
		.amdhsa_reserve_flat_scratch 0
		.amdhsa_float_round_mode_32 0
		.amdhsa_float_round_mode_16_64 0
		.amdhsa_float_denorm_mode_32 3
		.amdhsa_float_denorm_mode_16_64 3
		.amdhsa_dx10_clamp 1
		.amdhsa_ieee_mode 1
		.amdhsa_fp16_overflow 0
		.amdhsa_tg_split 0
		.amdhsa_exception_fp_ieee_invalid_op 0
		.amdhsa_exception_fp_denorm_src 0
		.amdhsa_exception_fp_ieee_div_zero 0
		.amdhsa_exception_fp_ieee_overflow 0
		.amdhsa_exception_fp_ieee_underflow 0
		.amdhsa_exception_fp_ieee_inexact 0
		.amdhsa_exception_int_div_zero 0
	.end_amdhsa_kernel
	.section	.text._ZN9rocsparseL21csrmvt_general_kernelILj256ELj8EllaaiiEEvbbT2_NS_24const_host_device_scalarIT6_EEPKT1_S7_PKS1_PKT3_PKT4_PT5_21rocsparse_index_base_b,"axG",@progbits,_ZN9rocsparseL21csrmvt_general_kernelILj256ELj8EllaaiiEEvbbT2_NS_24const_host_device_scalarIT6_EEPKT1_S7_PKS1_PKT3_PKT4_PT5_21rocsparse_index_base_b,comdat
.Lfunc_end161:
	.size	_ZN9rocsparseL21csrmvt_general_kernelILj256ELj8EllaaiiEEvbbT2_NS_24const_host_device_scalarIT6_EEPKT1_S7_PKS1_PKT3_PKT4_PT5_21rocsparse_index_base_b, .Lfunc_end161-_ZN9rocsparseL21csrmvt_general_kernelILj256ELj8EllaaiiEEvbbT2_NS_24const_host_device_scalarIT6_EEPKT1_S7_PKS1_PKT3_PKT4_PT5_21rocsparse_index_base_b
                                        ; -- End function
	.section	.AMDGPU.csdata,"",@progbits
; Kernel info:
; codeLenInByte = 840
; NumSgprs: 33
; NumVgprs: 22
; NumAgprs: 0
; TotalNumVgprs: 22
; ScratchSize: 0
; MemoryBound: 0
; FloatMode: 240
; IeeeMode: 1
; LDSByteSize: 0 bytes/workgroup (compile time only)
; SGPRBlocks: 4
; VGPRBlocks: 2
; NumSGPRsForWavesPerEU: 33
; NumVGPRsForWavesPerEU: 22
; AccumOffset: 24
; Occupancy: 8
; WaveLimiterHint : 1
; COMPUTE_PGM_RSRC2:SCRATCH_EN: 0
; COMPUTE_PGM_RSRC2:USER_SGPR: 6
; COMPUTE_PGM_RSRC2:TRAP_HANDLER: 0
; COMPUTE_PGM_RSRC2:TGID_X_EN: 1
; COMPUTE_PGM_RSRC2:TGID_Y_EN: 0
; COMPUTE_PGM_RSRC2:TGID_Z_EN: 0
; COMPUTE_PGM_RSRC2:TIDIG_COMP_CNT: 0
; COMPUTE_PGM_RSRC3_GFX90A:ACCUM_OFFSET: 5
; COMPUTE_PGM_RSRC3_GFX90A:TG_SPLIT: 0
	.section	.text._ZN9rocsparseL21csrmvt_general_kernelILj256ELj16EllaaiiEEvbbT2_NS_24const_host_device_scalarIT6_EEPKT1_S7_PKS1_PKT3_PKT4_PT5_21rocsparse_index_base_b,"axG",@progbits,_ZN9rocsparseL21csrmvt_general_kernelILj256ELj16EllaaiiEEvbbT2_NS_24const_host_device_scalarIT6_EEPKT1_S7_PKS1_PKT3_PKT4_PT5_21rocsparse_index_base_b,comdat
	.globl	_ZN9rocsparseL21csrmvt_general_kernelILj256ELj16EllaaiiEEvbbT2_NS_24const_host_device_scalarIT6_EEPKT1_S7_PKS1_PKT3_PKT4_PT5_21rocsparse_index_base_b ; -- Begin function _ZN9rocsparseL21csrmvt_general_kernelILj256ELj16EllaaiiEEvbbT2_NS_24const_host_device_scalarIT6_EEPKT1_S7_PKS1_PKT3_PKT4_PT5_21rocsparse_index_base_b
	.p2align	8
	.type	_ZN9rocsparseL21csrmvt_general_kernelILj256ELj16EllaaiiEEvbbT2_NS_24const_host_device_scalarIT6_EEPKT1_S7_PKS1_PKT3_PKT4_PT5_21rocsparse_index_base_b,@function
_ZN9rocsparseL21csrmvt_general_kernelILj256ELj16EllaaiiEEvbbT2_NS_24const_host_device_scalarIT6_EEPKT1_S7_PKS1_PKT3_PKT4_PT5_21rocsparse_index_base_b: ; @_ZN9rocsparseL21csrmvt_general_kernelILj256ELj16EllaaiiEEvbbT2_NS_24const_host_device_scalarIT6_EEPKT1_S7_PKS1_PKT3_PKT4_PT5_21rocsparse_index_base_b
; %bb.0:
	s_load_dwordx2 s[24:25], s[4:5], 0x48
	s_load_dwordx8 s[8:15], s[4:5], 0x8
	s_waitcnt lgkmcnt(0)
	s_bitcmp0_b32 s25, 0
	s_cbranch_scc0 .LBB162_2
; %bb.1:
	s_load_dword s25, s[10:11], 0x0
	s_cbranch_execz .LBB162_3
	s_branch .LBB162_4
.LBB162_2:
                                        ; implicit-def: $sgpr25
.LBB162_3:
	s_waitcnt lgkmcnt(0)
	s_mov_b32 s25, s10
.LBB162_4:
	s_waitcnt lgkmcnt(0)
	s_cmp_eq_u32 s25, 0
	s_cbranch_scc1 .LBB162_22
; %bb.5:
	s_load_dword s0, s[4:5], 0x0
	s_load_dword s1, s[4:5], 0x50
	s_load_dwordx8 s[16:23], s[4:5], 0x28
	v_and_b32_e32 v10, 15, v0
	v_lshl_or_b32 v0, s6, 8, v0
	s_waitcnt lgkmcnt(0)
	s_and_b32 s0, s0, 1
	s_lshl_b32 s28, s1, 4
	v_lshrrev_b32_e32 v0, 4, v0
	v_mov_b32_e32 v1, 0
	s_cmp_eq_u32 s0, 0
	v_cmp_gt_i64_e64 s[0:1], s[8:9], v[0:1]
	s_mov_b64 s[2:3], -1
	s_cbranch_scc0 .LBB162_13
; %bb.6:
	s_and_saveexec_b64 s[4:5], s[0:1]
	s_cbranch_execz .LBB162_12
; %bb.7:
	s_mov_b32 s10, 0
	v_subrev_co_u32_e32 v11, vcc, s24, v10
	v_subb_co_u32_e64 v12, s[2:3], 0, 0, vcc
	s_mov_b64 s[6:7], 0
	v_mov_b32_e32 v13, s13
	v_mov_b32_e32 v14, s15
	v_mov_b32_e32 v15, s10
	v_pk_mov_b32 v[2:3], v[0:1], v[0:1] op_sel:[0,1]
	s_branch .LBB162_9
.LBB162_8:                              ;   in Loop: Header=BB162_9 Depth=1
	s_or_b64 exec, exec, s[10:11]
	v_add_co_u32_e32 v2, vcc, s28, v2
	v_addc_co_u32_e32 v3, vcc, 0, v3, vcc
	v_cmp_le_i64_e32 vcc, s[8:9], v[2:3]
	s_or_b64 s[6:7], vcc, s[6:7]
	s_andn2_b64 exec, exec, s[6:7]
	s_cbranch_execz .LBB162_12
.LBB162_9:                              ; =>This Loop Header: Depth=1
                                        ;     Child Loop BB162_11 Depth 2
	v_lshlrev_b64 v[4:5], 3, v[2:3]
	v_add_co_u32_e32 v6, vcc, s14, v4
	v_addc_co_u32_e32 v7, vcc, v14, v5, vcc
	global_load_dwordx2 v[6:7], v[6:7], off
	v_add_co_u32_e32 v4, vcc, s12, v4
	v_addc_co_u32_e32 v5, vcc, v13, v5, vcc
	global_load_dwordx2 v[8:9], v[4:5], off
	s_waitcnt vmcnt(1)
	v_subrev_co_u32_e32 v4, vcc, s24, v6
	v_subb_co_u32_e32 v5, vcc, v7, v15, vcc
	s_waitcnt vmcnt(0)
	v_add_co_u32_e32 v6, vcc, v8, v11
	v_addc_co_u32_e32 v7, vcc, v9, v12, vcc
	v_cmp_lt_i64_e32 vcc, v[6:7], v[4:5]
	s_and_saveexec_b64 s[10:11], vcc
	s_cbranch_execz .LBB162_8
; %bb.10:                               ;   in Loop: Header=BB162_9 Depth=1
	v_mov_b32_e32 v9, s21
	v_add_co_u32_e32 v8, vcc, s20, v2
	v_addc_co_u32_e32 v9, vcc, v9, v3, vcc
	global_load_sbyte v16, v[8:9], off
	v_lshlrev_b64 v[8:9], 3, v[6:7]
	v_mov_b32_e32 v17, s17
	v_add_co_u32_e32 v8, vcc, s16, v8
	v_addc_co_u32_e32 v9, vcc, v17, v9, vcc
	s_mov_b64 s[26:27], 0
	s_waitcnt vmcnt(0)
	v_mul_lo_u32 v16, s25, v16
.LBB162_11:                             ;   Parent Loop BB162_9 Depth=1
                                        ; =>  This Inner Loop Header: Depth=2
	global_load_dwordx2 v[18:19], v[8:9], off
	v_mov_b32_e32 v17, s19
	v_add_co_u32_e32 v20, vcc, s18, v6
	v_addc_co_u32_e32 v21, vcc, v17, v7, vcc
	global_load_sbyte v17, v[20:21], off
	v_mov_b32_e32 v20, s23
	v_add_co_u32_e64 v6, s[2:3], 16, v6
	v_addc_co_u32_e64 v7, s[2:3], 0, v7, s[2:3]
	v_cmp_ge_i64_e64 s[2:3], v[6:7], v[4:5]
	s_or_b64 s[26:27], s[2:3], s[26:27]
	s_waitcnt vmcnt(1)
	v_subrev_co_u32_e32 v18, vcc, s24, v18
	v_subb_co_u32_e32 v19, vcc, v19, v15, vcc
	v_lshlrev_b64 v[18:19], 2, v[18:19]
	v_add_co_u32_e32 v18, vcc, s22, v18
	v_addc_co_u32_e32 v19, vcc, v20, v19, vcc
	s_waitcnt vmcnt(0)
	v_mul_lo_u32 v17, v16, v17
	global_atomic_add v[18:19], v17, off
	v_add_co_u32_e32 v8, vcc, 0x80, v8
	v_addc_co_u32_e32 v9, vcc, 0, v9, vcc
	s_andn2_b64 exec, exec, s[26:27]
	s_cbranch_execnz .LBB162_11
	s_branch .LBB162_8
.LBB162_12:
	s_or_b64 exec, exec, s[4:5]
	s_mov_b64 s[2:3], 0
.LBB162_13:
	s_andn2_b64 vcc, exec, s[2:3]
	s_cbranch_vccnz .LBB162_22
; %bb.14:
	s_and_saveexec_b64 s[2:3], s[0:1]
	s_cbranch_execz .LBB162_22
; %bb.15:
	s_mov_b32 s4, 0
	v_subrev_co_u32_e32 v10, vcc, s24, v10
	v_subb_co_u32_e64 v11, s[0:1], 0, 0, vcc
	s_mov_b64 s[2:3], 0
	v_mov_b32_e32 v12, s13
	v_mov_b32_e32 v13, s15
	;; [unrolled: 1-line block ×3, first 2 shown]
	s_branch .LBB162_17
.LBB162_16:                             ;   in Loop: Header=BB162_17 Depth=1
	s_or_b64 exec, exec, s[4:5]
	v_add_co_u32_e32 v0, vcc, s28, v0
	v_addc_co_u32_e32 v1, vcc, 0, v1, vcc
	v_cmp_le_i64_e32 vcc, s[8:9], v[0:1]
	s_or_b64 s[2:3], vcc, s[2:3]
	s_andn2_b64 exec, exec, s[2:3]
	s_cbranch_execz .LBB162_22
.LBB162_17:                             ; =>This Loop Header: Depth=1
                                        ;     Child Loop BB162_20 Depth 2
	v_lshlrev_b64 v[2:3], 3, v[0:1]
	v_add_co_u32_e32 v4, vcc, s14, v2
	v_addc_co_u32_e32 v5, vcc, v13, v3, vcc
	global_load_dwordx2 v[4:5], v[4:5], off
	v_add_co_u32_e32 v2, vcc, s12, v2
	v_addc_co_u32_e32 v3, vcc, v12, v3, vcc
	global_load_dwordx2 v[6:7], v[2:3], off
	s_waitcnt vmcnt(1)
	v_subrev_co_u32_e32 v2, vcc, s24, v4
	v_subb_co_u32_e32 v3, vcc, v5, v14, vcc
	s_waitcnt vmcnt(0)
	v_add_co_u32_e32 v4, vcc, v6, v10
	v_addc_co_u32_e32 v5, vcc, v7, v11, vcc
	v_cmp_lt_i64_e32 vcc, v[4:5], v[2:3]
	s_and_saveexec_b64 s[4:5], vcc
	s_cbranch_execz .LBB162_16
; %bb.18:                               ;   in Loop: Header=BB162_17 Depth=1
	v_mov_b32_e32 v7, s21
	v_add_co_u32_e32 v6, vcc, s20, v0
	v_addc_co_u32_e32 v7, vcc, v7, v1, vcc
	global_load_sbyte v8, v[6:7], off
	v_lshlrev_b64 v[6:7], 3, v[4:5]
	v_mov_b32_e32 v9, s17
	v_add_co_u32_e32 v6, vcc, s16, v6
	v_addc_co_u32_e32 v7, vcc, v9, v7, vcc
	s_mov_b64 s[6:7], 0
	s_waitcnt vmcnt(0)
	v_mul_lo_u32 v15, s25, v8
	s_branch .LBB162_20
.LBB162_19:                             ;   in Loop: Header=BB162_20 Depth=2
	s_or_b64 exec, exec, s[0:1]
	v_add_co_u32_e32 v4, vcc, 16, v4
	v_addc_co_u32_e32 v5, vcc, 0, v5, vcc
	v_add_co_u32_e32 v6, vcc, 0x80, v6
	v_cmp_ge_i64_e64 s[0:1], v[4:5], v[2:3]
	s_or_b64 s[6:7], s[0:1], s[6:7]
	v_addc_co_u32_e32 v7, vcc, 0, v7, vcc
	s_andn2_b64 exec, exec, s[6:7]
	s_cbranch_execz .LBB162_16
.LBB162_20:                             ;   Parent Loop BB162_17 Depth=1
                                        ; =>  This Inner Loop Header: Depth=2
	global_load_dwordx2 v[8:9], v[6:7], off
	s_waitcnt vmcnt(0)
	v_subrev_co_u32_e32 v8, vcc, s24, v8
	v_subb_co_u32_e32 v9, vcc, v9, v14, vcc
	v_cmp_ne_u64_e32 vcc, v[8:9], v[0:1]
	s_and_saveexec_b64 s[0:1], vcc
	s_cbranch_execz .LBB162_19
; %bb.21:                               ;   in Loop: Header=BB162_20 Depth=2
	v_mov_b32_e32 v17, s19
	v_add_co_u32_e32 v16, vcc, s18, v4
	v_addc_co_u32_e32 v17, vcc, v17, v5, vcc
	global_load_sbyte v16, v[16:17], off
	v_lshlrev_b64 v[8:9], 2, v[8:9]
	v_mov_b32_e32 v17, s23
	v_add_co_u32_e32 v8, vcc, s22, v8
	v_addc_co_u32_e32 v9, vcc, v17, v9, vcc
	s_waitcnt vmcnt(0)
	v_mul_lo_u32 v16, v15, v16
	global_atomic_add v[8:9], v16, off
	s_branch .LBB162_19
.LBB162_22:
	s_endpgm
	.section	.rodata,"a",@progbits
	.p2align	6, 0x0
	.amdhsa_kernel _ZN9rocsparseL21csrmvt_general_kernelILj256ELj16EllaaiiEEvbbT2_NS_24const_host_device_scalarIT6_EEPKT1_S7_PKS1_PKT3_PKT4_PT5_21rocsparse_index_base_b
		.amdhsa_group_segment_fixed_size 0
		.amdhsa_private_segment_fixed_size 0
		.amdhsa_kernarg_size 336
		.amdhsa_user_sgpr_count 6
		.amdhsa_user_sgpr_private_segment_buffer 1
		.amdhsa_user_sgpr_dispatch_ptr 0
		.amdhsa_user_sgpr_queue_ptr 0
		.amdhsa_user_sgpr_kernarg_segment_ptr 1
		.amdhsa_user_sgpr_dispatch_id 0
		.amdhsa_user_sgpr_flat_scratch_init 0
		.amdhsa_user_sgpr_kernarg_preload_length 0
		.amdhsa_user_sgpr_kernarg_preload_offset 0
		.amdhsa_user_sgpr_private_segment_size 0
		.amdhsa_uses_dynamic_stack 0
		.amdhsa_system_sgpr_private_segment_wavefront_offset 0
		.amdhsa_system_sgpr_workgroup_id_x 1
		.amdhsa_system_sgpr_workgroup_id_y 0
		.amdhsa_system_sgpr_workgroup_id_z 0
		.amdhsa_system_sgpr_workgroup_info 0
		.amdhsa_system_vgpr_workitem_id 0
		.amdhsa_next_free_vgpr 22
		.amdhsa_next_free_sgpr 29
		.amdhsa_accum_offset 24
		.amdhsa_reserve_vcc 1
		.amdhsa_reserve_flat_scratch 0
		.amdhsa_float_round_mode_32 0
		.amdhsa_float_round_mode_16_64 0
		.amdhsa_float_denorm_mode_32 3
		.amdhsa_float_denorm_mode_16_64 3
		.amdhsa_dx10_clamp 1
		.amdhsa_ieee_mode 1
		.amdhsa_fp16_overflow 0
		.amdhsa_tg_split 0
		.amdhsa_exception_fp_ieee_invalid_op 0
		.amdhsa_exception_fp_denorm_src 0
		.amdhsa_exception_fp_ieee_div_zero 0
		.amdhsa_exception_fp_ieee_overflow 0
		.amdhsa_exception_fp_ieee_underflow 0
		.amdhsa_exception_fp_ieee_inexact 0
		.amdhsa_exception_int_div_zero 0
	.end_amdhsa_kernel
	.section	.text._ZN9rocsparseL21csrmvt_general_kernelILj256ELj16EllaaiiEEvbbT2_NS_24const_host_device_scalarIT6_EEPKT1_S7_PKS1_PKT3_PKT4_PT5_21rocsparse_index_base_b,"axG",@progbits,_ZN9rocsparseL21csrmvt_general_kernelILj256ELj16EllaaiiEEvbbT2_NS_24const_host_device_scalarIT6_EEPKT1_S7_PKS1_PKT3_PKT4_PT5_21rocsparse_index_base_b,comdat
.Lfunc_end162:
	.size	_ZN9rocsparseL21csrmvt_general_kernelILj256ELj16EllaaiiEEvbbT2_NS_24const_host_device_scalarIT6_EEPKT1_S7_PKS1_PKT3_PKT4_PT5_21rocsparse_index_base_b, .Lfunc_end162-_ZN9rocsparseL21csrmvt_general_kernelILj256ELj16EllaaiiEEvbbT2_NS_24const_host_device_scalarIT6_EEPKT1_S7_PKS1_PKT3_PKT4_PT5_21rocsparse_index_base_b
                                        ; -- End function
	.section	.AMDGPU.csdata,"",@progbits
; Kernel info:
; codeLenInByte = 852
; NumSgprs: 33
; NumVgprs: 22
; NumAgprs: 0
; TotalNumVgprs: 22
; ScratchSize: 0
; MemoryBound: 0
; FloatMode: 240
; IeeeMode: 1
; LDSByteSize: 0 bytes/workgroup (compile time only)
; SGPRBlocks: 4
; VGPRBlocks: 2
; NumSGPRsForWavesPerEU: 33
; NumVGPRsForWavesPerEU: 22
; AccumOffset: 24
; Occupancy: 8
; WaveLimiterHint : 1
; COMPUTE_PGM_RSRC2:SCRATCH_EN: 0
; COMPUTE_PGM_RSRC2:USER_SGPR: 6
; COMPUTE_PGM_RSRC2:TRAP_HANDLER: 0
; COMPUTE_PGM_RSRC2:TGID_X_EN: 1
; COMPUTE_PGM_RSRC2:TGID_Y_EN: 0
; COMPUTE_PGM_RSRC2:TGID_Z_EN: 0
; COMPUTE_PGM_RSRC2:TIDIG_COMP_CNT: 0
; COMPUTE_PGM_RSRC3_GFX90A:ACCUM_OFFSET: 5
; COMPUTE_PGM_RSRC3_GFX90A:TG_SPLIT: 0
	.section	.text._ZN9rocsparseL21csrmvt_general_kernelILj256ELj32EllaaiiEEvbbT2_NS_24const_host_device_scalarIT6_EEPKT1_S7_PKS1_PKT3_PKT4_PT5_21rocsparse_index_base_b,"axG",@progbits,_ZN9rocsparseL21csrmvt_general_kernelILj256ELj32EllaaiiEEvbbT2_NS_24const_host_device_scalarIT6_EEPKT1_S7_PKS1_PKT3_PKT4_PT5_21rocsparse_index_base_b,comdat
	.globl	_ZN9rocsparseL21csrmvt_general_kernelILj256ELj32EllaaiiEEvbbT2_NS_24const_host_device_scalarIT6_EEPKT1_S7_PKS1_PKT3_PKT4_PT5_21rocsparse_index_base_b ; -- Begin function _ZN9rocsparseL21csrmvt_general_kernelILj256ELj32EllaaiiEEvbbT2_NS_24const_host_device_scalarIT6_EEPKT1_S7_PKS1_PKT3_PKT4_PT5_21rocsparse_index_base_b
	.p2align	8
	.type	_ZN9rocsparseL21csrmvt_general_kernelILj256ELj32EllaaiiEEvbbT2_NS_24const_host_device_scalarIT6_EEPKT1_S7_PKS1_PKT3_PKT4_PT5_21rocsparse_index_base_b,@function
_ZN9rocsparseL21csrmvt_general_kernelILj256ELj32EllaaiiEEvbbT2_NS_24const_host_device_scalarIT6_EEPKT1_S7_PKS1_PKT3_PKT4_PT5_21rocsparse_index_base_b: ; @_ZN9rocsparseL21csrmvt_general_kernelILj256ELj32EllaaiiEEvbbT2_NS_24const_host_device_scalarIT6_EEPKT1_S7_PKS1_PKT3_PKT4_PT5_21rocsparse_index_base_b
; %bb.0:
	s_load_dwordx2 s[24:25], s[4:5], 0x48
	s_load_dwordx8 s[8:15], s[4:5], 0x8
	s_waitcnt lgkmcnt(0)
	s_bitcmp0_b32 s25, 0
	s_cbranch_scc0 .LBB163_2
; %bb.1:
	s_load_dword s25, s[10:11], 0x0
	s_cbranch_execz .LBB163_3
	s_branch .LBB163_4
.LBB163_2:
                                        ; implicit-def: $sgpr25
.LBB163_3:
	s_waitcnt lgkmcnt(0)
	s_mov_b32 s25, s10
.LBB163_4:
	s_waitcnt lgkmcnt(0)
	s_cmp_eq_u32 s25, 0
	s_cbranch_scc1 .LBB163_22
; %bb.5:
	s_load_dword s0, s[4:5], 0x0
	s_load_dword s1, s[4:5], 0x50
	s_load_dwordx8 s[16:23], s[4:5], 0x28
	v_and_b32_e32 v10, 31, v0
	v_lshl_or_b32 v0, s6, 8, v0
	s_waitcnt lgkmcnt(0)
	s_and_b32 s0, s0, 1
	s_lshl_b32 s28, s1, 3
	v_lshrrev_b32_e32 v0, 5, v0
	v_mov_b32_e32 v1, 0
	s_cmp_eq_u32 s0, 0
	v_cmp_gt_i64_e64 s[0:1], s[8:9], v[0:1]
	s_mov_b64 s[2:3], -1
	s_cbranch_scc0 .LBB163_13
; %bb.6:
	s_and_saveexec_b64 s[4:5], s[0:1]
	s_cbranch_execz .LBB163_12
; %bb.7:
	s_mov_b32 s10, 0
	v_subrev_co_u32_e32 v11, vcc, s24, v10
	v_subb_co_u32_e64 v12, s[2:3], 0, 0, vcc
	s_mov_b64 s[6:7], 0
	v_mov_b32_e32 v13, s13
	v_mov_b32_e32 v14, s15
	;; [unrolled: 1-line block ×3, first 2 shown]
	v_pk_mov_b32 v[2:3], v[0:1], v[0:1] op_sel:[0,1]
	s_branch .LBB163_9
.LBB163_8:                              ;   in Loop: Header=BB163_9 Depth=1
	s_or_b64 exec, exec, s[10:11]
	v_add_co_u32_e32 v2, vcc, s28, v2
	v_addc_co_u32_e32 v3, vcc, 0, v3, vcc
	v_cmp_le_i64_e32 vcc, s[8:9], v[2:3]
	s_or_b64 s[6:7], vcc, s[6:7]
	s_andn2_b64 exec, exec, s[6:7]
	s_cbranch_execz .LBB163_12
.LBB163_9:                              ; =>This Loop Header: Depth=1
                                        ;     Child Loop BB163_11 Depth 2
	v_lshlrev_b64 v[4:5], 3, v[2:3]
	v_add_co_u32_e32 v6, vcc, s14, v4
	v_addc_co_u32_e32 v7, vcc, v14, v5, vcc
	global_load_dwordx2 v[6:7], v[6:7], off
	v_add_co_u32_e32 v4, vcc, s12, v4
	v_addc_co_u32_e32 v5, vcc, v13, v5, vcc
	global_load_dwordx2 v[8:9], v[4:5], off
	s_waitcnt vmcnt(1)
	v_subrev_co_u32_e32 v4, vcc, s24, v6
	v_subb_co_u32_e32 v5, vcc, v7, v15, vcc
	s_waitcnt vmcnt(0)
	v_add_co_u32_e32 v6, vcc, v8, v11
	v_addc_co_u32_e32 v7, vcc, v9, v12, vcc
	v_cmp_lt_i64_e32 vcc, v[6:7], v[4:5]
	s_and_saveexec_b64 s[10:11], vcc
	s_cbranch_execz .LBB163_8
; %bb.10:                               ;   in Loop: Header=BB163_9 Depth=1
	v_mov_b32_e32 v9, s21
	v_add_co_u32_e32 v8, vcc, s20, v2
	v_addc_co_u32_e32 v9, vcc, v9, v3, vcc
	global_load_sbyte v16, v[8:9], off
	v_lshlrev_b64 v[8:9], 3, v[6:7]
	v_mov_b32_e32 v17, s17
	v_add_co_u32_e32 v8, vcc, s16, v8
	v_addc_co_u32_e32 v9, vcc, v17, v9, vcc
	s_mov_b64 s[26:27], 0
	s_waitcnt vmcnt(0)
	v_mul_lo_u32 v16, s25, v16
.LBB163_11:                             ;   Parent Loop BB163_9 Depth=1
                                        ; =>  This Inner Loop Header: Depth=2
	global_load_dwordx2 v[18:19], v[8:9], off
	v_mov_b32_e32 v17, s19
	v_add_co_u32_e32 v20, vcc, s18, v6
	v_addc_co_u32_e32 v21, vcc, v17, v7, vcc
	global_load_sbyte v17, v[20:21], off
	v_mov_b32_e32 v20, s23
	v_add_co_u32_e64 v6, s[2:3], 32, v6
	v_addc_co_u32_e64 v7, s[2:3], 0, v7, s[2:3]
	v_cmp_ge_i64_e64 s[2:3], v[6:7], v[4:5]
	s_or_b64 s[26:27], s[2:3], s[26:27]
	s_waitcnt vmcnt(1)
	v_subrev_co_u32_e32 v18, vcc, s24, v18
	v_subb_co_u32_e32 v19, vcc, v19, v15, vcc
	v_lshlrev_b64 v[18:19], 2, v[18:19]
	v_add_co_u32_e32 v18, vcc, s22, v18
	v_addc_co_u32_e32 v19, vcc, v20, v19, vcc
	s_waitcnt vmcnt(0)
	v_mul_lo_u32 v17, v16, v17
	global_atomic_add v[18:19], v17, off
	v_add_co_u32_e32 v8, vcc, 0x100, v8
	v_addc_co_u32_e32 v9, vcc, 0, v9, vcc
	s_andn2_b64 exec, exec, s[26:27]
	s_cbranch_execnz .LBB163_11
	s_branch .LBB163_8
.LBB163_12:
	s_or_b64 exec, exec, s[4:5]
	s_mov_b64 s[2:3], 0
.LBB163_13:
	s_andn2_b64 vcc, exec, s[2:3]
	s_cbranch_vccnz .LBB163_22
; %bb.14:
	s_and_saveexec_b64 s[2:3], s[0:1]
	s_cbranch_execz .LBB163_22
; %bb.15:
	s_mov_b32 s4, 0
	v_subrev_co_u32_e32 v10, vcc, s24, v10
	v_subb_co_u32_e64 v11, s[0:1], 0, 0, vcc
	s_mov_b64 s[2:3], 0
	v_mov_b32_e32 v12, s13
	v_mov_b32_e32 v13, s15
	;; [unrolled: 1-line block ×3, first 2 shown]
	s_branch .LBB163_17
.LBB163_16:                             ;   in Loop: Header=BB163_17 Depth=1
	s_or_b64 exec, exec, s[4:5]
	v_add_co_u32_e32 v0, vcc, s28, v0
	v_addc_co_u32_e32 v1, vcc, 0, v1, vcc
	v_cmp_le_i64_e32 vcc, s[8:9], v[0:1]
	s_or_b64 s[2:3], vcc, s[2:3]
	s_andn2_b64 exec, exec, s[2:3]
	s_cbranch_execz .LBB163_22
.LBB163_17:                             ; =>This Loop Header: Depth=1
                                        ;     Child Loop BB163_20 Depth 2
	v_lshlrev_b64 v[2:3], 3, v[0:1]
	v_add_co_u32_e32 v4, vcc, s14, v2
	v_addc_co_u32_e32 v5, vcc, v13, v3, vcc
	global_load_dwordx2 v[4:5], v[4:5], off
	v_add_co_u32_e32 v2, vcc, s12, v2
	v_addc_co_u32_e32 v3, vcc, v12, v3, vcc
	global_load_dwordx2 v[6:7], v[2:3], off
	s_waitcnt vmcnt(1)
	v_subrev_co_u32_e32 v2, vcc, s24, v4
	v_subb_co_u32_e32 v3, vcc, v5, v14, vcc
	s_waitcnt vmcnt(0)
	v_add_co_u32_e32 v4, vcc, v6, v10
	v_addc_co_u32_e32 v5, vcc, v7, v11, vcc
	v_cmp_lt_i64_e32 vcc, v[4:5], v[2:3]
	s_and_saveexec_b64 s[4:5], vcc
	s_cbranch_execz .LBB163_16
; %bb.18:                               ;   in Loop: Header=BB163_17 Depth=1
	v_mov_b32_e32 v7, s21
	v_add_co_u32_e32 v6, vcc, s20, v0
	v_addc_co_u32_e32 v7, vcc, v7, v1, vcc
	global_load_sbyte v8, v[6:7], off
	v_lshlrev_b64 v[6:7], 3, v[4:5]
	v_mov_b32_e32 v9, s17
	v_add_co_u32_e32 v6, vcc, s16, v6
	v_addc_co_u32_e32 v7, vcc, v9, v7, vcc
	s_mov_b64 s[6:7], 0
	s_waitcnt vmcnt(0)
	v_mul_lo_u32 v15, s25, v8
	s_branch .LBB163_20
.LBB163_19:                             ;   in Loop: Header=BB163_20 Depth=2
	s_or_b64 exec, exec, s[0:1]
	v_add_co_u32_e32 v4, vcc, 32, v4
	v_addc_co_u32_e32 v5, vcc, 0, v5, vcc
	v_add_co_u32_e32 v6, vcc, 0x100, v6
	v_cmp_ge_i64_e64 s[0:1], v[4:5], v[2:3]
	s_or_b64 s[6:7], s[0:1], s[6:7]
	v_addc_co_u32_e32 v7, vcc, 0, v7, vcc
	s_andn2_b64 exec, exec, s[6:7]
	s_cbranch_execz .LBB163_16
.LBB163_20:                             ;   Parent Loop BB163_17 Depth=1
                                        ; =>  This Inner Loop Header: Depth=2
	global_load_dwordx2 v[8:9], v[6:7], off
	s_waitcnt vmcnt(0)
	v_subrev_co_u32_e32 v8, vcc, s24, v8
	v_subb_co_u32_e32 v9, vcc, v9, v14, vcc
	v_cmp_ne_u64_e32 vcc, v[8:9], v[0:1]
	s_and_saveexec_b64 s[0:1], vcc
	s_cbranch_execz .LBB163_19
; %bb.21:                               ;   in Loop: Header=BB163_20 Depth=2
	v_mov_b32_e32 v17, s19
	v_add_co_u32_e32 v16, vcc, s18, v4
	v_addc_co_u32_e32 v17, vcc, v17, v5, vcc
	global_load_sbyte v16, v[16:17], off
	v_lshlrev_b64 v[8:9], 2, v[8:9]
	v_mov_b32_e32 v17, s23
	v_add_co_u32_e32 v8, vcc, s22, v8
	v_addc_co_u32_e32 v9, vcc, v17, v9, vcc
	s_waitcnt vmcnt(0)
	v_mul_lo_u32 v16, v15, v16
	global_atomic_add v[8:9], v16, off
	s_branch .LBB163_19
.LBB163_22:
	s_endpgm
	.section	.rodata,"a",@progbits
	.p2align	6, 0x0
	.amdhsa_kernel _ZN9rocsparseL21csrmvt_general_kernelILj256ELj32EllaaiiEEvbbT2_NS_24const_host_device_scalarIT6_EEPKT1_S7_PKS1_PKT3_PKT4_PT5_21rocsparse_index_base_b
		.amdhsa_group_segment_fixed_size 0
		.amdhsa_private_segment_fixed_size 0
		.amdhsa_kernarg_size 336
		.amdhsa_user_sgpr_count 6
		.amdhsa_user_sgpr_private_segment_buffer 1
		.amdhsa_user_sgpr_dispatch_ptr 0
		.amdhsa_user_sgpr_queue_ptr 0
		.amdhsa_user_sgpr_kernarg_segment_ptr 1
		.amdhsa_user_sgpr_dispatch_id 0
		.amdhsa_user_sgpr_flat_scratch_init 0
		.amdhsa_user_sgpr_kernarg_preload_length 0
		.amdhsa_user_sgpr_kernarg_preload_offset 0
		.amdhsa_user_sgpr_private_segment_size 0
		.amdhsa_uses_dynamic_stack 0
		.amdhsa_system_sgpr_private_segment_wavefront_offset 0
		.amdhsa_system_sgpr_workgroup_id_x 1
		.amdhsa_system_sgpr_workgroup_id_y 0
		.amdhsa_system_sgpr_workgroup_id_z 0
		.amdhsa_system_sgpr_workgroup_info 0
		.amdhsa_system_vgpr_workitem_id 0
		.amdhsa_next_free_vgpr 22
		.amdhsa_next_free_sgpr 29
		.amdhsa_accum_offset 24
		.amdhsa_reserve_vcc 1
		.amdhsa_reserve_flat_scratch 0
		.amdhsa_float_round_mode_32 0
		.amdhsa_float_round_mode_16_64 0
		.amdhsa_float_denorm_mode_32 3
		.amdhsa_float_denorm_mode_16_64 3
		.amdhsa_dx10_clamp 1
		.amdhsa_ieee_mode 1
		.amdhsa_fp16_overflow 0
		.amdhsa_tg_split 0
		.amdhsa_exception_fp_ieee_invalid_op 0
		.amdhsa_exception_fp_denorm_src 0
		.amdhsa_exception_fp_ieee_div_zero 0
		.amdhsa_exception_fp_ieee_overflow 0
		.amdhsa_exception_fp_ieee_underflow 0
		.amdhsa_exception_fp_ieee_inexact 0
		.amdhsa_exception_int_div_zero 0
	.end_amdhsa_kernel
	.section	.text._ZN9rocsparseL21csrmvt_general_kernelILj256ELj32EllaaiiEEvbbT2_NS_24const_host_device_scalarIT6_EEPKT1_S7_PKS1_PKT3_PKT4_PT5_21rocsparse_index_base_b,"axG",@progbits,_ZN9rocsparseL21csrmvt_general_kernelILj256ELj32EllaaiiEEvbbT2_NS_24const_host_device_scalarIT6_EEPKT1_S7_PKS1_PKT3_PKT4_PT5_21rocsparse_index_base_b,comdat
.Lfunc_end163:
	.size	_ZN9rocsparseL21csrmvt_general_kernelILj256ELj32EllaaiiEEvbbT2_NS_24const_host_device_scalarIT6_EEPKT1_S7_PKS1_PKT3_PKT4_PT5_21rocsparse_index_base_b, .Lfunc_end163-_ZN9rocsparseL21csrmvt_general_kernelILj256ELj32EllaaiiEEvbbT2_NS_24const_host_device_scalarIT6_EEPKT1_S7_PKS1_PKT3_PKT4_PT5_21rocsparse_index_base_b
                                        ; -- End function
	.section	.AMDGPU.csdata,"",@progbits
; Kernel info:
; codeLenInByte = 852
; NumSgprs: 33
; NumVgprs: 22
; NumAgprs: 0
; TotalNumVgprs: 22
; ScratchSize: 0
; MemoryBound: 0
; FloatMode: 240
; IeeeMode: 1
; LDSByteSize: 0 bytes/workgroup (compile time only)
; SGPRBlocks: 4
; VGPRBlocks: 2
; NumSGPRsForWavesPerEU: 33
; NumVGPRsForWavesPerEU: 22
; AccumOffset: 24
; Occupancy: 8
; WaveLimiterHint : 1
; COMPUTE_PGM_RSRC2:SCRATCH_EN: 0
; COMPUTE_PGM_RSRC2:USER_SGPR: 6
; COMPUTE_PGM_RSRC2:TRAP_HANDLER: 0
; COMPUTE_PGM_RSRC2:TGID_X_EN: 1
; COMPUTE_PGM_RSRC2:TGID_Y_EN: 0
; COMPUTE_PGM_RSRC2:TGID_Z_EN: 0
; COMPUTE_PGM_RSRC2:TIDIG_COMP_CNT: 0
; COMPUTE_PGM_RSRC3_GFX90A:ACCUM_OFFSET: 5
; COMPUTE_PGM_RSRC3_GFX90A:TG_SPLIT: 0
	.section	.text._ZN9rocsparseL21csrmvt_general_kernelILj256ELj64EllaaiiEEvbbT2_NS_24const_host_device_scalarIT6_EEPKT1_S7_PKS1_PKT3_PKT4_PT5_21rocsparse_index_base_b,"axG",@progbits,_ZN9rocsparseL21csrmvt_general_kernelILj256ELj64EllaaiiEEvbbT2_NS_24const_host_device_scalarIT6_EEPKT1_S7_PKS1_PKT3_PKT4_PT5_21rocsparse_index_base_b,comdat
	.globl	_ZN9rocsparseL21csrmvt_general_kernelILj256ELj64EllaaiiEEvbbT2_NS_24const_host_device_scalarIT6_EEPKT1_S7_PKS1_PKT3_PKT4_PT5_21rocsparse_index_base_b ; -- Begin function _ZN9rocsparseL21csrmvt_general_kernelILj256ELj64EllaaiiEEvbbT2_NS_24const_host_device_scalarIT6_EEPKT1_S7_PKS1_PKT3_PKT4_PT5_21rocsparse_index_base_b
	.p2align	8
	.type	_ZN9rocsparseL21csrmvt_general_kernelILj256ELj64EllaaiiEEvbbT2_NS_24const_host_device_scalarIT6_EEPKT1_S7_PKS1_PKT3_PKT4_PT5_21rocsparse_index_base_b,@function
_ZN9rocsparseL21csrmvt_general_kernelILj256ELj64EllaaiiEEvbbT2_NS_24const_host_device_scalarIT6_EEPKT1_S7_PKS1_PKT3_PKT4_PT5_21rocsparse_index_base_b: ; @_ZN9rocsparseL21csrmvt_general_kernelILj256ELj64EllaaiiEEvbbT2_NS_24const_host_device_scalarIT6_EEPKT1_S7_PKS1_PKT3_PKT4_PT5_21rocsparse_index_base_b
; %bb.0:
	s_load_dwordx2 s[24:25], s[4:5], 0x48
	s_load_dwordx8 s[8:15], s[4:5], 0x8
	s_waitcnt lgkmcnt(0)
	s_bitcmp0_b32 s25, 0
	s_cbranch_scc0 .LBB164_2
; %bb.1:
	s_load_dword s25, s[10:11], 0x0
	s_cbranch_execz .LBB164_3
	s_branch .LBB164_4
.LBB164_2:
                                        ; implicit-def: $sgpr25
.LBB164_3:
	s_waitcnt lgkmcnt(0)
	s_mov_b32 s25, s10
.LBB164_4:
	s_waitcnt lgkmcnt(0)
	s_cmp_eq_u32 s25, 0
	s_cbranch_scc1 .LBB164_22
; %bb.5:
	s_load_dword s0, s[4:5], 0x0
	s_load_dword s1, s[4:5], 0x50
	s_load_dwordx8 s[16:23], s[4:5], 0x28
	v_and_b32_e32 v10, 63, v0
	v_lshl_or_b32 v0, s6, 8, v0
	s_waitcnt lgkmcnt(0)
	s_and_b32 s0, s0, 1
	s_lshl_b32 s28, s1, 2
	v_lshrrev_b32_e32 v0, 6, v0
	v_mov_b32_e32 v1, 0
	s_cmp_eq_u32 s0, 0
	v_cmp_gt_i64_e64 s[0:1], s[8:9], v[0:1]
	s_mov_b64 s[2:3], -1
	s_cbranch_scc0 .LBB164_13
; %bb.6:
	s_and_saveexec_b64 s[4:5], s[0:1]
	s_cbranch_execz .LBB164_12
; %bb.7:
	s_mov_b32 s10, 0
	v_subrev_co_u32_e32 v11, vcc, s24, v10
	v_subb_co_u32_e64 v12, s[2:3], 0, 0, vcc
	s_mov_b64 s[6:7], 0
	v_mov_b32_e32 v13, s13
	v_mov_b32_e32 v14, s15
	v_mov_b32_e32 v15, s10
	v_pk_mov_b32 v[2:3], v[0:1], v[0:1] op_sel:[0,1]
	s_branch .LBB164_9
.LBB164_8:                              ;   in Loop: Header=BB164_9 Depth=1
	s_or_b64 exec, exec, s[10:11]
	v_add_co_u32_e32 v2, vcc, s28, v2
	v_addc_co_u32_e32 v3, vcc, 0, v3, vcc
	v_cmp_le_i64_e32 vcc, s[8:9], v[2:3]
	s_or_b64 s[6:7], vcc, s[6:7]
	s_andn2_b64 exec, exec, s[6:7]
	s_cbranch_execz .LBB164_12
.LBB164_9:                              ; =>This Loop Header: Depth=1
                                        ;     Child Loop BB164_11 Depth 2
	v_lshlrev_b64 v[4:5], 3, v[2:3]
	v_add_co_u32_e32 v6, vcc, s14, v4
	v_addc_co_u32_e32 v7, vcc, v14, v5, vcc
	global_load_dwordx2 v[6:7], v[6:7], off
	v_add_co_u32_e32 v4, vcc, s12, v4
	v_addc_co_u32_e32 v5, vcc, v13, v5, vcc
	global_load_dwordx2 v[8:9], v[4:5], off
	s_waitcnt vmcnt(1)
	v_subrev_co_u32_e32 v4, vcc, s24, v6
	v_subb_co_u32_e32 v5, vcc, v7, v15, vcc
	s_waitcnt vmcnt(0)
	v_add_co_u32_e32 v6, vcc, v8, v11
	v_addc_co_u32_e32 v7, vcc, v9, v12, vcc
	v_cmp_lt_i64_e32 vcc, v[6:7], v[4:5]
	s_and_saveexec_b64 s[10:11], vcc
	s_cbranch_execz .LBB164_8
; %bb.10:                               ;   in Loop: Header=BB164_9 Depth=1
	v_mov_b32_e32 v9, s21
	v_add_co_u32_e32 v8, vcc, s20, v2
	v_addc_co_u32_e32 v9, vcc, v9, v3, vcc
	global_load_sbyte v16, v[8:9], off
	v_lshlrev_b64 v[8:9], 3, v[6:7]
	v_mov_b32_e32 v17, s17
	v_add_co_u32_e32 v8, vcc, s16, v8
	v_addc_co_u32_e32 v9, vcc, v17, v9, vcc
	s_mov_b64 s[26:27], 0
	s_waitcnt vmcnt(0)
	v_mul_lo_u32 v16, s25, v16
.LBB164_11:                             ;   Parent Loop BB164_9 Depth=1
                                        ; =>  This Inner Loop Header: Depth=2
	global_load_dwordx2 v[18:19], v[8:9], off
	v_mov_b32_e32 v17, s19
	v_add_co_u32_e32 v20, vcc, s18, v6
	v_addc_co_u32_e32 v21, vcc, v17, v7, vcc
	global_load_sbyte v17, v[20:21], off
	v_mov_b32_e32 v20, s23
	v_add_co_u32_e64 v6, s[2:3], 64, v6
	v_addc_co_u32_e64 v7, s[2:3], 0, v7, s[2:3]
	v_cmp_ge_i64_e64 s[2:3], v[6:7], v[4:5]
	s_or_b64 s[26:27], s[2:3], s[26:27]
	s_waitcnt vmcnt(1)
	v_subrev_co_u32_e32 v18, vcc, s24, v18
	v_subb_co_u32_e32 v19, vcc, v19, v15, vcc
	v_lshlrev_b64 v[18:19], 2, v[18:19]
	v_add_co_u32_e32 v18, vcc, s22, v18
	v_addc_co_u32_e32 v19, vcc, v20, v19, vcc
	s_waitcnt vmcnt(0)
	v_mul_lo_u32 v17, v16, v17
	global_atomic_add v[18:19], v17, off
	v_add_co_u32_e32 v8, vcc, 0x200, v8
	v_addc_co_u32_e32 v9, vcc, 0, v9, vcc
	s_andn2_b64 exec, exec, s[26:27]
	s_cbranch_execnz .LBB164_11
	s_branch .LBB164_8
.LBB164_12:
	s_or_b64 exec, exec, s[4:5]
	s_mov_b64 s[2:3], 0
.LBB164_13:
	s_andn2_b64 vcc, exec, s[2:3]
	s_cbranch_vccnz .LBB164_22
; %bb.14:
	s_and_saveexec_b64 s[2:3], s[0:1]
	s_cbranch_execz .LBB164_22
; %bb.15:
	s_mov_b32 s4, 0
	v_subrev_co_u32_e32 v10, vcc, s24, v10
	v_subb_co_u32_e64 v11, s[0:1], 0, 0, vcc
	s_mov_b64 s[2:3], 0
	v_mov_b32_e32 v12, s13
	v_mov_b32_e32 v13, s15
	;; [unrolled: 1-line block ×3, first 2 shown]
	s_branch .LBB164_17
.LBB164_16:                             ;   in Loop: Header=BB164_17 Depth=1
	s_or_b64 exec, exec, s[4:5]
	v_add_co_u32_e32 v0, vcc, s28, v0
	v_addc_co_u32_e32 v1, vcc, 0, v1, vcc
	v_cmp_le_i64_e32 vcc, s[8:9], v[0:1]
	s_or_b64 s[2:3], vcc, s[2:3]
	s_andn2_b64 exec, exec, s[2:3]
	s_cbranch_execz .LBB164_22
.LBB164_17:                             ; =>This Loop Header: Depth=1
                                        ;     Child Loop BB164_20 Depth 2
	v_lshlrev_b64 v[2:3], 3, v[0:1]
	v_add_co_u32_e32 v4, vcc, s14, v2
	v_addc_co_u32_e32 v5, vcc, v13, v3, vcc
	global_load_dwordx2 v[4:5], v[4:5], off
	v_add_co_u32_e32 v2, vcc, s12, v2
	v_addc_co_u32_e32 v3, vcc, v12, v3, vcc
	global_load_dwordx2 v[6:7], v[2:3], off
	s_waitcnt vmcnt(1)
	v_subrev_co_u32_e32 v2, vcc, s24, v4
	v_subb_co_u32_e32 v3, vcc, v5, v14, vcc
	s_waitcnt vmcnt(0)
	v_add_co_u32_e32 v4, vcc, v6, v10
	v_addc_co_u32_e32 v5, vcc, v7, v11, vcc
	v_cmp_lt_i64_e32 vcc, v[4:5], v[2:3]
	s_and_saveexec_b64 s[4:5], vcc
	s_cbranch_execz .LBB164_16
; %bb.18:                               ;   in Loop: Header=BB164_17 Depth=1
	v_mov_b32_e32 v7, s21
	v_add_co_u32_e32 v6, vcc, s20, v0
	v_addc_co_u32_e32 v7, vcc, v7, v1, vcc
	global_load_sbyte v8, v[6:7], off
	v_lshlrev_b64 v[6:7], 3, v[4:5]
	v_mov_b32_e32 v9, s17
	v_add_co_u32_e32 v6, vcc, s16, v6
	v_addc_co_u32_e32 v7, vcc, v9, v7, vcc
	s_mov_b64 s[6:7], 0
	s_waitcnt vmcnt(0)
	v_mul_lo_u32 v15, s25, v8
	s_branch .LBB164_20
.LBB164_19:                             ;   in Loop: Header=BB164_20 Depth=2
	s_or_b64 exec, exec, s[0:1]
	v_add_co_u32_e32 v4, vcc, 64, v4
	v_addc_co_u32_e32 v5, vcc, 0, v5, vcc
	v_add_co_u32_e32 v6, vcc, 0x200, v6
	v_cmp_ge_i64_e64 s[0:1], v[4:5], v[2:3]
	s_or_b64 s[6:7], s[0:1], s[6:7]
	v_addc_co_u32_e32 v7, vcc, 0, v7, vcc
	s_andn2_b64 exec, exec, s[6:7]
	s_cbranch_execz .LBB164_16
.LBB164_20:                             ;   Parent Loop BB164_17 Depth=1
                                        ; =>  This Inner Loop Header: Depth=2
	global_load_dwordx2 v[8:9], v[6:7], off
	s_waitcnt vmcnt(0)
	v_subrev_co_u32_e32 v8, vcc, s24, v8
	v_subb_co_u32_e32 v9, vcc, v9, v14, vcc
	v_cmp_ne_u64_e32 vcc, v[8:9], v[0:1]
	s_and_saveexec_b64 s[0:1], vcc
	s_cbranch_execz .LBB164_19
; %bb.21:                               ;   in Loop: Header=BB164_20 Depth=2
	v_mov_b32_e32 v17, s19
	v_add_co_u32_e32 v16, vcc, s18, v4
	v_addc_co_u32_e32 v17, vcc, v17, v5, vcc
	global_load_sbyte v16, v[16:17], off
	v_lshlrev_b64 v[8:9], 2, v[8:9]
	v_mov_b32_e32 v17, s23
	v_add_co_u32_e32 v8, vcc, s22, v8
	v_addc_co_u32_e32 v9, vcc, v17, v9, vcc
	s_waitcnt vmcnt(0)
	v_mul_lo_u32 v16, v15, v16
	global_atomic_add v[8:9], v16, off
	s_branch .LBB164_19
.LBB164_22:
	s_endpgm
	.section	.rodata,"a",@progbits
	.p2align	6, 0x0
	.amdhsa_kernel _ZN9rocsparseL21csrmvt_general_kernelILj256ELj64EllaaiiEEvbbT2_NS_24const_host_device_scalarIT6_EEPKT1_S7_PKS1_PKT3_PKT4_PT5_21rocsparse_index_base_b
		.amdhsa_group_segment_fixed_size 0
		.amdhsa_private_segment_fixed_size 0
		.amdhsa_kernarg_size 336
		.amdhsa_user_sgpr_count 6
		.amdhsa_user_sgpr_private_segment_buffer 1
		.amdhsa_user_sgpr_dispatch_ptr 0
		.amdhsa_user_sgpr_queue_ptr 0
		.amdhsa_user_sgpr_kernarg_segment_ptr 1
		.amdhsa_user_sgpr_dispatch_id 0
		.amdhsa_user_sgpr_flat_scratch_init 0
		.amdhsa_user_sgpr_kernarg_preload_length 0
		.amdhsa_user_sgpr_kernarg_preload_offset 0
		.amdhsa_user_sgpr_private_segment_size 0
		.amdhsa_uses_dynamic_stack 0
		.amdhsa_system_sgpr_private_segment_wavefront_offset 0
		.amdhsa_system_sgpr_workgroup_id_x 1
		.amdhsa_system_sgpr_workgroup_id_y 0
		.amdhsa_system_sgpr_workgroup_id_z 0
		.amdhsa_system_sgpr_workgroup_info 0
		.amdhsa_system_vgpr_workitem_id 0
		.amdhsa_next_free_vgpr 22
		.amdhsa_next_free_sgpr 29
		.amdhsa_accum_offset 24
		.amdhsa_reserve_vcc 1
		.amdhsa_reserve_flat_scratch 0
		.amdhsa_float_round_mode_32 0
		.amdhsa_float_round_mode_16_64 0
		.amdhsa_float_denorm_mode_32 3
		.amdhsa_float_denorm_mode_16_64 3
		.amdhsa_dx10_clamp 1
		.amdhsa_ieee_mode 1
		.amdhsa_fp16_overflow 0
		.amdhsa_tg_split 0
		.amdhsa_exception_fp_ieee_invalid_op 0
		.amdhsa_exception_fp_denorm_src 0
		.amdhsa_exception_fp_ieee_div_zero 0
		.amdhsa_exception_fp_ieee_overflow 0
		.amdhsa_exception_fp_ieee_underflow 0
		.amdhsa_exception_fp_ieee_inexact 0
		.amdhsa_exception_int_div_zero 0
	.end_amdhsa_kernel
	.section	.text._ZN9rocsparseL21csrmvt_general_kernelILj256ELj64EllaaiiEEvbbT2_NS_24const_host_device_scalarIT6_EEPKT1_S7_PKS1_PKT3_PKT4_PT5_21rocsparse_index_base_b,"axG",@progbits,_ZN9rocsparseL21csrmvt_general_kernelILj256ELj64EllaaiiEEvbbT2_NS_24const_host_device_scalarIT6_EEPKT1_S7_PKS1_PKT3_PKT4_PT5_21rocsparse_index_base_b,comdat
.Lfunc_end164:
	.size	_ZN9rocsparseL21csrmvt_general_kernelILj256ELj64EllaaiiEEvbbT2_NS_24const_host_device_scalarIT6_EEPKT1_S7_PKS1_PKT3_PKT4_PT5_21rocsparse_index_base_b, .Lfunc_end164-_ZN9rocsparseL21csrmvt_general_kernelILj256ELj64EllaaiiEEvbbT2_NS_24const_host_device_scalarIT6_EEPKT1_S7_PKS1_PKT3_PKT4_PT5_21rocsparse_index_base_b
                                        ; -- End function
	.section	.AMDGPU.csdata,"",@progbits
; Kernel info:
; codeLenInByte = 852
; NumSgprs: 33
; NumVgprs: 22
; NumAgprs: 0
; TotalNumVgprs: 22
; ScratchSize: 0
; MemoryBound: 0
; FloatMode: 240
; IeeeMode: 1
; LDSByteSize: 0 bytes/workgroup (compile time only)
; SGPRBlocks: 4
; VGPRBlocks: 2
; NumSGPRsForWavesPerEU: 33
; NumVGPRsForWavesPerEU: 22
; AccumOffset: 24
; Occupancy: 8
; WaveLimiterHint : 1
; COMPUTE_PGM_RSRC2:SCRATCH_EN: 0
; COMPUTE_PGM_RSRC2:USER_SGPR: 6
; COMPUTE_PGM_RSRC2:TRAP_HANDLER: 0
; COMPUTE_PGM_RSRC2:TGID_X_EN: 1
; COMPUTE_PGM_RSRC2:TGID_Y_EN: 0
; COMPUTE_PGM_RSRC2:TGID_Z_EN: 0
; COMPUTE_PGM_RSRC2:TIDIG_COMP_CNT: 0
; COMPUTE_PGM_RSRC3_GFX90A:ACCUM_OFFSET: 5
; COMPUTE_PGM_RSRC3_GFX90A:TG_SPLIT: 0
	.section	.text._ZN9rocsparseL21csrmvn_general_kernelILj256ELj2EiiaaffEEvbT2_NS_24const_host_device_scalarIT6_EEPKT1_S7_PKS1_PKT3_PKT4_S4_PT5_21rocsparse_index_base_b,"axG",@progbits,_ZN9rocsparseL21csrmvn_general_kernelILj256ELj2EiiaaffEEvbT2_NS_24const_host_device_scalarIT6_EEPKT1_S7_PKS1_PKT3_PKT4_S4_PT5_21rocsparse_index_base_b,comdat
	.globl	_ZN9rocsparseL21csrmvn_general_kernelILj256ELj2EiiaaffEEvbT2_NS_24const_host_device_scalarIT6_EEPKT1_S7_PKS1_PKT3_PKT4_S4_PT5_21rocsparse_index_base_b ; -- Begin function _ZN9rocsparseL21csrmvn_general_kernelILj256ELj2EiiaaffEEvbT2_NS_24const_host_device_scalarIT6_EEPKT1_S7_PKS1_PKT3_PKT4_S4_PT5_21rocsparse_index_base_b
	.p2align	8
	.type	_ZN9rocsparseL21csrmvn_general_kernelILj256ELj2EiiaaffEEvbT2_NS_24const_host_device_scalarIT6_EEPKT1_S7_PKS1_PKT3_PKT4_S4_PT5_21rocsparse_index_base_b,@function
_ZN9rocsparseL21csrmvn_general_kernelILj256ELj2EiiaaffEEvbT2_NS_24const_host_device_scalarIT6_EEPKT1_S7_PKS1_PKT3_PKT4_S4_PT5_21rocsparse_index_base_b: ; @_ZN9rocsparseL21csrmvn_general_kernelILj256ELj2EiiaaffEEvbT2_NS_24const_host_device_scalarIT6_EEPKT1_S7_PKS1_PKT3_PKT4_S4_PT5_21rocsparse_index_base_b
; %bb.0:
	s_load_dwordx2 s[20:21], s[4:5], 0x48
	s_load_dwordx4 s[16:19], s[4:5], 0x8
	s_load_dwordx2 s[22:23], s[4:5], 0x38
	s_waitcnt lgkmcnt(0)
	s_bitcmp1_b32 s21, 0
	s_cselect_b64 s[2:3], -1, 0
	s_xor_b64 s[0:1], s[2:3], -1
	s_and_b64 vcc, exec, s[2:3]
	s_cbranch_vccnz .LBB165_2
; %bb.1:
	s_load_dword s16, s[16:17], 0x0
.LBB165_2:
	s_andn2_b64 vcc, exec, s[0:1]
	s_cbranch_vccnz .LBB165_4
; %bb.3:
	s_load_dword s22, s[22:23], 0x0
.LBB165_4:
	s_waitcnt lgkmcnt(0)
	v_cmp_neq_f32_e64 s[0:1], s16, 0
	v_cmp_neq_f32_e64 s[2:3], s22, 1.0
	s_or_b64 s[0:1], s[0:1], s[2:3]
	s_andn2_b64 vcc, exec, s[0:1]
	s_cbranch_vccnz .LBB165_16
; %bb.5:
	s_load_dword s17, s[4:5], 0x4
	v_lshl_or_b32 v1, s6, 8, v0
	v_lshrrev_b32_e32 v2, 1, v1
	s_waitcnt lgkmcnt(0)
	v_cmp_gt_i32_e32 vcc, s17, v2
	s_and_saveexec_b64 s[0:1], vcc
	s_cbranch_execz .LBB165_16
; %bb.6:
	s_load_dword s0, s[4:5], 0x50
	s_load_dwordx2 s[6:7], s[4:5], 0x40
	s_load_dwordx8 s[8:15], s[4:5], 0x18
	v_and_b32_e32 v0, 1, v0
	v_cmp_neq_f32_e64 s[2:3], s22, 0
	s_waitcnt lgkmcnt(0)
	s_lshl_b32 s21, s0, 7
	s_ashr_i32 s0, s20, 31
	s_sub_u32 s23, s14, s20
	v_subrev_u32_e32 v6, s20, v0
	s_subb_u32 s26, s15, s0
	v_cmp_eq_u32_e64 s[0:1], 1, v0
	v_cndmask_b32_e64 v0, 0, 1, s[2:3]
	s_mov_b64 s[14:15], 0
	v_mov_b32_e32 v7, s19
	v_mov_b32_e32 v8, s9
	v_cmp_ne_u32_e64 s[2:3], 1, v0
	s_branch .LBB165_9
.LBB165_7:                              ;   in Loop: Header=BB165_9 Depth=1
	global_store_dword v[0:1], v3, off
.LBB165_8:                              ;   in Loop: Header=BB165_9 Depth=1
	s_or_b64 exec, exec, s[24:25]
	v_add_u32_e32 v2, s21, v2
	v_cmp_le_i32_e32 vcc, s17, v2
	s_or_b64 s[14:15], vcc, s[14:15]
	s_andn2_b64 exec, exec, s[14:15]
	s_cbranch_execz .LBB165_16
.LBB165_9:                              ; =>This Loop Header: Depth=1
                                        ;     Child Loop BB165_11 Depth 2
	v_ashrrev_i32_e32 v3, 31, v2
	v_lshlrev_b64 v[0:1], 2, v[2:3]
	v_add_co_u32_e32 v4, vcc, s18, v0
	v_addc_co_u32_e32 v5, vcc, v7, v1, vcc
	v_add_co_u32_e32 v10, vcc, s8, v0
	v_addc_co_u32_e32 v11, vcc, v8, v1, vcc
	global_load_dword v3, v[10:11], off
	global_load_dword v12, v[4:5], off
	s_waitcnt vmcnt(1)
	v_subrev_u32_e32 v9, s20, v3
	s_waitcnt vmcnt(0)
	v_add_u32_e32 v4, v12, v6
	v_cmp_lt_i32_e32 vcc, v4, v9
	v_mov_b32_e32 v3, 0
	s_and_saveexec_b64 s[4:5], vcc
	s_cbranch_execz .LBB165_13
; %bb.10:                               ;   in Loop: Header=BB165_9 Depth=1
	s_mov_b64 s[24:25], 0
	v_mov_b32_e32 v3, 0
.LBB165_11:                             ;   Parent Loop BB165_9 Depth=1
                                        ; =>  This Inner Loop Header: Depth=2
	v_ashrrev_i32_e32 v5, 31, v4
	v_lshlrev_b64 v[10:11], 2, v[4:5]
	v_mov_b32_e32 v12, s11
	v_add_co_u32_e32 v10, vcc, s10, v10
	v_addc_co_u32_e32 v11, vcc, v12, v11, vcc
	global_load_dword v12, v[10:11], off
	v_mov_b32_e32 v11, s13
	v_add_co_u32_e32 v10, vcc, s12, v4
	v_addc_co_u32_e32 v11, vcc, v11, v5, vcc
	v_mov_b32_e32 v13, s26
	global_load_sbyte v5, v[10:11], off
	v_add_u32_e32 v4, 2, v4
	s_waitcnt vmcnt(1)
	v_ashrrev_i32_e32 v11, 31, v12
	v_add_co_u32_e32 v10, vcc, s23, v12
	v_addc_co_u32_e32 v11, vcc, v13, v11, vcc
	global_load_sbyte v10, v[10:11], off
	v_cmp_ge_i32_e32 vcc, v4, v9
	s_waitcnt vmcnt(1)
	v_cvt_f32_i32_e32 v5, v5
	s_or_b64 s[24:25], vcc, s[24:25]
	v_mul_f32_e32 v5, s16, v5
	s_waitcnt vmcnt(0)
	v_cvt_f32_i32_e32 v10, v10
	v_fmac_f32_e32 v3, v5, v10
	s_andn2_b64 exec, exec, s[24:25]
	s_cbranch_execnz .LBB165_11
; %bb.12:                               ;   in Loop: Header=BB165_9 Depth=1
	s_or_b64 exec, exec, s[24:25]
.LBB165_13:                             ;   in Loop: Header=BB165_9 Depth=1
	s_or_b64 exec, exec, s[4:5]
	v_mov_b32_dpp v4, v3 row_shr:1 row_mask:0xf bank_mask:0xf
	s_and_saveexec_b64 s[24:25], s[0:1]
	s_cbranch_execz .LBB165_8
; %bb.14:                               ;   in Loop: Header=BB165_9 Depth=1
	v_add_f32_e32 v3, v3, v4
	v_mov_b32_e32 v4, s7
	v_add_co_u32_e64 v0, s[4:5], s6, v0
	s_and_b64 vcc, exec, s[2:3]
	v_addc_co_u32_e64 v1, s[4:5], v4, v1, s[4:5]
	s_cbranch_vccnz .LBB165_7
; %bb.15:                               ;   in Loop: Header=BB165_9 Depth=1
	global_load_dword v4, v[0:1], off
	s_waitcnt vmcnt(0)
	v_fmac_f32_e32 v3, s22, v4
	s_branch .LBB165_7
.LBB165_16:
	s_endpgm
	.section	.rodata,"a",@progbits
	.p2align	6, 0x0
	.amdhsa_kernel _ZN9rocsparseL21csrmvn_general_kernelILj256ELj2EiiaaffEEvbT2_NS_24const_host_device_scalarIT6_EEPKT1_S7_PKS1_PKT3_PKT4_S4_PT5_21rocsparse_index_base_b
		.amdhsa_group_segment_fixed_size 0
		.amdhsa_private_segment_fixed_size 0
		.amdhsa_kernarg_size 336
		.amdhsa_user_sgpr_count 6
		.amdhsa_user_sgpr_private_segment_buffer 1
		.amdhsa_user_sgpr_dispatch_ptr 0
		.amdhsa_user_sgpr_queue_ptr 0
		.amdhsa_user_sgpr_kernarg_segment_ptr 1
		.amdhsa_user_sgpr_dispatch_id 0
		.amdhsa_user_sgpr_flat_scratch_init 0
		.amdhsa_user_sgpr_kernarg_preload_length 0
		.amdhsa_user_sgpr_kernarg_preload_offset 0
		.amdhsa_user_sgpr_private_segment_size 0
		.amdhsa_uses_dynamic_stack 0
		.amdhsa_system_sgpr_private_segment_wavefront_offset 0
		.amdhsa_system_sgpr_workgroup_id_x 1
		.amdhsa_system_sgpr_workgroup_id_y 0
		.amdhsa_system_sgpr_workgroup_id_z 0
		.amdhsa_system_sgpr_workgroup_info 0
		.amdhsa_system_vgpr_workitem_id 0
		.amdhsa_next_free_vgpr 14
		.amdhsa_next_free_sgpr 27
		.amdhsa_accum_offset 16
		.amdhsa_reserve_vcc 1
		.amdhsa_reserve_flat_scratch 0
		.amdhsa_float_round_mode_32 0
		.amdhsa_float_round_mode_16_64 0
		.amdhsa_float_denorm_mode_32 3
		.amdhsa_float_denorm_mode_16_64 3
		.amdhsa_dx10_clamp 1
		.amdhsa_ieee_mode 1
		.amdhsa_fp16_overflow 0
		.amdhsa_tg_split 0
		.amdhsa_exception_fp_ieee_invalid_op 0
		.amdhsa_exception_fp_denorm_src 0
		.amdhsa_exception_fp_ieee_div_zero 0
		.amdhsa_exception_fp_ieee_overflow 0
		.amdhsa_exception_fp_ieee_underflow 0
		.amdhsa_exception_fp_ieee_inexact 0
		.amdhsa_exception_int_div_zero 0
	.end_amdhsa_kernel
	.section	.text._ZN9rocsparseL21csrmvn_general_kernelILj256ELj2EiiaaffEEvbT2_NS_24const_host_device_scalarIT6_EEPKT1_S7_PKS1_PKT3_PKT4_S4_PT5_21rocsparse_index_base_b,"axG",@progbits,_ZN9rocsparseL21csrmvn_general_kernelILj256ELj2EiiaaffEEvbT2_NS_24const_host_device_scalarIT6_EEPKT1_S7_PKS1_PKT3_PKT4_S4_PT5_21rocsparse_index_base_b,comdat
.Lfunc_end165:
	.size	_ZN9rocsparseL21csrmvn_general_kernelILj256ELj2EiiaaffEEvbT2_NS_24const_host_device_scalarIT6_EEPKT1_S7_PKS1_PKT3_PKT4_S4_PT5_21rocsparse_index_base_b, .Lfunc_end165-_ZN9rocsparseL21csrmvn_general_kernelILj256ELj2EiiaaffEEvbT2_NS_24const_host_device_scalarIT6_EEPKT1_S7_PKS1_PKT3_PKT4_S4_PT5_21rocsparse_index_base_b
                                        ; -- End function
	.section	.AMDGPU.csdata,"",@progbits
; Kernel info:
; codeLenInByte = 560
; NumSgprs: 31
; NumVgprs: 14
; NumAgprs: 0
; TotalNumVgprs: 14
; ScratchSize: 0
; MemoryBound: 0
; FloatMode: 240
; IeeeMode: 1
; LDSByteSize: 0 bytes/workgroup (compile time only)
; SGPRBlocks: 3
; VGPRBlocks: 1
; NumSGPRsForWavesPerEU: 31
; NumVGPRsForWavesPerEU: 14
; AccumOffset: 16
; Occupancy: 8
; WaveLimiterHint : 1
; COMPUTE_PGM_RSRC2:SCRATCH_EN: 0
; COMPUTE_PGM_RSRC2:USER_SGPR: 6
; COMPUTE_PGM_RSRC2:TRAP_HANDLER: 0
; COMPUTE_PGM_RSRC2:TGID_X_EN: 1
; COMPUTE_PGM_RSRC2:TGID_Y_EN: 0
; COMPUTE_PGM_RSRC2:TGID_Z_EN: 0
; COMPUTE_PGM_RSRC2:TIDIG_COMP_CNT: 0
; COMPUTE_PGM_RSRC3_GFX90A:ACCUM_OFFSET: 3
; COMPUTE_PGM_RSRC3_GFX90A:TG_SPLIT: 0
	.section	.text._ZN9rocsparseL21csrmvn_general_kernelILj256ELj4EiiaaffEEvbT2_NS_24const_host_device_scalarIT6_EEPKT1_S7_PKS1_PKT3_PKT4_S4_PT5_21rocsparse_index_base_b,"axG",@progbits,_ZN9rocsparseL21csrmvn_general_kernelILj256ELj4EiiaaffEEvbT2_NS_24const_host_device_scalarIT6_EEPKT1_S7_PKS1_PKT3_PKT4_S4_PT5_21rocsparse_index_base_b,comdat
	.globl	_ZN9rocsparseL21csrmvn_general_kernelILj256ELj4EiiaaffEEvbT2_NS_24const_host_device_scalarIT6_EEPKT1_S7_PKS1_PKT3_PKT4_S4_PT5_21rocsparse_index_base_b ; -- Begin function _ZN9rocsparseL21csrmvn_general_kernelILj256ELj4EiiaaffEEvbT2_NS_24const_host_device_scalarIT6_EEPKT1_S7_PKS1_PKT3_PKT4_S4_PT5_21rocsparse_index_base_b
	.p2align	8
	.type	_ZN9rocsparseL21csrmvn_general_kernelILj256ELj4EiiaaffEEvbT2_NS_24const_host_device_scalarIT6_EEPKT1_S7_PKS1_PKT3_PKT4_S4_PT5_21rocsparse_index_base_b,@function
_ZN9rocsparseL21csrmvn_general_kernelILj256ELj4EiiaaffEEvbT2_NS_24const_host_device_scalarIT6_EEPKT1_S7_PKS1_PKT3_PKT4_S4_PT5_21rocsparse_index_base_b: ; @_ZN9rocsparseL21csrmvn_general_kernelILj256ELj4EiiaaffEEvbT2_NS_24const_host_device_scalarIT6_EEPKT1_S7_PKS1_PKT3_PKT4_S4_PT5_21rocsparse_index_base_b
; %bb.0:
	s_load_dwordx2 s[20:21], s[4:5], 0x48
	s_load_dwordx4 s[16:19], s[4:5], 0x8
	s_load_dwordx2 s[22:23], s[4:5], 0x38
	s_waitcnt lgkmcnt(0)
	s_bitcmp1_b32 s21, 0
	s_cselect_b64 s[2:3], -1, 0
	s_xor_b64 s[0:1], s[2:3], -1
	s_and_b64 vcc, exec, s[2:3]
	s_cbranch_vccnz .LBB166_2
; %bb.1:
	s_load_dword s16, s[16:17], 0x0
.LBB166_2:
	s_andn2_b64 vcc, exec, s[0:1]
	s_cbranch_vccnz .LBB166_4
; %bb.3:
	s_load_dword s22, s[22:23], 0x0
.LBB166_4:
	s_waitcnt lgkmcnt(0)
	v_cmp_neq_f32_e64 s[0:1], s16, 0
	v_cmp_neq_f32_e64 s[2:3], s22, 1.0
	s_or_b64 s[0:1], s[0:1], s[2:3]
	s_andn2_b64 vcc, exec, s[0:1]
	s_cbranch_vccnz .LBB166_16
; %bb.5:
	s_load_dword s17, s[4:5], 0x4
	v_lshl_or_b32 v1, s6, 8, v0
	v_lshrrev_b32_e32 v2, 2, v1
	s_waitcnt lgkmcnt(0)
	v_cmp_gt_i32_e32 vcc, s17, v2
	s_and_saveexec_b64 s[0:1], vcc
	s_cbranch_execz .LBB166_16
; %bb.6:
	s_load_dword s0, s[4:5], 0x50
	s_load_dwordx2 s[6:7], s[4:5], 0x40
	s_load_dwordx8 s[8:15], s[4:5], 0x18
	v_and_b32_e32 v0, 3, v0
	v_cmp_neq_f32_e64 s[2:3], s22, 0
	s_waitcnt lgkmcnt(0)
	s_lshl_b32 s21, s0, 6
	s_ashr_i32 s0, s20, 31
	s_sub_u32 s23, s14, s20
	v_subrev_u32_e32 v6, s20, v0
	s_subb_u32 s26, s15, s0
	v_cmp_eq_u32_e64 s[0:1], 3, v0
	v_cndmask_b32_e64 v0, 0, 1, s[2:3]
	s_mov_b64 s[14:15], 0
	v_mov_b32_e32 v7, s19
	v_mov_b32_e32 v8, s9
	v_cmp_ne_u32_e64 s[2:3], 1, v0
	s_branch .LBB166_9
.LBB166_7:                              ;   in Loop: Header=BB166_9 Depth=1
	global_store_dword v[0:1], v3, off
.LBB166_8:                              ;   in Loop: Header=BB166_9 Depth=1
	s_or_b64 exec, exec, s[24:25]
	v_add_u32_e32 v2, s21, v2
	v_cmp_le_i32_e32 vcc, s17, v2
	s_or_b64 s[14:15], vcc, s[14:15]
	s_andn2_b64 exec, exec, s[14:15]
	s_cbranch_execz .LBB166_16
.LBB166_9:                              ; =>This Loop Header: Depth=1
                                        ;     Child Loop BB166_11 Depth 2
	v_ashrrev_i32_e32 v3, 31, v2
	v_lshlrev_b64 v[0:1], 2, v[2:3]
	v_add_co_u32_e32 v4, vcc, s18, v0
	v_addc_co_u32_e32 v5, vcc, v7, v1, vcc
	v_add_co_u32_e32 v10, vcc, s8, v0
	v_addc_co_u32_e32 v11, vcc, v8, v1, vcc
	global_load_dword v3, v[10:11], off
	global_load_dword v12, v[4:5], off
	s_waitcnt vmcnt(1)
	v_subrev_u32_e32 v9, s20, v3
	s_waitcnt vmcnt(0)
	v_add_u32_e32 v4, v12, v6
	v_cmp_lt_i32_e32 vcc, v4, v9
	v_mov_b32_e32 v3, 0
	s_and_saveexec_b64 s[4:5], vcc
	s_cbranch_execz .LBB166_13
; %bb.10:                               ;   in Loop: Header=BB166_9 Depth=1
	s_mov_b64 s[24:25], 0
	v_mov_b32_e32 v3, 0
.LBB166_11:                             ;   Parent Loop BB166_9 Depth=1
                                        ; =>  This Inner Loop Header: Depth=2
	v_ashrrev_i32_e32 v5, 31, v4
	v_lshlrev_b64 v[10:11], 2, v[4:5]
	v_mov_b32_e32 v12, s11
	v_add_co_u32_e32 v10, vcc, s10, v10
	v_addc_co_u32_e32 v11, vcc, v12, v11, vcc
	global_load_dword v12, v[10:11], off
	v_mov_b32_e32 v11, s13
	v_add_co_u32_e32 v10, vcc, s12, v4
	v_addc_co_u32_e32 v11, vcc, v11, v5, vcc
	v_mov_b32_e32 v13, s26
	global_load_sbyte v5, v[10:11], off
	v_add_u32_e32 v4, 4, v4
	s_waitcnt vmcnt(1)
	v_ashrrev_i32_e32 v11, 31, v12
	v_add_co_u32_e32 v10, vcc, s23, v12
	v_addc_co_u32_e32 v11, vcc, v13, v11, vcc
	global_load_sbyte v10, v[10:11], off
	v_cmp_ge_i32_e32 vcc, v4, v9
	s_waitcnt vmcnt(1)
	v_cvt_f32_i32_e32 v5, v5
	s_or_b64 s[24:25], vcc, s[24:25]
	v_mul_f32_e32 v5, s16, v5
	s_waitcnt vmcnt(0)
	v_cvt_f32_i32_e32 v10, v10
	v_fmac_f32_e32 v3, v5, v10
	s_andn2_b64 exec, exec, s[24:25]
	s_cbranch_execnz .LBB166_11
; %bb.12:                               ;   in Loop: Header=BB166_9 Depth=1
	s_or_b64 exec, exec, s[24:25]
.LBB166_13:                             ;   in Loop: Header=BB166_9 Depth=1
	s_or_b64 exec, exec, s[4:5]
	v_mov_b32_dpp v4, v3 row_shr:1 row_mask:0xf bank_mask:0xf
	v_add_f32_e32 v3, v3, v4
	s_nop 1
	v_mov_b32_dpp v4, v3 row_shr:2 row_mask:0xf bank_mask:0xf
	s_and_saveexec_b64 s[24:25], s[0:1]
	s_cbranch_execz .LBB166_8
; %bb.14:                               ;   in Loop: Header=BB166_9 Depth=1
	v_add_f32_e32 v3, v3, v4
	v_mov_b32_e32 v4, s7
	v_add_co_u32_e64 v0, s[4:5], s6, v0
	s_and_b64 vcc, exec, s[2:3]
	v_addc_co_u32_e64 v1, s[4:5], v4, v1, s[4:5]
	s_cbranch_vccnz .LBB166_7
; %bb.15:                               ;   in Loop: Header=BB166_9 Depth=1
	global_load_dword v4, v[0:1], off
	s_waitcnt vmcnt(0)
	v_fmac_f32_e32 v3, s22, v4
	s_branch .LBB166_7
.LBB166_16:
	s_endpgm
	.section	.rodata,"a",@progbits
	.p2align	6, 0x0
	.amdhsa_kernel _ZN9rocsparseL21csrmvn_general_kernelILj256ELj4EiiaaffEEvbT2_NS_24const_host_device_scalarIT6_EEPKT1_S7_PKS1_PKT3_PKT4_S4_PT5_21rocsparse_index_base_b
		.amdhsa_group_segment_fixed_size 0
		.amdhsa_private_segment_fixed_size 0
		.amdhsa_kernarg_size 336
		.amdhsa_user_sgpr_count 6
		.amdhsa_user_sgpr_private_segment_buffer 1
		.amdhsa_user_sgpr_dispatch_ptr 0
		.amdhsa_user_sgpr_queue_ptr 0
		.amdhsa_user_sgpr_kernarg_segment_ptr 1
		.amdhsa_user_sgpr_dispatch_id 0
		.amdhsa_user_sgpr_flat_scratch_init 0
		.amdhsa_user_sgpr_kernarg_preload_length 0
		.amdhsa_user_sgpr_kernarg_preload_offset 0
		.amdhsa_user_sgpr_private_segment_size 0
		.amdhsa_uses_dynamic_stack 0
		.amdhsa_system_sgpr_private_segment_wavefront_offset 0
		.amdhsa_system_sgpr_workgroup_id_x 1
		.amdhsa_system_sgpr_workgroup_id_y 0
		.amdhsa_system_sgpr_workgroup_id_z 0
		.amdhsa_system_sgpr_workgroup_info 0
		.amdhsa_system_vgpr_workitem_id 0
		.amdhsa_next_free_vgpr 14
		.amdhsa_next_free_sgpr 27
		.amdhsa_accum_offset 16
		.amdhsa_reserve_vcc 1
		.amdhsa_reserve_flat_scratch 0
		.amdhsa_float_round_mode_32 0
		.amdhsa_float_round_mode_16_64 0
		.amdhsa_float_denorm_mode_32 3
		.amdhsa_float_denorm_mode_16_64 3
		.amdhsa_dx10_clamp 1
		.amdhsa_ieee_mode 1
		.amdhsa_fp16_overflow 0
		.amdhsa_tg_split 0
		.amdhsa_exception_fp_ieee_invalid_op 0
		.amdhsa_exception_fp_denorm_src 0
		.amdhsa_exception_fp_ieee_div_zero 0
		.amdhsa_exception_fp_ieee_overflow 0
		.amdhsa_exception_fp_ieee_underflow 0
		.amdhsa_exception_fp_ieee_inexact 0
		.amdhsa_exception_int_div_zero 0
	.end_amdhsa_kernel
	.section	.text._ZN9rocsparseL21csrmvn_general_kernelILj256ELj4EiiaaffEEvbT2_NS_24const_host_device_scalarIT6_EEPKT1_S7_PKS1_PKT3_PKT4_S4_PT5_21rocsparse_index_base_b,"axG",@progbits,_ZN9rocsparseL21csrmvn_general_kernelILj256ELj4EiiaaffEEvbT2_NS_24const_host_device_scalarIT6_EEPKT1_S7_PKS1_PKT3_PKT4_S4_PT5_21rocsparse_index_base_b,comdat
.Lfunc_end166:
	.size	_ZN9rocsparseL21csrmvn_general_kernelILj256ELj4EiiaaffEEvbT2_NS_24const_host_device_scalarIT6_EEPKT1_S7_PKS1_PKT3_PKT4_S4_PT5_21rocsparse_index_base_b, .Lfunc_end166-_ZN9rocsparseL21csrmvn_general_kernelILj256ELj4EiiaaffEEvbT2_NS_24const_host_device_scalarIT6_EEPKT1_S7_PKS1_PKT3_PKT4_S4_PT5_21rocsparse_index_base_b
                                        ; -- End function
	.section	.AMDGPU.csdata,"",@progbits
; Kernel info:
; codeLenInByte = 576
; NumSgprs: 31
; NumVgprs: 14
; NumAgprs: 0
; TotalNumVgprs: 14
; ScratchSize: 0
; MemoryBound: 0
; FloatMode: 240
; IeeeMode: 1
; LDSByteSize: 0 bytes/workgroup (compile time only)
; SGPRBlocks: 3
; VGPRBlocks: 1
; NumSGPRsForWavesPerEU: 31
; NumVGPRsForWavesPerEU: 14
; AccumOffset: 16
; Occupancy: 8
; WaveLimiterHint : 1
; COMPUTE_PGM_RSRC2:SCRATCH_EN: 0
; COMPUTE_PGM_RSRC2:USER_SGPR: 6
; COMPUTE_PGM_RSRC2:TRAP_HANDLER: 0
; COMPUTE_PGM_RSRC2:TGID_X_EN: 1
; COMPUTE_PGM_RSRC2:TGID_Y_EN: 0
; COMPUTE_PGM_RSRC2:TGID_Z_EN: 0
; COMPUTE_PGM_RSRC2:TIDIG_COMP_CNT: 0
; COMPUTE_PGM_RSRC3_GFX90A:ACCUM_OFFSET: 3
; COMPUTE_PGM_RSRC3_GFX90A:TG_SPLIT: 0
	.section	.text._ZN9rocsparseL21csrmvn_general_kernelILj256ELj8EiiaaffEEvbT2_NS_24const_host_device_scalarIT6_EEPKT1_S7_PKS1_PKT3_PKT4_S4_PT5_21rocsparse_index_base_b,"axG",@progbits,_ZN9rocsparseL21csrmvn_general_kernelILj256ELj8EiiaaffEEvbT2_NS_24const_host_device_scalarIT6_EEPKT1_S7_PKS1_PKT3_PKT4_S4_PT5_21rocsparse_index_base_b,comdat
	.globl	_ZN9rocsparseL21csrmvn_general_kernelILj256ELj8EiiaaffEEvbT2_NS_24const_host_device_scalarIT6_EEPKT1_S7_PKS1_PKT3_PKT4_S4_PT5_21rocsparse_index_base_b ; -- Begin function _ZN9rocsparseL21csrmvn_general_kernelILj256ELj8EiiaaffEEvbT2_NS_24const_host_device_scalarIT6_EEPKT1_S7_PKS1_PKT3_PKT4_S4_PT5_21rocsparse_index_base_b
	.p2align	8
	.type	_ZN9rocsparseL21csrmvn_general_kernelILj256ELj8EiiaaffEEvbT2_NS_24const_host_device_scalarIT6_EEPKT1_S7_PKS1_PKT3_PKT4_S4_PT5_21rocsparse_index_base_b,@function
_ZN9rocsparseL21csrmvn_general_kernelILj256ELj8EiiaaffEEvbT2_NS_24const_host_device_scalarIT6_EEPKT1_S7_PKS1_PKT3_PKT4_S4_PT5_21rocsparse_index_base_b: ; @_ZN9rocsparseL21csrmvn_general_kernelILj256ELj8EiiaaffEEvbT2_NS_24const_host_device_scalarIT6_EEPKT1_S7_PKS1_PKT3_PKT4_S4_PT5_21rocsparse_index_base_b
; %bb.0:
	s_load_dwordx2 s[20:21], s[4:5], 0x48
	s_load_dwordx4 s[16:19], s[4:5], 0x8
	s_load_dwordx2 s[22:23], s[4:5], 0x38
	s_waitcnt lgkmcnt(0)
	s_bitcmp1_b32 s21, 0
	s_cselect_b64 s[2:3], -1, 0
	s_xor_b64 s[0:1], s[2:3], -1
	s_and_b64 vcc, exec, s[2:3]
	s_cbranch_vccnz .LBB167_2
; %bb.1:
	s_load_dword s16, s[16:17], 0x0
.LBB167_2:
	s_andn2_b64 vcc, exec, s[0:1]
	s_cbranch_vccnz .LBB167_4
; %bb.3:
	s_load_dword s22, s[22:23], 0x0
.LBB167_4:
	s_waitcnt lgkmcnt(0)
	v_cmp_neq_f32_e64 s[0:1], s16, 0
	v_cmp_neq_f32_e64 s[2:3], s22, 1.0
	s_or_b64 s[0:1], s[0:1], s[2:3]
	s_andn2_b64 vcc, exec, s[0:1]
	s_cbranch_vccnz .LBB167_16
; %bb.5:
	s_load_dword s17, s[4:5], 0x4
	v_lshl_or_b32 v1, s6, 8, v0
	v_lshrrev_b32_e32 v2, 3, v1
	s_waitcnt lgkmcnt(0)
	v_cmp_gt_i32_e32 vcc, s17, v2
	s_and_saveexec_b64 s[0:1], vcc
	s_cbranch_execz .LBB167_16
; %bb.6:
	s_load_dword s0, s[4:5], 0x50
	s_load_dwordx2 s[6:7], s[4:5], 0x40
	s_load_dwordx8 s[8:15], s[4:5], 0x18
	v_and_b32_e32 v0, 7, v0
	v_cmp_neq_f32_e64 s[2:3], s22, 0
	s_waitcnt lgkmcnt(0)
	s_lshl_b32 s21, s0, 5
	s_ashr_i32 s0, s20, 31
	s_sub_u32 s23, s14, s20
	v_subrev_u32_e32 v6, s20, v0
	s_subb_u32 s26, s15, s0
	v_cmp_eq_u32_e64 s[0:1], 7, v0
	v_cndmask_b32_e64 v0, 0, 1, s[2:3]
	s_mov_b64 s[14:15], 0
	v_mov_b32_e32 v7, s19
	v_mov_b32_e32 v8, s9
	v_cmp_ne_u32_e64 s[2:3], 1, v0
	s_branch .LBB167_9
.LBB167_7:                              ;   in Loop: Header=BB167_9 Depth=1
	global_store_dword v[0:1], v3, off
.LBB167_8:                              ;   in Loop: Header=BB167_9 Depth=1
	s_or_b64 exec, exec, s[24:25]
	v_add_u32_e32 v2, s21, v2
	v_cmp_le_i32_e32 vcc, s17, v2
	s_or_b64 s[14:15], vcc, s[14:15]
	s_andn2_b64 exec, exec, s[14:15]
	s_cbranch_execz .LBB167_16
.LBB167_9:                              ; =>This Loop Header: Depth=1
                                        ;     Child Loop BB167_11 Depth 2
	v_ashrrev_i32_e32 v3, 31, v2
	v_lshlrev_b64 v[0:1], 2, v[2:3]
	v_add_co_u32_e32 v4, vcc, s18, v0
	v_addc_co_u32_e32 v5, vcc, v7, v1, vcc
	v_add_co_u32_e32 v10, vcc, s8, v0
	v_addc_co_u32_e32 v11, vcc, v8, v1, vcc
	global_load_dword v3, v[10:11], off
	global_load_dword v12, v[4:5], off
	s_waitcnt vmcnt(1)
	v_subrev_u32_e32 v9, s20, v3
	s_waitcnt vmcnt(0)
	v_add_u32_e32 v4, v12, v6
	v_cmp_lt_i32_e32 vcc, v4, v9
	v_mov_b32_e32 v3, 0
	s_and_saveexec_b64 s[4:5], vcc
	s_cbranch_execz .LBB167_13
; %bb.10:                               ;   in Loop: Header=BB167_9 Depth=1
	s_mov_b64 s[24:25], 0
	v_mov_b32_e32 v3, 0
.LBB167_11:                             ;   Parent Loop BB167_9 Depth=1
                                        ; =>  This Inner Loop Header: Depth=2
	v_ashrrev_i32_e32 v5, 31, v4
	v_lshlrev_b64 v[10:11], 2, v[4:5]
	v_mov_b32_e32 v12, s11
	v_add_co_u32_e32 v10, vcc, s10, v10
	v_addc_co_u32_e32 v11, vcc, v12, v11, vcc
	global_load_dword v12, v[10:11], off
	v_mov_b32_e32 v11, s13
	v_add_co_u32_e32 v10, vcc, s12, v4
	v_addc_co_u32_e32 v11, vcc, v11, v5, vcc
	v_mov_b32_e32 v13, s26
	global_load_sbyte v5, v[10:11], off
	v_add_u32_e32 v4, 8, v4
	s_waitcnt vmcnt(1)
	v_ashrrev_i32_e32 v11, 31, v12
	v_add_co_u32_e32 v10, vcc, s23, v12
	v_addc_co_u32_e32 v11, vcc, v13, v11, vcc
	global_load_sbyte v10, v[10:11], off
	v_cmp_ge_i32_e32 vcc, v4, v9
	s_waitcnt vmcnt(1)
	v_cvt_f32_i32_e32 v5, v5
	s_or_b64 s[24:25], vcc, s[24:25]
	v_mul_f32_e32 v5, s16, v5
	s_waitcnt vmcnt(0)
	v_cvt_f32_i32_e32 v10, v10
	v_fmac_f32_e32 v3, v5, v10
	s_andn2_b64 exec, exec, s[24:25]
	s_cbranch_execnz .LBB167_11
; %bb.12:                               ;   in Loop: Header=BB167_9 Depth=1
	s_or_b64 exec, exec, s[24:25]
.LBB167_13:                             ;   in Loop: Header=BB167_9 Depth=1
	s_or_b64 exec, exec, s[4:5]
	v_mov_b32_dpp v4, v3 row_shr:1 row_mask:0xf bank_mask:0xf
	v_add_f32_e32 v3, v3, v4
	s_nop 1
	v_mov_b32_dpp v4, v3 row_shr:2 row_mask:0xf bank_mask:0xf
	v_add_f32_e32 v3, v3, v4
	s_nop 1
	v_mov_b32_dpp v4, v3 row_shr:4 row_mask:0xf bank_mask:0xe
	s_and_saveexec_b64 s[24:25], s[0:1]
	s_cbranch_execz .LBB167_8
; %bb.14:                               ;   in Loop: Header=BB167_9 Depth=1
	v_add_f32_e32 v3, v3, v4
	v_mov_b32_e32 v4, s7
	v_add_co_u32_e64 v0, s[4:5], s6, v0
	s_and_b64 vcc, exec, s[2:3]
	v_addc_co_u32_e64 v1, s[4:5], v4, v1, s[4:5]
	s_cbranch_vccnz .LBB167_7
; %bb.15:                               ;   in Loop: Header=BB167_9 Depth=1
	global_load_dword v4, v[0:1], off
	s_waitcnt vmcnt(0)
	v_fmac_f32_e32 v3, s22, v4
	s_branch .LBB167_7
.LBB167_16:
	s_endpgm
	.section	.rodata,"a",@progbits
	.p2align	6, 0x0
	.amdhsa_kernel _ZN9rocsparseL21csrmvn_general_kernelILj256ELj8EiiaaffEEvbT2_NS_24const_host_device_scalarIT6_EEPKT1_S7_PKS1_PKT3_PKT4_S4_PT5_21rocsparse_index_base_b
		.amdhsa_group_segment_fixed_size 0
		.amdhsa_private_segment_fixed_size 0
		.amdhsa_kernarg_size 336
		.amdhsa_user_sgpr_count 6
		.amdhsa_user_sgpr_private_segment_buffer 1
		.amdhsa_user_sgpr_dispatch_ptr 0
		.amdhsa_user_sgpr_queue_ptr 0
		.amdhsa_user_sgpr_kernarg_segment_ptr 1
		.amdhsa_user_sgpr_dispatch_id 0
		.amdhsa_user_sgpr_flat_scratch_init 0
		.amdhsa_user_sgpr_kernarg_preload_length 0
		.amdhsa_user_sgpr_kernarg_preload_offset 0
		.amdhsa_user_sgpr_private_segment_size 0
		.amdhsa_uses_dynamic_stack 0
		.amdhsa_system_sgpr_private_segment_wavefront_offset 0
		.amdhsa_system_sgpr_workgroup_id_x 1
		.amdhsa_system_sgpr_workgroup_id_y 0
		.amdhsa_system_sgpr_workgroup_id_z 0
		.amdhsa_system_sgpr_workgroup_info 0
		.amdhsa_system_vgpr_workitem_id 0
		.amdhsa_next_free_vgpr 14
		.amdhsa_next_free_sgpr 27
		.amdhsa_accum_offset 16
		.amdhsa_reserve_vcc 1
		.amdhsa_reserve_flat_scratch 0
		.amdhsa_float_round_mode_32 0
		.amdhsa_float_round_mode_16_64 0
		.amdhsa_float_denorm_mode_32 3
		.amdhsa_float_denorm_mode_16_64 3
		.amdhsa_dx10_clamp 1
		.amdhsa_ieee_mode 1
		.amdhsa_fp16_overflow 0
		.amdhsa_tg_split 0
		.amdhsa_exception_fp_ieee_invalid_op 0
		.amdhsa_exception_fp_denorm_src 0
		.amdhsa_exception_fp_ieee_div_zero 0
		.amdhsa_exception_fp_ieee_overflow 0
		.amdhsa_exception_fp_ieee_underflow 0
		.amdhsa_exception_fp_ieee_inexact 0
		.amdhsa_exception_int_div_zero 0
	.end_amdhsa_kernel
	.section	.text._ZN9rocsparseL21csrmvn_general_kernelILj256ELj8EiiaaffEEvbT2_NS_24const_host_device_scalarIT6_EEPKT1_S7_PKS1_PKT3_PKT4_S4_PT5_21rocsparse_index_base_b,"axG",@progbits,_ZN9rocsparseL21csrmvn_general_kernelILj256ELj8EiiaaffEEvbT2_NS_24const_host_device_scalarIT6_EEPKT1_S7_PKS1_PKT3_PKT4_S4_PT5_21rocsparse_index_base_b,comdat
.Lfunc_end167:
	.size	_ZN9rocsparseL21csrmvn_general_kernelILj256ELj8EiiaaffEEvbT2_NS_24const_host_device_scalarIT6_EEPKT1_S7_PKS1_PKT3_PKT4_S4_PT5_21rocsparse_index_base_b, .Lfunc_end167-_ZN9rocsparseL21csrmvn_general_kernelILj256ELj8EiiaaffEEvbT2_NS_24const_host_device_scalarIT6_EEPKT1_S7_PKS1_PKT3_PKT4_S4_PT5_21rocsparse_index_base_b
                                        ; -- End function
	.section	.AMDGPU.csdata,"",@progbits
; Kernel info:
; codeLenInByte = 592
; NumSgprs: 31
; NumVgprs: 14
; NumAgprs: 0
; TotalNumVgprs: 14
; ScratchSize: 0
; MemoryBound: 0
; FloatMode: 240
; IeeeMode: 1
; LDSByteSize: 0 bytes/workgroup (compile time only)
; SGPRBlocks: 3
; VGPRBlocks: 1
; NumSGPRsForWavesPerEU: 31
; NumVGPRsForWavesPerEU: 14
; AccumOffset: 16
; Occupancy: 8
; WaveLimiterHint : 1
; COMPUTE_PGM_RSRC2:SCRATCH_EN: 0
; COMPUTE_PGM_RSRC2:USER_SGPR: 6
; COMPUTE_PGM_RSRC2:TRAP_HANDLER: 0
; COMPUTE_PGM_RSRC2:TGID_X_EN: 1
; COMPUTE_PGM_RSRC2:TGID_Y_EN: 0
; COMPUTE_PGM_RSRC2:TGID_Z_EN: 0
; COMPUTE_PGM_RSRC2:TIDIG_COMP_CNT: 0
; COMPUTE_PGM_RSRC3_GFX90A:ACCUM_OFFSET: 3
; COMPUTE_PGM_RSRC3_GFX90A:TG_SPLIT: 0
	.section	.text._ZN9rocsparseL21csrmvn_general_kernelILj256ELj16EiiaaffEEvbT2_NS_24const_host_device_scalarIT6_EEPKT1_S7_PKS1_PKT3_PKT4_S4_PT5_21rocsparse_index_base_b,"axG",@progbits,_ZN9rocsparseL21csrmvn_general_kernelILj256ELj16EiiaaffEEvbT2_NS_24const_host_device_scalarIT6_EEPKT1_S7_PKS1_PKT3_PKT4_S4_PT5_21rocsparse_index_base_b,comdat
	.globl	_ZN9rocsparseL21csrmvn_general_kernelILj256ELj16EiiaaffEEvbT2_NS_24const_host_device_scalarIT6_EEPKT1_S7_PKS1_PKT3_PKT4_S4_PT5_21rocsparse_index_base_b ; -- Begin function _ZN9rocsparseL21csrmvn_general_kernelILj256ELj16EiiaaffEEvbT2_NS_24const_host_device_scalarIT6_EEPKT1_S7_PKS1_PKT3_PKT4_S4_PT5_21rocsparse_index_base_b
	.p2align	8
	.type	_ZN9rocsparseL21csrmvn_general_kernelILj256ELj16EiiaaffEEvbT2_NS_24const_host_device_scalarIT6_EEPKT1_S7_PKS1_PKT3_PKT4_S4_PT5_21rocsparse_index_base_b,@function
_ZN9rocsparseL21csrmvn_general_kernelILj256ELj16EiiaaffEEvbT2_NS_24const_host_device_scalarIT6_EEPKT1_S7_PKS1_PKT3_PKT4_S4_PT5_21rocsparse_index_base_b: ; @_ZN9rocsparseL21csrmvn_general_kernelILj256ELj16EiiaaffEEvbT2_NS_24const_host_device_scalarIT6_EEPKT1_S7_PKS1_PKT3_PKT4_S4_PT5_21rocsparse_index_base_b
; %bb.0:
	s_load_dwordx2 s[20:21], s[4:5], 0x48
	s_load_dwordx4 s[16:19], s[4:5], 0x8
	s_load_dwordx2 s[22:23], s[4:5], 0x38
	s_waitcnt lgkmcnt(0)
	s_bitcmp1_b32 s21, 0
	s_cselect_b64 s[2:3], -1, 0
	s_xor_b64 s[0:1], s[2:3], -1
	s_and_b64 vcc, exec, s[2:3]
	s_cbranch_vccnz .LBB168_2
; %bb.1:
	s_load_dword s16, s[16:17], 0x0
.LBB168_2:
	s_andn2_b64 vcc, exec, s[0:1]
	s_cbranch_vccnz .LBB168_4
; %bb.3:
	s_load_dword s22, s[22:23], 0x0
.LBB168_4:
	s_waitcnt lgkmcnt(0)
	v_cmp_neq_f32_e64 s[0:1], s16, 0
	v_cmp_neq_f32_e64 s[2:3], s22, 1.0
	s_or_b64 s[0:1], s[0:1], s[2:3]
	s_andn2_b64 vcc, exec, s[0:1]
	s_cbranch_vccnz .LBB168_16
; %bb.5:
	s_load_dword s17, s[4:5], 0x4
	v_lshl_or_b32 v1, s6, 8, v0
	v_lshrrev_b32_e32 v2, 4, v1
	s_waitcnt lgkmcnt(0)
	v_cmp_gt_i32_e32 vcc, s17, v2
	s_and_saveexec_b64 s[0:1], vcc
	s_cbranch_execz .LBB168_16
; %bb.6:
	s_load_dword s0, s[4:5], 0x50
	s_load_dwordx2 s[6:7], s[4:5], 0x40
	s_load_dwordx8 s[8:15], s[4:5], 0x18
	v_and_b32_e32 v0, 15, v0
	v_cmp_neq_f32_e64 s[2:3], s22, 0
	s_waitcnt lgkmcnt(0)
	s_lshl_b32 s21, s0, 4
	s_ashr_i32 s0, s20, 31
	s_sub_u32 s23, s14, s20
	v_subrev_u32_e32 v6, s20, v0
	s_subb_u32 s26, s15, s0
	v_cmp_eq_u32_e64 s[0:1], 15, v0
	v_cndmask_b32_e64 v0, 0, 1, s[2:3]
	s_mov_b64 s[14:15], 0
	v_mov_b32_e32 v7, s19
	v_mov_b32_e32 v8, s9
	v_cmp_ne_u32_e64 s[2:3], 1, v0
	s_branch .LBB168_9
.LBB168_7:                              ;   in Loop: Header=BB168_9 Depth=1
	global_store_dword v[0:1], v3, off
.LBB168_8:                              ;   in Loop: Header=BB168_9 Depth=1
	s_or_b64 exec, exec, s[24:25]
	v_add_u32_e32 v2, s21, v2
	v_cmp_le_i32_e32 vcc, s17, v2
	s_or_b64 s[14:15], vcc, s[14:15]
	s_andn2_b64 exec, exec, s[14:15]
	s_cbranch_execz .LBB168_16
.LBB168_9:                              ; =>This Loop Header: Depth=1
                                        ;     Child Loop BB168_11 Depth 2
	v_ashrrev_i32_e32 v3, 31, v2
	v_lshlrev_b64 v[0:1], 2, v[2:3]
	v_add_co_u32_e32 v4, vcc, s18, v0
	v_addc_co_u32_e32 v5, vcc, v7, v1, vcc
	v_add_co_u32_e32 v10, vcc, s8, v0
	v_addc_co_u32_e32 v11, vcc, v8, v1, vcc
	global_load_dword v3, v[10:11], off
	global_load_dword v12, v[4:5], off
	s_waitcnt vmcnt(1)
	v_subrev_u32_e32 v9, s20, v3
	s_waitcnt vmcnt(0)
	v_add_u32_e32 v4, v12, v6
	v_cmp_lt_i32_e32 vcc, v4, v9
	v_mov_b32_e32 v3, 0
	s_and_saveexec_b64 s[4:5], vcc
	s_cbranch_execz .LBB168_13
; %bb.10:                               ;   in Loop: Header=BB168_9 Depth=1
	s_mov_b64 s[24:25], 0
	v_mov_b32_e32 v3, 0
.LBB168_11:                             ;   Parent Loop BB168_9 Depth=1
                                        ; =>  This Inner Loop Header: Depth=2
	v_ashrrev_i32_e32 v5, 31, v4
	v_lshlrev_b64 v[10:11], 2, v[4:5]
	v_mov_b32_e32 v12, s11
	v_add_co_u32_e32 v10, vcc, s10, v10
	v_addc_co_u32_e32 v11, vcc, v12, v11, vcc
	global_load_dword v12, v[10:11], off
	v_mov_b32_e32 v11, s13
	v_add_co_u32_e32 v10, vcc, s12, v4
	v_addc_co_u32_e32 v11, vcc, v11, v5, vcc
	v_mov_b32_e32 v13, s26
	global_load_sbyte v5, v[10:11], off
	v_add_u32_e32 v4, 16, v4
	s_waitcnt vmcnt(1)
	v_ashrrev_i32_e32 v11, 31, v12
	v_add_co_u32_e32 v10, vcc, s23, v12
	v_addc_co_u32_e32 v11, vcc, v13, v11, vcc
	global_load_sbyte v10, v[10:11], off
	v_cmp_ge_i32_e32 vcc, v4, v9
	s_waitcnt vmcnt(1)
	v_cvt_f32_i32_e32 v5, v5
	s_or_b64 s[24:25], vcc, s[24:25]
	v_mul_f32_e32 v5, s16, v5
	s_waitcnt vmcnt(0)
	v_cvt_f32_i32_e32 v10, v10
	v_fmac_f32_e32 v3, v5, v10
	s_andn2_b64 exec, exec, s[24:25]
	s_cbranch_execnz .LBB168_11
; %bb.12:                               ;   in Loop: Header=BB168_9 Depth=1
	s_or_b64 exec, exec, s[24:25]
.LBB168_13:                             ;   in Loop: Header=BB168_9 Depth=1
	s_or_b64 exec, exec, s[4:5]
	v_mov_b32_dpp v4, v3 row_shr:1 row_mask:0xf bank_mask:0xf
	v_add_f32_e32 v3, v3, v4
	s_nop 1
	v_mov_b32_dpp v4, v3 row_shr:2 row_mask:0xf bank_mask:0xf
	v_add_f32_e32 v3, v3, v4
	s_nop 1
	;; [unrolled: 3-line block ×3, first 2 shown]
	v_mov_b32_dpp v4, v3 row_shr:8 row_mask:0xf bank_mask:0xc
	s_and_saveexec_b64 s[24:25], s[0:1]
	s_cbranch_execz .LBB168_8
; %bb.14:                               ;   in Loop: Header=BB168_9 Depth=1
	v_add_f32_e32 v3, v3, v4
	v_mov_b32_e32 v4, s7
	v_add_co_u32_e64 v0, s[4:5], s6, v0
	s_and_b64 vcc, exec, s[2:3]
	v_addc_co_u32_e64 v1, s[4:5], v4, v1, s[4:5]
	s_cbranch_vccnz .LBB168_7
; %bb.15:                               ;   in Loop: Header=BB168_9 Depth=1
	global_load_dword v4, v[0:1], off
	s_waitcnt vmcnt(0)
	v_fmac_f32_e32 v3, s22, v4
	s_branch .LBB168_7
.LBB168_16:
	s_endpgm
	.section	.rodata,"a",@progbits
	.p2align	6, 0x0
	.amdhsa_kernel _ZN9rocsparseL21csrmvn_general_kernelILj256ELj16EiiaaffEEvbT2_NS_24const_host_device_scalarIT6_EEPKT1_S7_PKS1_PKT3_PKT4_S4_PT5_21rocsparse_index_base_b
		.amdhsa_group_segment_fixed_size 0
		.amdhsa_private_segment_fixed_size 0
		.amdhsa_kernarg_size 336
		.amdhsa_user_sgpr_count 6
		.amdhsa_user_sgpr_private_segment_buffer 1
		.amdhsa_user_sgpr_dispatch_ptr 0
		.amdhsa_user_sgpr_queue_ptr 0
		.amdhsa_user_sgpr_kernarg_segment_ptr 1
		.amdhsa_user_sgpr_dispatch_id 0
		.amdhsa_user_sgpr_flat_scratch_init 0
		.amdhsa_user_sgpr_kernarg_preload_length 0
		.amdhsa_user_sgpr_kernarg_preload_offset 0
		.amdhsa_user_sgpr_private_segment_size 0
		.amdhsa_uses_dynamic_stack 0
		.amdhsa_system_sgpr_private_segment_wavefront_offset 0
		.amdhsa_system_sgpr_workgroup_id_x 1
		.amdhsa_system_sgpr_workgroup_id_y 0
		.amdhsa_system_sgpr_workgroup_id_z 0
		.amdhsa_system_sgpr_workgroup_info 0
		.amdhsa_system_vgpr_workitem_id 0
		.amdhsa_next_free_vgpr 14
		.amdhsa_next_free_sgpr 27
		.amdhsa_accum_offset 16
		.amdhsa_reserve_vcc 1
		.amdhsa_reserve_flat_scratch 0
		.amdhsa_float_round_mode_32 0
		.amdhsa_float_round_mode_16_64 0
		.amdhsa_float_denorm_mode_32 3
		.amdhsa_float_denorm_mode_16_64 3
		.amdhsa_dx10_clamp 1
		.amdhsa_ieee_mode 1
		.amdhsa_fp16_overflow 0
		.amdhsa_tg_split 0
		.amdhsa_exception_fp_ieee_invalid_op 0
		.amdhsa_exception_fp_denorm_src 0
		.amdhsa_exception_fp_ieee_div_zero 0
		.amdhsa_exception_fp_ieee_overflow 0
		.amdhsa_exception_fp_ieee_underflow 0
		.amdhsa_exception_fp_ieee_inexact 0
		.amdhsa_exception_int_div_zero 0
	.end_amdhsa_kernel
	.section	.text._ZN9rocsparseL21csrmvn_general_kernelILj256ELj16EiiaaffEEvbT2_NS_24const_host_device_scalarIT6_EEPKT1_S7_PKS1_PKT3_PKT4_S4_PT5_21rocsparse_index_base_b,"axG",@progbits,_ZN9rocsparseL21csrmvn_general_kernelILj256ELj16EiiaaffEEvbT2_NS_24const_host_device_scalarIT6_EEPKT1_S7_PKS1_PKT3_PKT4_S4_PT5_21rocsparse_index_base_b,comdat
.Lfunc_end168:
	.size	_ZN9rocsparseL21csrmvn_general_kernelILj256ELj16EiiaaffEEvbT2_NS_24const_host_device_scalarIT6_EEPKT1_S7_PKS1_PKT3_PKT4_S4_PT5_21rocsparse_index_base_b, .Lfunc_end168-_ZN9rocsparseL21csrmvn_general_kernelILj256ELj16EiiaaffEEvbT2_NS_24const_host_device_scalarIT6_EEPKT1_S7_PKS1_PKT3_PKT4_S4_PT5_21rocsparse_index_base_b
                                        ; -- End function
	.section	.AMDGPU.csdata,"",@progbits
; Kernel info:
; codeLenInByte = 608
; NumSgprs: 31
; NumVgprs: 14
; NumAgprs: 0
; TotalNumVgprs: 14
; ScratchSize: 0
; MemoryBound: 0
; FloatMode: 240
; IeeeMode: 1
; LDSByteSize: 0 bytes/workgroup (compile time only)
; SGPRBlocks: 3
; VGPRBlocks: 1
; NumSGPRsForWavesPerEU: 31
; NumVGPRsForWavesPerEU: 14
; AccumOffset: 16
; Occupancy: 8
; WaveLimiterHint : 1
; COMPUTE_PGM_RSRC2:SCRATCH_EN: 0
; COMPUTE_PGM_RSRC2:USER_SGPR: 6
; COMPUTE_PGM_RSRC2:TRAP_HANDLER: 0
; COMPUTE_PGM_RSRC2:TGID_X_EN: 1
; COMPUTE_PGM_RSRC2:TGID_Y_EN: 0
; COMPUTE_PGM_RSRC2:TGID_Z_EN: 0
; COMPUTE_PGM_RSRC2:TIDIG_COMP_CNT: 0
; COMPUTE_PGM_RSRC3_GFX90A:ACCUM_OFFSET: 3
; COMPUTE_PGM_RSRC3_GFX90A:TG_SPLIT: 0
	.section	.text._ZN9rocsparseL21csrmvn_general_kernelILj256ELj32EiiaaffEEvbT2_NS_24const_host_device_scalarIT6_EEPKT1_S7_PKS1_PKT3_PKT4_S4_PT5_21rocsparse_index_base_b,"axG",@progbits,_ZN9rocsparseL21csrmvn_general_kernelILj256ELj32EiiaaffEEvbT2_NS_24const_host_device_scalarIT6_EEPKT1_S7_PKS1_PKT3_PKT4_S4_PT5_21rocsparse_index_base_b,comdat
	.globl	_ZN9rocsparseL21csrmvn_general_kernelILj256ELj32EiiaaffEEvbT2_NS_24const_host_device_scalarIT6_EEPKT1_S7_PKS1_PKT3_PKT4_S4_PT5_21rocsparse_index_base_b ; -- Begin function _ZN9rocsparseL21csrmvn_general_kernelILj256ELj32EiiaaffEEvbT2_NS_24const_host_device_scalarIT6_EEPKT1_S7_PKS1_PKT3_PKT4_S4_PT5_21rocsparse_index_base_b
	.p2align	8
	.type	_ZN9rocsparseL21csrmvn_general_kernelILj256ELj32EiiaaffEEvbT2_NS_24const_host_device_scalarIT6_EEPKT1_S7_PKS1_PKT3_PKT4_S4_PT5_21rocsparse_index_base_b,@function
_ZN9rocsparseL21csrmvn_general_kernelILj256ELj32EiiaaffEEvbT2_NS_24const_host_device_scalarIT6_EEPKT1_S7_PKS1_PKT3_PKT4_S4_PT5_21rocsparse_index_base_b: ; @_ZN9rocsparseL21csrmvn_general_kernelILj256ELj32EiiaaffEEvbT2_NS_24const_host_device_scalarIT6_EEPKT1_S7_PKS1_PKT3_PKT4_S4_PT5_21rocsparse_index_base_b
; %bb.0:
	s_load_dwordx2 s[20:21], s[4:5], 0x48
	s_load_dwordx4 s[16:19], s[4:5], 0x8
	s_load_dwordx2 s[22:23], s[4:5], 0x38
	s_waitcnt lgkmcnt(0)
	s_bitcmp1_b32 s21, 0
	s_cselect_b64 s[2:3], -1, 0
	s_xor_b64 s[0:1], s[2:3], -1
	s_and_b64 vcc, exec, s[2:3]
	s_cbranch_vccnz .LBB169_2
; %bb.1:
	s_load_dword s16, s[16:17], 0x0
.LBB169_2:
	s_andn2_b64 vcc, exec, s[0:1]
	s_cbranch_vccnz .LBB169_4
; %bb.3:
	s_load_dword s22, s[22:23], 0x0
.LBB169_4:
	s_waitcnt lgkmcnt(0)
	v_cmp_neq_f32_e64 s[0:1], s16, 0
	v_cmp_neq_f32_e64 s[2:3], s22, 1.0
	s_or_b64 s[0:1], s[0:1], s[2:3]
	s_andn2_b64 vcc, exec, s[0:1]
	s_cbranch_vccnz .LBB169_16
; %bb.5:
	s_load_dword s17, s[4:5], 0x4
	v_lshl_or_b32 v1, s6, 8, v0
	v_lshrrev_b32_e32 v2, 5, v1
	s_waitcnt lgkmcnt(0)
	v_cmp_gt_i32_e32 vcc, s17, v2
	s_and_saveexec_b64 s[0:1], vcc
	s_cbranch_execz .LBB169_16
; %bb.6:
	s_load_dword s0, s[4:5], 0x50
	s_load_dwordx2 s[6:7], s[4:5], 0x40
	s_load_dwordx8 s[8:15], s[4:5], 0x18
	v_and_b32_e32 v0, 31, v0
	v_cmp_neq_f32_e64 s[2:3], s22, 0
	s_waitcnt lgkmcnt(0)
	s_lshl_b32 s21, s0, 3
	s_ashr_i32 s0, s20, 31
	s_sub_u32 s23, s14, s20
	v_subrev_u32_e32 v6, s20, v0
	s_subb_u32 s26, s15, s0
	v_cmp_eq_u32_e64 s[0:1], 31, v0
	v_cndmask_b32_e64 v0, 0, 1, s[2:3]
	s_mov_b64 s[14:15], 0
	v_mov_b32_e32 v7, s19
	v_mov_b32_e32 v8, s9
	v_cmp_ne_u32_e64 s[2:3], 1, v0
	s_branch .LBB169_9
.LBB169_7:                              ;   in Loop: Header=BB169_9 Depth=1
	global_store_dword v[0:1], v3, off
.LBB169_8:                              ;   in Loop: Header=BB169_9 Depth=1
	s_or_b64 exec, exec, s[24:25]
	v_add_u32_e32 v2, s21, v2
	v_cmp_le_i32_e32 vcc, s17, v2
	s_or_b64 s[14:15], vcc, s[14:15]
	s_andn2_b64 exec, exec, s[14:15]
	s_cbranch_execz .LBB169_16
.LBB169_9:                              ; =>This Loop Header: Depth=1
                                        ;     Child Loop BB169_11 Depth 2
	v_ashrrev_i32_e32 v3, 31, v2
	v_lshlrev_b64 v[0:1], 2, v[2:3]
	v_add_co_u32_e32 v4, vcc, s18, v0
	v_addc_co_u32_e32 v5, vcc, v7, v1, vcc
	v_add_co_u32_e32 v10, vcc, s8, v0
	v_addc_co_u32_e32 v11, vcc, v8, v1, vcc
	global_load_dword v3, v[10:11], off
	global_load_dword v12, v[4:5], off
	s_waitcnt vmcnt(1)
	v_subrev_u32_e32 v9, s20, v3
	s_waitcnt vmcnt(0)
	v_add_u32_e32 v4, v12, v6
	v_cmp_lt_i32_e32 vcc, v4, v9
	v_mov_b32_e32 v3, 0
	s_and_saveexec_b64 s[4:5], vcc
	s_cbranch_execz .LBB169_13
; %bb.10:                               ;   in Loop: Header=BB169_9 Depth=1
	s_mov_b64 s[24:25], 0
	v_mov_b32_e32 v3, 0
.LBB169_11:                             ;   Parent Loop BB169_9 Depth=1
                                        ; =>  This Inner Loop Header: Depth=2
	v_ashrrev_i32_e32 v5, 31, v4
	v_lshlrev_b64 v[10:11], 2, v[4:5]
	v_mov_b32_e32 v12, s11
	v_add_co_u32_e32 v10, vcc, s10, v10
	v_addc_co_u32_e32 v11, vcc, v12, v11, vcc
	global_load_dword v12, v[10:11], off
	v_mov_b32_e32 v11, s13
	v_add_co_u32_e32 v10, vcc, s12, v4
	v_addc_co_u32_e32 v11, vcc, v11, v5, vcc
	v_mov_b32_e32 v13, s26
	global_load_sbyte v5, v[10:11], off
	v_add_u32_e32 v4, 32, v4
	s_waitcnt vmcnt(1)
	v_ashrrev_i32_e32 v11, 31, v12
	v_add_co_u32_e32 v10, vcc, s23, v12
	v_addc_co_u32_e32 v11, vcc, v13, v11, vcc
	global_load_sbyte v10, v[10:11], off
	v_cmp_ge_i32_e32 vcc, v4, v9
	s_waitcnt vmcnt(1)
	v_cvt_f32_i32_e32 v5, v5
	s_or_b64 s[24:25], vcc, s[24:25]
	v_mul_f32_e32 v5, s16, v5
	s_waitcnt vmcnt(0)
	v_cvt_f32_i32_e32 v10, v10
	v_fmac_f32_e32 v3, v5, v10
	s_andn2_b64 exec, exec, s[24:25]
	s_cbranch_execnz .LBB169_11
; %bb.12:                               ;   in Loop: Header=BB169_9 Depth=1
	s_or_b64 exec, exec, s[24:25]
.LBB169_13:                             ;   in Loop: Header=BB169_9 Depth=1
	s_or_b64 exec, exec, s[4:5]
	v_mov_b32_dpp v4, v3 row_shr:1 row_mask:0xf bank_mask:0xf
	v_add_f32_e32 v3, v3, v4
	s_nop 1
	v_mov_b32_dpp v4, v3 row_shr:2 row_mask:0xf bank_mask:0xf
	v_add_f32_e32 v3, v3, v4
	s_nop 1
	;; [unrolled: 3-line block ×4, first 2 shown]
	v_mov_b32_dpp v4, v3 row_bcast:15 row_mask:0xa bank_mask:0xf
	s_and_saveexec_b64 s[24:25], s[0:1]
	s_cbranch_execz .LBB169_8
; %bb.14:                               ;   in Loop: Header=BB169_9 Depth=1
	v_add_f32_e32 v3, v3, v4
	v_mov_b32_e32 v4, s7
	v_add_co_u32_e64 v0, s[4:5], s6, v0
	s_and_b64 vcc, exec, s[2:3]
	v_addc_co_u32_e64 v1, s[4:5], v4, v1, s[4:5]
	s_cbranch_vccnz .LBB169_7
; %bb.15:                               ;   in Loop: Header=BB169_9 Depth=1
	global_load_dword v4, v[0:1], off
	s_waitcnt vmcnt(0)
	v_fmac_f32_e32 v3, s22, v4
	s_branch .LBB169_7
.LBB169_16:
	s_endpgm
	.section	.rodata,"a",@progbits
	.p2align	6, 0x0
	.amdhsa_kernel _ZN9rocsparseL21csrmvn_general_kernelILj256ELj32EiiaaffEEvbT2_NS_24const_host_device_scalarIT6_EEPKT1_S7_PKS1_PKT3_PKT4_S4_PT5_21rocsparse_index_base_b
		.amdhsa_group_segment_fixed_size 0
		.amdhsa_private_segment_fixed_size 0
		.amdhsa_kernarg_size 336
		.amdhsa_user_sgpr_count 6
		.amdhsa_user_sgpr_private_segment_buffer 1
		.amdhsa_user_sgpr_dispatch_ptr 0
		.amdhsa_user_sgpr_queue_ptr 0
		.amdhsa_user_sgpr_kernarg_segment_ptr 1
		.amdhsa_user_sgpr_dispatch_id 0
		.amdhsa_user_sgpr_flat_scratch_init 0
		.amdhsa_user_sgpr_kernarg_preload_length 0
		.amdhsa_user_sgpr_kernarg_preload_offset 0
		.amdhsa_user_sgpr_private_segment_size 0
		.amdhsa_uses_dynamic_stack 0
		.amdhsa_system_sgpr_private_segment_wavefront_offset 0
		.amdhsa_system_sgpr_workgroup_id_x 1
		.amdhsa_system_sgpr_workgroup_id_y 0
		.amdhsa_system_sgpr_workgroup_id_z 0
		.amdhsa_system_sgpr_workgroup_info 0
		.amdhsa_system_vgpr_workitem_id 0
		.amdhsa_next_free_vgpr 14
		.amdhsa_next_free_sgpr 27
		.amdhsa_accum_offset 16
		.amdhsa_reserve_vcc 1
		.amdhsa_reserve_flat_scratch 0
		.amdhsa_float_round_mode_32 0
		.amdhsa_float_round_mode_16_64 0
		.amdhsa_float_denorm_mode_32 3
		.amdhsa_float_denorm_mode_16_64 3
		.amdhsa_dx10_clamp 1
		.amdhsa_ieee_mode 1
		.amdhsa_fp16_overflow 0
		.amdhsa_tg_split 0
		.amdhsa_exception_fp_ieee_invalid_op 0
		.amdhsa_exception_fp_denorm_src 0
		.amdhsa_exception_fp_ieee_div_zero 0
		.amdhsa_exception_fp_ieee_overflow 0
		.amdhsa_exception_fp_ieee_underflow 0
		.amdhsa_exception_fp_ieee_inexact 0
		.amdhsa_exception_int_div_zero 0
	.end_amdhsa_kernel
	.section	.text._ZN9rocsparseL21csrmvn_general_kernelILj256ELj32EiiaaffEEvbT2_NS_24const_host_device_scalarIT6_EEPKT1_S7_PKS1_PKT3_PKT4_S4_PT5_21rocsparse_index_base_b,"axG",@progbits,_ZN9rocsparseL21csrmvn_general_kernelILj256ELj32EiiaaffEEvbT2_NS_24const_host_device_scalarIT6_EEPKT1_S7_PKS1_PKT3_PKT4_S4_PT5_21rocsparse_index_base_b,comdat
.Lfunc_end169:
	.size	_ZN9rocsparseL21csrmvn_general_kernelILj256ELj32EiiaaffEEvbT2_NS_24const_host_device_scalarIT6_EEPKT1_S7_PKS1_PKT3_PKT4_S4_PT5_21rocsparse_index_base_b, .Lfunc_end169-_ZN9rocsparseL21csrmvn_general_kernelILj256ELj32EiiaaffEEvbT2_NS_24const_host_device_scalarIT6_EEPKT1_S7_PKS1_PKT3_PKT4_S4_PT5_21rocsparse_index_base_b
                                        ; -- End function
	.section	.AMDGPU.csdata,"",@progbits
; Kernel info:
; codeLenInByte = 624
; NumSgprs: 31
; NumVgprs: 14
; NumAgprs: 0
; TotalNumVgprs: 14
; ScratchSize: 0
; MemoryBound: 0
; FloatMode: 240
; IeeeMode: 1
; LDSByteSize: 0 bytes/workgroup (compile time only)
; SGPRBlocks: 3
; VGPRBlocks: 1
; NumSGPRsForWavesPerEU: 31
; NumVGPRsForWavesPerEU: 14
; AccumOffset: 16
; Occupancy: 8
; WaveLimiterHint : 1
; COMPUTE_PGM_RSRC2:SCRATCH_EN: 0
; COMPUTE_PGM_RSRC2:USER_SGPR: 6
; COMPUTE_PGM_RSRC2:TRAP_HANDLER: 0
; COMPUTE_PGM_RSRC2:TGID_X_EN: 1
; COMPUTE_PGM_RSRC2:TGID_Y_EN: 0
; COMPUTE_PGM_RSRC2:TGID_Z_EN: 0
; COMPUTE_PGM_RSRC2:TIDIG_COMP_CNT: 0
; COMPUTE_PGM_RSRC3_GFX90A:ACCUM_OFFSET: 3
; COMPUTE_PGM_RSRC3_GFX90A:TG_SPLIT: 0
	.section	.text._ZN9rocsparseL21csrmvn_general_kernelILj256ELj64EiiaaffEEvbT2_NS_24const_host_device_scalarIT6_EEPKT1_S7_PKS1_PKT3_PKT4_S4_PT5_21rocsparse_index_base_b,"axG",@progbits,_ZN9rocsparseL21csrmvn_general_kernelILj256ELj64EiiaaffEEvbT2_NS_24const_host_device_scalarIT6_EEPKT1_S7_PKS1_PKT3_PKT4_S4_PT5_21rocsparse_index_base_b,comdat
	.globl	_ZN9rocsparseL21csrmvn_general_kernelILj256ELj64EiiaaffEEvbT2_NS_24const_host_device_scalarIT6_EEPKT1_S7_PKS1_PKT3_PKT4_S4_PT5_21rocsparse_index_base_b ; -- Begin function _ZN9rocsparseL21csrmvn_general_kernelILj256ELj64EiiaaffEEvbT2_NS_24const_host_device_scalarIT6_EEPKT1_S7_PKS1_PKT3_PKT4_S4_PT5_21rocsparse_index_base_b
	.p2align	8
	.type	_ZN9rocsparseL21csrmvn_general_kernelILj256ELj64EiiaaffEEvbT2_NS_24const_host_device_scalarIT6_EEPKT1_S7_PKS1_PKT3_PKT4_S4_PT5_21rocsparse_index_base_b,@function
_ZN9rocsparseL21csrmvn_general_kernelILj256ELj64EiiaaffEEvbT2_NS_24const_host_device_scalarIT6_EEPKT1_S7_PKS1_PKT3_PKT4_S4_PT5_21rocsparse_index_base_b: ; @_ZN9rocsparseL21csrmvn_general_kernelILj256ELj64EiiaaffEEvbT2_NS_24const_host_device_scalarIT6_EEPKT1_S7_PKS1_PKT3_PKT4_S4_PT5_21rocsparse_index_base_b
; %bb.0:
	s_load_dwordx2 s[20:21], s[4:5], 0x48
	s_load_dwordx4 s[16:19], s[4:5], 0x8
	s_load_dwordx2 s[22:23], s[4:5], 0x38
	s_waitcnt lgkmcnt(0)
	s_bitcmp1_b32 s21, 0
	s_cselect_b64 s[2:3], -1, 0
	s_xor_b64 s[0:1], s[2:3], -1
	s_and_b64 vcc, exec, s[2:3]
	s_cbranch_vccnz .LBB170_2
; %bb.1:
	s_load_dword s16, s[16:17], 0x0
.LBB170_2:
	s_andn2_b64 vcc, exec, s[0:1]
	s_cbranch_vccnz .LBB170_4
; %bb.3:
	s_load_dword s22, s[22:23], 0x0
.LBB170_4:
	s_waitcnt lgkmcnt(0)
	v_cmp_neq_f32_e64 s[0:1], s16, 0
	v_cmp_neq_f32_e64 s[2:3], s22, 1.0
	s_or_b64 s[0:1], s[0:1], s[2:3]
	s_andn2_b64 vcc, exec, s[0:1]
	s_cbranch_vccnz .LBB170_16
; %bb.5:
	s_load_dword s17, s[4:5], 0x4
	v_lshl_or_b32 v1, s6, 8, v0
	v_lshrrev_b32_e32 v2, 6, v1
	s_waitcnt lgkmcnt(0)
	v_cmp_gt_i32_e32 vcc, s17, v2
	s_and_saveexec_b64 s[0:1], vcc
	s_cbranch_execz .LBB170_16
; %bb.6:
	s_load_dword s0, s[4:5], 0x50
	s_load_dwordx2 s[6:7], s[4:5], 0x40
	s_load_dwordx8 s[8:15], s[4:5], 0x18
	v_and_b32_e32 v0, 63, v0
	v_cmp_neq_f32_e64 s[2:3], s22, 0
	s_waitcnt lgkmcnt(0)
	s_lshl_b32 s21, s0, 2
	s_ashr_i32 s0, s20, 31
	s_sub_u32 s23, s14, s20
	v_subrev_u32_e32 v6, s20, v0
	s_subb_u32 s26, s15, s0
	v_cmp_eq_u32_e64 s[0:1], 63, v0
	v_cndmask_b32_e64 v0, 0, 1, s[2:3]
	s_mov_b64 s[14:15], 0
	v_mov_b32_e32 v7, s19
	v_mov_b32_e32 v8, s9
	v_cmp_ne_u32_e64 s[2:3], 1, v0
	s_branch .LBB170_9
.LBB170_7:                              ;   in Loop: Header=BB170_9 Depth=1
	global_store_dword v[0:1], v3, off
.LBB170_8:                              ;   in Loop: Header=BB170_9 Depth=1
	s_or_b64 exec, exec, s[24:25]
	v_add_u32_e32 v2, s21, v2
	v_cmp_le_i32_e32 vcc, s17, v2
	s_or_b64 s[14:15], vcc, s[14:15]
	s_andn2_b64 exec, exec, s[14:15]
	s_cbranch_execz .LBB170_16
.LBB170_9:                              ; =>This Loop Header: Depth=1
                                        ;     Child Loop BB170_11 Depth 2
	v_ashrrev_i32_e32 v3, 31, v2
	v_lshlrev_b64 v[0:1], 2, v[2:3]
	v_add_co_u32_e32 v4, vcc, s18, v0
	v_addc_co_u32_e32 v5, vcc, v7, v1, vcc
	v_add_co_u32_e32 v10, vcc, s8, v0
	v_addc_co_u32_e32 v11, vcc, v8, v1, vcc
	global_load_dword v3, v[10:11], off
	global_load_dword v12, v[4:5], off
	s_waitcnt vmcnt(1)
	v_subrev_u32_e32 v9, s20, v3
	s_waitcnt vmcnt(0)
	v_add_u32_e32 v4, v12, v6
	v_cmp_lt_i32_e32 vcc, v4, v9
	v_mov_b32_e32 v3, 0
	s_and_saveexec_b64 s[4:5], vcc
	s_cbranch_execz .LBB170_13
; %bb.10:                               ;   in Loop: Header=BB170_9 Depth=1
	s_mov_b64 s[24:25], 0
	v_mov_b32_e32 v3, 0
.LBB170_11:                             ;   Parent Loop BB170_9 Depth=1
                                        ; =>  This Inner Loop Header: Depth=2
	v_ashrrev_i32_e32 v5, 31, v4
	v_lshlrev_b64 v[10:11], 2, v[4:5]
	v_mov_b32_e32 v12, s11
	v_add_co_u32_e32 v10, vcc, s10, v10
	v_addc_co_u32_e32 v11, vcc, v12, v11, vcc
	global_load_dword v12, v[10:11], off
	v_mov_b32_e32 v11, s13
	v_add_co_u32_e32 v10, vcc, s12, v4
	v_addc_co_u32_e32 v11, vcc, v11, v5, vcc
	v_mov_b32_e32 v13, s26
	global_load_sbyte v5, v[10:11], off
	v_add_u32_e32 v4, 64, v4
	s_waitcnt vmcnt(1)
	v_ashrrev_i32_e32 v11, 31, v12
	v_add_co_u32_e32 v10, vcc, s23, v12
	v_addc_co_u32_e32 v11, vcc, v13, v11, vcc
	global_load_sbyte v10, v[10:11], off
	v_cmp_ge_i32_e32 vcc, v4, v9
	s_waitcnt vmcnt(1)
	v_cvt_f32_i32_e32 v5, v5
	s_or_b64 s[24:25], vcc, s[24:25]
	v_mul_f32_e32 v5, s16, v5
	s_waitcnt vmcnt(0)
	v_cvt_f32_i32_e32 v10, v10
	v_fmac_f32_e32 v3, v5, v10
	s_andn2_b64 exec, exec, s[24:25]
	s_cbranch_execnz .LBB170_11
; %bb.12:                               ;   in Loop: Header=BB170_9 Depth=1
	s_or_b64 exec, exec, s[24:25]
.LBB170_13:                             ;   in Loop: Header=BB170_9 Depth=1
	s_or_b64 exec, exec, s[4:5]
	v_mov_b32_dpp v4, v3 row_shr:1 row_mask:0xf bank_mask:0xf
	v_add_f32_e32 v3, v3, v4
	s_nop 1
	v_mov_b32_dpp v4, v3 row_shr:2 row_mask:0xf bank_mask:0xf
	v_add_f32_e32 v3, v3, v4
	s_nop 1
	;; [unrolled: 3-line block ×4, first 2 shown]
	v_mov_b32_dpp v4, v3 row_bcast:15 row_mask:0xa bank_mask:0xf
	v_add_f32_e32 v3, v3, v4
	s_nop 1
	v_mov_b32_dpp v4, v3 row_bcast:31 row_mask:0xc bank_mask:0xf
	s_and_saveexec_b64 s[24:25], s[0:1]
	s_cbranch_execz .LBB170_8
; %bb.14:                               ;   in Loop: Header=BB170_9 Depth=1
	v_add_f32_e32 v3, v3, v4
	v_mov_b32_e32 v4, s7
	v_add_co_u32_e64 v0, s[4:5], s6, v0
	s_and_b64 vcc, exec, s[2:3]
	v_addc_co_u32_e64 v1, s[4:5], v4, v1, s[4:5]
	s_cbranch_vccnz .LBB170_7
; %bb.15:                               ;   in Loop: Header=BB170_9 Depth=1
	global_load_dword v4, v[0:1], off
	s_waitcnt vmcnt(0)
	v_fmac_f32_e32 v3, s22, v4
	s_branch .LBB170_7
.LBB170_16:
	s_endpgm
	.section	.rodata,"a",@progbits
	.p2align	6, 0x0
	.amdhsa_kernel _ZN9rocsparseL21csrmvn_general_kernelILj256ELj64EiiaaffEEvbT2_NS_24const_host_device_scalarIT6_EEPKT1_S7_PKS1_PKT3_PKT4_S4_PT5_21rocsparse_index_base_b
		.amdhsa_group_segment_fixed_size 0
		.amdhsa_private_segment_fixed_size 0
		.amdhsa_kernarg_size 336
		.amdhsa_user_sgpr_count 6
		.amdhsa_user_sgpr_private_segment_buffer 1
		.amdhsa_user_sgpr_dispatch_ptr 0
		.amdhsa_user_sgpr_queue_ptr 0
		.amdhsa_user_sgpr_kernarg_segment_ptr 1
		.amdhsa_user_sgpr_dispatch_id 0
		.amdhsa_user_sgpr_flat_scratch_init 0
		.amdhsa_user_sgpr_kernarg_preload_length 0
		.amdhsa_user_sgpr_kernarg_preload_offset 0
		.amdhsa_user_sgpr_private_segment_size 0
		.amdhsa_uses_dynamic_stack 0
		.amdhsa_system_sgpr_private_segment_wavefront_offset 0
		.amdhsa_system_sgpr_workgroup_id_x 1
		.amdhsa_system_sgpr_workgroup_id_y 0
		.amdhsa_system_sgpr_workgroup_id_z 0
		.amdhsa_system_sgpr_workgroup_info 0
		.amdhsa_system_vgpr_workitem_id 0
		.amdhsa_next_free_vgpr 14
		.amdhsa_next_free_sgpr 27
		.amdhsa_accum_offset 16
		.amdhsa_reserve_vcc 1
		.amdhsa_reserve_flat_scratch 0
		.amdhsa_float_round_mode_32 0
		.amdhsa_float_round_mode_16_64 0
		.amdhsa_float_denorm_mode_32 3
		.amdhsa_float_denorm_mode_16_64 3
		.amdhsa_dx10_clamp 1
		.amdhsa_ieee_mode 1
		.amdhsa_fp16_overflow 0
		.amdhsa_tg_split 0
		.amdhsa_exception_fp_ieee_invalid_op 0
		.amdhsa_exception_fp_denorm_src 0
		.amdhsa_exception_fp_ieee_div_zero 0
		.amdhsa_exception_fp_ieee_overflow 0
		.amdhsa_exception_fp_ieee_underflow 0
		.amdhsa_exception_fp_ieee_inexact 0
		.amdhsa_exception_int_div_zero 0
	.end_amdhsa_kernel
	.section	.text._ZN9rocsparseL21csrmvn_general_kernelILj256ELj64EiiaaffEEvbT2_NS_24const_host_device_scalarIT6_EEPKT1_S7_PKS1_PKT3_PKT4_S4_PT5_21rocsparse_index_base_b,"axG",@progbits,_ZN9rocsparseL21csrmvn_general_kernelILj256ELj64EiiaaffEEvbT2_NS_24const_host_device_scalarIT6_EEPKT1_S7_PKS1_PKT3_PKT4_S4_PT5_21rocsparse_index_base_b,comdat
.Lfunc_end170:
	.size	_ZN9rocsparseL21csrmvn_general_kernelILj256ELj64EiiaaffEEvbT2_NS_24const_host_device_scalarIT6_EEPKT1_S7_PKS1_PKT3_PKT4_S4_PT5_21rocsparse_index_base_b, .Lfunc_end170-_ZN9rocsparseL21csrmvn_general_kernelILj256ELj64EiiaaffEEvbT2_NS_24const_host_device_scalarIT6_EEPKT1_S7_PKS1_PKT3_PKT4_S4_PT5_21rocsparse_index_base_b
                                        ; -- End function
	.section	.AMDGPU.csdata,"",@progbits
; Kernel info:
; codeLenInByte = 640
; NumSgprs: 31
; NumVgprs: 14
; NumAgprs: 0
; TotalNumVgprs: 14
; ScratchSize: 0
; MemoryBound: 0
; FloatMode: 240
; IeeeMode: 1
; LDSByteSize: 0 bytes/workgroup (compile time only)
; SGPRBlocks: 3
; VGPRBlocks: 1
; NumSGPRsForWavesPerEU: 31
; NumVGPRsForWavesPerEU: 14
; AccumOffset: 16
; Occupancy: 8
; WaveLimiterHint : 1
; COMPUTE_PGM_RSRC2:SCRATCH_EN: 0
; COMPUTE_PGM_RSRC2:USER_SGPR: 6
; COMPUTE_PGM_RSRC2:TRAP_HANDLER: 0
; COMPUTE_PGM_RSRC2:TGID_X_EN: 1
; COMPUTE_PGM_RSRC2:TGID_Y_EN: 0
; COMPUTE_PGM_RSRC2:TGID_Z_EN: 0
; COMPUTE_PGM_RSRC2:TIDIG_COMP_CNT: 0
; COMPUTE_PGM_RSRC3_GFX90A:ACCUM_OFFSET: 3
; COMPUTE_PGM_RSRC3_GFX90A:TG_SPLIT: 0
	.section	.text._ZN9rocsparseL21csrmvt_general_kernelILj256ELj4EiiaaffEEvbbT2_NS_24const_host_device_scalarIT6_EEPKT1_S7_PKS1_PKT3_PKT4_PT5_21rocsparse_index_base_b,"axG",@progbits,_ZN9rocsparseL21csrmvt_general_kernelILj256ELj4EiiaaffEEvbbT2_NS_24const_host_device_scalarIT6_EEPKT1_S7_PKS1_PKT3_PKT4_PT5_21rocsparse_index_base_b,comdat
	.globl	_ZN9rocsparseL21csrmvt_general_kernelILj256ELj4EiiaaffEEvbbT2_NS_24const_host_device_scalarIT6_EEPKT1_S7_PKS1_PKT3_PKT4_PT5_21rocsparse_index_base_b ; -- Begin function _ZN9rocsparseL21csrmvt_general_kernelILj256ELj4EiiaaffEEvbbT2_NS_24const_host_device_scalarIT6_EEPKT1_S7_PKS1_PKT3_PKT4_PT5_21rocsparse_index_base_b
	.p2align	8
	.type	_ZN9rocsparseL21csrmvt_general_kernelILj256ELj4EiiaaffEEvbbT2_NS_24const_host_device_scalarIT6_EEPKT1_S7_PKS1_PKT3_PKT4_PT5_21rocsparse_index_base_b,@function
_ZN9rocsparseL21csrmvt_general_kernelILj256ELj4EiiaaffEEvbbT2_NS_24const_host_device_scalarIT6_EEPKT1_S7_PKS1_PKT3_PKT4_PT5_21rocsparse_index_base_b: ; @_ZN9rocsparseL21csrmvt_general_kernelILj256ELj4EiiaaffEEvbbT2_NS_24const_host_device_scalarIT6_EEPKT1_S7_PKS1_PKT3_PKT4_PT5_21rocsparse_index_base_b
; %bb.0:
	s_load_dwordx2 s[2:3], s[4:5], 0x40
	s_load_dwordx4 s[16:19], s[4:5], 0x8
	s_waitcnt lgkmcnt(0)
	s_bitcmp1_b32 s3, 0
	s_cselect_b64 s[0:1], -1, 0
	s_and_b64 vcc, exec, s[0:1]
	s_cbranch_vccnz .LBB171_2
; %bb.1:
	s_load_dword s16, s[16:17], 0x0
.LBB171_2:
	s_waitcnt lgkmcnt(0)
	v_cmp_eq_f32_e64 s[0:1], s16, 0
	s_and_b64 vcc, exec, s[0:1]
	s_cbranch_vccnz .LBB171_23
; %bb.3:
	s_load_dwordx2 s[20:21], s[4:5], 0x0
	s_load_dword s0, s[4:5], 0x48
	s_load_dwordx2 s[22:23], s[4:5], 0x38
	s_load_dwordx8 s[8:15], s[4:5], 0x18
	v_and_b32_e32 v1, 3, v0
	v_lshl_or_b32 v0, s6, 8, v0
	s_waitcnt lgkmcnt(0)
	s_and_b32 s1, s20, 1
	s_lshl_b32 s3, s0, 6
	v_lshrrev_b32_e32 v0, 2, v0
	s_cmp_eq_u32 s1, 0
	v_cmp_gt_i32_e64 s[0:1], s21, v0
	s_mov_b64 s[4:5], -1
	s_cbranch_scc0 .LBB171_13
; %bb.4:
	s_and_saveexec_b64 s[4:5], s[0:1]
	s_cbranch_execz .LBB171_12
; %bb.5:
	v_subrev_u32_e32 v10, s2, v1
	s_mov_b64 s[6:7], 0
	v_mov_b32_e32 v11, s19
	v_mov_b32_e32 v12, s9
	;; [unrolled: 1-line block ×3, first 2 shown]
	s_branch .LBB171_7
.LBB171_6:                              ;   in Loop: Header=BB171_7 Depth=1
	s_or_b64 exec, exec, s[24:25]
	v_add_u32_e32 v2, s3, v2
	v_cmp_le_i32_e32 vcc, s21, v2
	s_or_b64 s[6:7], vcc, s[6:7]
	s_andn2_b64 exec, exec, s[6:7]
	s_cbranch_execz .LBB171_12
.LBB171_7:                              ; =>This Loop Header: Depth=1
                                        ;     Child Loop BB171_9 Depth 2
                                        ;       Child Loop BB171_10 Depth 3
	v_ashrrev_i32_e32 v3, 31, v2
	v_lshlrev_b64 v[4:5], 2, v[2:3]
	v_add_co_u32_e32 v6, vcc, s18, v4
	v_addc_co_u32_e32 v7, vcc, v11, v5, vcc
	v_add_co_u32_e32 v4, vcc, s8, v4
	v_addc_co_u32_e32 v5, vcc, v12, v5, vcc
	global_load_dword v8, v[4:5], off
	global_load_dword v9, v[6:7], off
	s_waitcnt vmcnt(1)
	v_subrev_u32_e32 v13, s2, v8
	s_waitcnt vmcnt(0)
	v_add_u32_e32 v4, v9, v10
	v_cmp_lt_i32_e32 vcc, v4, v13
	s_and_saveexec_b64 s[24:25], vcc
	s_cbranch_execz .LBB171_6
; %bb.8:                                ;   in Loop: Header=BB171_7 Depth=1
	v_mov_b32_e32 v5, s15
	v_add_co_u32_e32 v6, vcc, s14, v2
	v_addc_co_u32_e32 v7, vcc, v5, v3, vcc
	global_load_sbyte v3, v[6:7], off
	s_mov_b64 s[26:27], 0
	s_waitcnt vmcnt(0)
	v_cvt_f32_i32_e32 v3, v3
	v_mul_f32_e32 v3, s16, v3
.LBB171_9:                              ;   Parent Loop BB171_7 Depth=1
                                        ; =>  This Loop Header: Depth=2
                                        ;       Child Loop BB171_10 Depth 3
	v_ashrrev_i32_e32 v5, 31, v4
	v_lshlrev_b64 v[6:7], 2, v[4:5]
	v_mov_b32_e32 v8, s11
	v_add_co_u32_e32 v6, vcc, s10, v6
	v_addc_co_u32_e32 v7, vcc, v8, v7, vcc
	global_load_dword v8, v[6:7], off
	v_mov_b32_e32 v7, s13
	v_add_co_u32_e32 v6, vcc, s12, v4
	v_addc_co_u32_e32 v7, vcc, v7, v5, vcc
	global_load_sbyte v5, v[6:7], off
	v_mov_b32_e32 v9, s23
	s_mov_b64 s[28:29], 0
	s_waitcnt vmcnt(1)
	v_subrev_u32_e32 v6, s2, v8
	v_ashrrev_i32_e32 v7, 31, v6
	v_lshlrev_b64 v[6:7], 2, v[6:7]
	v_add_co_u32_e32 v6, vcc, s22, v6
	v_addc_co_u32_e32 v7, vcc, v9, v7, vcc
	global_load_dword v9, v[6:7], off
	s_waitcnt vmcnt(1)
	v_cvt_f32_i32_e32 v5, v5
	v_mul_f32_e32 v5, v3, v5
.LBB171_10:                             ;   Parent Loop BB171_7 Depth=1
                                        ;     Parent Loop BB171_9 Depth=2
                                        ; =>    This Inner Loop Header: Depth=3
	s_waitcnt vmcnt(0)
	v_add_f32_e32 v8, v9, v5
	global_atomic_cmpswap v8, v[6:7], v[8:9], off glc
	s_waitcnt vmcnt(0)
	v_cmp_eq_u32_e32 vcc, v8, v9
	s_or_b64 s[28:29], vcc, s[28:29]
	v_mov_b32_e32 v9, v8
	s_andn2_b64 exec, exec, s[28:29]
	s_cbranch_execnz .LBB171_10
; %bb.11:                               ;   in Loop: Header=BB171_9 Depth=2
	s_or_b64 exec, exec, s[28:29]
	v_add_u32_e32 v4, 4, v4
	v_cmp_ge_i32_e32 vcc, v4, v13
	s_or_b64 s[26:27], vcc, s[26:27]
	s_andn2_b64 exec, exec, s[26:27]
	s_cbranch_execnz .LBB171_9
	s_branch .LBB171_6
.LBB171_12:
	s_or_b64 exec, exec, s[4:5]
	s_mov_b64 s[4:5], 0
.LBB171_13:
	s_andn2_b64 vcc, exec, s[4:5]
	s_cbranch_vccnz .LBB171_23
; %bb.14:
	s_and_saveexec_b64 s[4:5], s[0:1]
	s_cbranch_execz .LBB171_23
; %bb.15:
	v_subrev_u32_e32 v8, s2, v1
	s_mov_b64 s[0:1], 0
	v_mov_b32_e32 v9, s19
	v_mov_b32_e32 v10, s9
	s_branch .LBB171_17
.LBB171_16:                             ;   in Loop: Header=BB171_17 Depth=1
	s_or_b64 exec, exec, s[4:5]
	v_add_u32_e32 v0, s3, v0
	v_cmp_le_i32_e32 vcc, s21, v0
	s_or_b64 s[0:1], vcc, s[0:1]
	s_andn2_b64 exec, exec, s[0:1]
	s_cbranch_execz .LBB171_23
.LBB171_17:                             ; =>This Loop Header: Depth=1
                                        ;     Child Loop BB171_20 Depth 2
                                        ;       Child Loop BB171_22 Depth 3
	v_ashrrev_i32_e32 v1, 31, v0
	v_lshlrev_b64 v[2:3], 2, v[0:1]
	v_add_co_u32_e32 v4, vcc, s18, v2
	v_addc_co_u32_e32 v5, vcc, v9, v3, vcc
	v_add_co_u32_e32 v2, vcc, s8, v2
	v_addc_co_u32_e32 v3, vcc, v10, v3, vcc
	global_load_dword v6, v[2:3], off
	global_load_dword v7, v[4:5], off
	s_waitcnt vmcnt(1)
	v_subrev_u32_e32 v11, s2, v6
	s_waitcnt vmcnt(0)
	v_add_u32_e32 v2, v7, v8
	v_cmp_lt_i32_e32 vcc, v2, v11
	s_and_saveexec_b64 s[4:5], vcc
	s_cbranch_execz .LBB171_16
; %bb.18:                               ;   in Loop: Header=BB171_17 Depth=1
	v_mov_b32_e32 v3, s15
	v_add_co_u32_e32 v4, vcc, s14, v0
	v_addc_co_u32_e32 v5, vcc, v3, v1, vcc
	global_load_sbyte v1, v[4:5], off
	s_mov_b64 s[6:7], 0
	s_waitcnt vmcnt(0)
	v_cvt_f32_i32_e32 v1, v1
	v_mul_f32_e32 v1, s16, v1
	s_branch .LBB171_20
.LBB171_19:                             ;   in Loop: Header=BB171_20 Depth=2
	s_or_b64 exec, exec, s[24:25]
	v_add_u32_e32 v2, 4, v2
	v_cmp_ge_i32_e32 vcc, v2, v11
	s_or_b64 s[6:7], vcc, s[6:7]
	s_andn2_b64 exec, exec, s[6:7]
	s_cbranch_execz .LBB171_16
.LBB171_20:                             ;   Parent Loop BB171_17 Depth=1
                                        ; =>  This Loop Header: Depth=2
                                        ;       Child Loop BB171_22 Depth 3
	v_ashrrev_i32_e32 v3, 31, v2
	v_lshlrev_b64 v[4:5], 2, v[2:3]
	v_mov_b32_e32 v6, s11
	v_add_co_u32_e32 v4, vcc, s10, v4
	v_addc_co_u32_e32 v5, vcc, v6, v5, vcc
	global_load_dword v4, v[4:5], off
	s_waitcnt vmcnt(0)
	v_subrev_u32_e32 v4, s2, v4
	v_cmp_ne_u32_e32 vcc, v4, v0
	s_and_saveexec_b64 s[24:25], vcc
	s_cbranch_execz .LBB171_19
; %bb.21:                               ;   in Loop: Header=BB171_20 Depth=2
	v_mov_b32_e32 v5, s13
	v_add_co_u32_e32 v6, vcc, s12, v2
	v_addc_co_u32_e32 v7, vcc, v5, v3, vcc
	global_load_sbyte v3, v[6:7], off
	v_ashrrev_i32_e32 v5, 31, v4
	v_lshlrev_b64 v[4:5], 2, v[4:5]
	v_mov_b32_e32 v6, s23
	v_add_co_u32_e32 v4, vcc, s22, v4
	v_addc_co_u32_e32 v5, vcc, v6, v5, vcc
	global_load_dword v7, v[4:5], off
	s_mov_b64 s[26:27], 0
	s_waitcnt vmcnt(1)
	v_cvt_f32_i32_e32 v3, v3
	v_mul_f32_e32 v3, v1, v3
.LBB171_22:                             ;   Parent Loop BB171_17 Depth=1
                                        ;     Parent Loop BB171_20 Depth=2
                                        ; =>    This Inner Loop Header: Depth=3
	s_waitcnt vmcnt(0)
	v_add_f32_e32 v6, v7, v3
	global_atomic_cmpswap v6, v[4:5], v[6:7], off glc
	s_waitcnt vmcnt(0)
	v_cmp_eq_u32_e32 vcc, v6, v7
	s_or_b64 s[26:27], vcc, s[26:27]
	v_mov_b32_e32 v7, v6
	s_andn2_b64 exec, exec, s[26:27]
	s_cbranch_execnz .LBB171_22
	s_branch .LBB171_19
.LBB171_23:
	s_endpgm
	.section	.rodata,"a",@progbits
	.p2align	6, 0x0
	.amdhsa_kernel _ZN9rocsparseL21csrmvt_general_kernelILj256ELj4EiiaaffEEvbbT2_NS_24const_host_device_scalarIT6_EEPKT1_S7_PKS1_PKT3_PKT4_PT5_21rocsparse_index_base_b
		.amdhsa_group_segment_fixed_size 0
		.amdhsa_private_segment_fixed_size 0
		.amdhsa_kernarg_size 328
		.amdhsa_user_sgpr_count 6
		.amdhsa_user_sgpr_private_segment_buffer 1
		.amdhsa_user_sgpr_dispatch_ptr 0
		.amdhsa_user_sgpr_queue_ptr 0
		.amdhsa_user_sgpr_kernarg_segment_ptr 1
		.amdhsa_user_sgpr_dispatch_id 0
		.amdhsa_user_sgpr_flat_scratch_init 0
		.amdhsa_user_sgpr_kernarg_preload_length 0
		.amdhsa_user_sgpr_kernarg_preload_offset 0
		.amdhsa_user_sgpr_private_segment_size 0
		.amdhsa_uses_dynamic_stack 0
		.amdhsa_system_sgpr_private_segment_wavefront_offset 0
		.amdhsa_system_sgpr_workgroup_id_x 1
		.amdhsa_system_sgpr_workgroup_id_y 0
		.amdhsa_system_sgpr_workgroup_id_z 0
		.amdhsa_system_sgpr_workgroup_info 0
		.amdhsa_system_vgpr_workitem_id 0
		.amdhsa_next_free_vgpr 14
		.amdhsa_next_free_sgpr 30
		.amdhsa_accum_offset 16
		.amdhsa_reserve_vcc 1
		.amdhsa_reserve_flat_scratch 0
		.amdhsa_float_round_mode_32 0
		.amdhsa_float_round_mode_16_64 0
		.amdhsa_float_denorm_mode_32 3
		.amdhsa_float_denorm_mode_16_64 3
		.amdhsa_dx10_clamp 1
		.amdhsa_ieee_mode 1
		.amdhsa_fp16_overflow 0
		.amdhsa_tg_split 0
		.amdhsa_exception_fp_ieee_invalid_op 0
		.amdhsa_exception_fp_denorm_src 0
		.amdhsa_exception_fp_ieee_div_zero 0
		.amdhsa_exception_fp_ieee_overflow 0
		.amdhsa_exception_fp_ieee_underflow 0
		.amdhsa_exception_fp_ieee_inexact 0
		.amdhsa_exception_int_div_zero 0
	.end_amdhsa_kernel
	.section	.text._ZN9rocsparseL21csrmvt_general_kernelILj256ELj4EiiaaffEEvbbT2_NS_24const_host_device_scalarIT6_EEPKT1_S7_PKS1_PKT3_PKT4_PT5_21rocsparse_index_base_b,"axG",@progbits,_ZN9rocsparseL21csrmvt_general_kernelILj256ELj4EiiaaffEEvbbT2_NS_24const_host_device_scalarIT6_EEPKT1_S7_PKS1_PKT3_PKT4_PT5_21rocsparse_index_base_b,comdat
.Lfunc_end171:
	.size	_ZN9rocsparseL21csrmvt_general_kernelILj256ELj4EiiaaffEEvbbT2_NS_24const_host_device_scalarIT6_EEPKT1_S7_PKS1_PKT3_PKT4_PT5_21rocsparse_index_base_b, .Lfunc_end171-_ZN9rocsparseL21csrmvt_general_kernelILj256ELj4EiiaaffEEvbbT2_NS_24const_host_device_scalarIT6_EEPKT1_S7_PKS1_PKT3_PKT4_PT5_21rocsparse_index_base_b
                                        ; -- End function
	.section	.AMDGPU.csdata,"",@progbits
; Kernel info:
; codeLenInByte = 856
; NumSgprs: 34
; NumVgprs: 14
; NumAgprs: 0
; TotalNumVgprs: 14
; ScratchSize: 0
; MemoryBound: 0
; FloatMode: 240
; IeeeMode: 1
; LDSByteSize: 0 bytes/workgroup (compile time only)
; SGPRBlocks: 4
; VGPRBlocks: 1
; NumSGPRsForWavesPerEU: 34
; NumVGPRsForWavesPerEU: 14
; AccumOffset: 16
; Occupancy: 8
; WaveLimiterHint : 1
; COMPUTE_PGM_RSRC2:SCRATCH_EN: 0
; COMPUTE_PGM_RSRC2:USER_SGPR: 6
; COMPUTE_PGM_RSRC2:TRAP_HANDLER: 0
; COMPUTE_PGM_RSRC2:TGID_X_EN: 1
; COMPUTE_PGM_RSRC2:TGID_Y_EN: 0
; COMPUTE_PGM_RSRC2:TGID_Z_EN: 0
; COMPUTE_PGM_RSRC2:TIDIG_COMP_CNT: 0
; COMPUTE_PGM_RSRC3_GFX90A:ACCUM_OFFSET: 3
; COMPUTE_PGM_RSRC3_GFX90A:TG_SPLIT: 0
	.section	.text._ZN9rocsparseL21csrmvt_general_kernelILj256ELj8EiiaaffEEvbbT2_NS_24const_host_device_scalarIT6_EEPKT1_S7_PKS1_PKT3_PKT4_PT5_21rocsparse_index_base_b,"axG",@progbits,_ZN9rocsparseL21csrmvt_general_kernelILj256ELj8EiiaaffEEvbbT2_NS_24const_host_device_scalarIT6_EEPKT1_S7_PKS1_PKT3_PKT4_PT5_21rocsparse_index_base_b,comdat
	.globl	_ZN9rocsparseL21csrmvt_general_kernelILj256ELj8EiiaaffEEvbbT2_NS_24const_host_device_scalarIT6_EEPKT1_S7_PKS1_PKT3_PKT4_PT5_21rocsparse_index_base_b ; -- Begin function _ZN9rocsparseL21csrmvt_general_kernelILj256ELj8EiiaaffEEvbbT2_NS_24const_host_device_scalarIT6_EEPKT1_S7_PKS1_PKT3_PKT4_PT5_21rocsparse_index_base_b
	.p2align	8
	.type	_ZN9rocsparseL21csrmvt_general_kernelILj256ELj8EiiaaffEEvbbT2_NS_24const_host_device_scalarIT6_EEPKT1_S7_PKS1_PKT3_PKT4_PT5_21rocsparse_index_base_b,@function
_ZN9rocsparseL21csrmvt_general_kernelILj256ELj8EiiaaffEEvbbT2_NS_24const_host_device_scalarIT6_EEPKT1_S7_PKS1_PKT3_PKT4_PT5_21rocsparse_index_base_b: ; @_ZN9rocsparseL21csrmvt_general_kernelILj256ELj8EiiaaffEEvbbT2_NS_24const_host_device_scalarIT6_EEPKT1_S7_PKS1_PKT3_PKT4_PT5_21rocsparse_index_base_b
; %bb.0:
	s_load_dwordx2 s[2:3], s[4:5], 0x40
	s_load_dwordx4 s[16:19], s[4:5], 0x8
	s_waitcnt lgkmcnt(0)
	s_bitcmp1_b32 s3, 0
	s_cselect_b64 s[0:1], -1, 0
	s_and_b64 vcc, exec, s[0:1]
	s_cbranch_vccnz .LBB172_2
; %bb.1:
	s_load_dword s16, s[16:17], 0x0
.LBB172_2:
	s_waitcnt lgkmcnt(0)
	v_cmp_eq_f32_e64 s[0:1], s16, 0
	s_and_b64 vcc, exec, s[0:1]
	s_cbranch_vccnz .LBB172_23
; %bb.3:
	s_load_dwordx2 s[20:21], s[4:5], 0x0
	s_load_dword s0, s[4:5], 0x48
	s_load_dwordx2 s[22:23], s[4:5], 0x38
	s_load_dwordx8 s[8:15], s[4:5], 0x18
	v_and_b32_e32 v1, 7, v0
	v_lshl_or_b32 v0, s6, 8, v0
	s_waitcnt lgkmcnt(0)
	s_and_b32 s1, s20, 1
	s_lshl_b32 s3, s0, 5
	v_lshrrev_b32_e32 v0, 3, v0
	s_cmp_eq_u32 s1, 0
	v_cmp_gt_i32_e64 s[0:1], s21, v0
	s_mov_b64 s[4:5], -1
	s_cbranch_scc0 .LBB172_13
; %bb.4:
	s_and_saveexec_b64 s[4:5], s[0:1]
	s_cbranch_execz .LBB172_12
; %bb.5:
	v_subrev_u32_e32 v10, s2, v1
	s_mov_b64 s[6:7], 0
	v_mov_b32_e32 v11, s19
	v_mov_b32_e32 v12, s9
	;; [unrolled: 1-line block ×3, first 2 shown]
	s_branch .LBB172_7
.LBB172_6:                              ;   in Loop: Header=BB172_7 Depth=1
	s_or_b64 exec, exec, s[24:25]
	v_add_u32_e32 v2, s3, v2
	v_cmp_le_i32_e32 vcc, s21, v2
	s_or_b64 s[6:7], vcc, s[6:7]
	s_andn2_b64 exec, exec, s[6:7]
	s_cbranch_execz .LBB172_12
.LBB172_7:                              ; =>This Loop Header: Depth=1
                                        ;     Child Loop BB172_9 Depth 2
                                        ;       Child Loop BB172_10 Depth 3
	v_ashrrev_i32_e32 v3, 31, v2
	v_lshlrev_b64 v[4:5], 2, v[2:3]
	v_add_co_u32_e32 v6, vcc, s18, v4
	v_addc_co_u32_e32 v7, vcc, v11, v5, vcc
	v_add_co_u32_e32 v4, vcc, s8, v4
	v_addc_co_u32_e32 v5, vcc, v12, v5, vcc
	global_load_dword v8, v[4:5], off
	global_load_dword v9, v[6:7], off
	s_waitcnt vmcnt(1)
	v_subrev_u32_e32 v13, s2, v8
	s_waitcnt vmcnt(0)
	v_add_u32_e32 v4, v9, v10
	v_cmp_lt_i32_e32 vcc, v4, v13
	s_and_saveexec_b64 s[24:25], vcc
	s_cbranch_execz .LBB172_6
; %bb.8:                                ;   in Loop: Header=BB172_7 Depth=1
	v_mov_b32_e32 v5, s15
	v_add_co_u32_e32 v6, vcc, s14, v2
	v_addc_co_u32_e32 v7, vcc, v5, v3, vcc
	global_load_sbyte v3, v[6:7], off
	s_mov_b64 s[26:27], 0
	s_waitcnt vmcnt(0)
	v_cvt_f32_i32_e32 v3, v3
	v_mul_f32_e32 v3, s16, v3
.LBB172_9:                              ;   Parent Loop BB172_7 Depth=1
                                        ; =>  This Loop Header: Depth=2
                                        ;       Child Loop BB172_10 Depth 3
	v_ashrrev_i32_e32 v5, 31, v4
	v_lshlrev_b64 v[6:7], 2, v[4:5]
	v_mov_b32_e32 v8, s11
	v_add_co_u32_e32 v6, vcc, s10, v6
	v_addc_co_u32_e32 v7, vcc, v8, v7, vcc
	global_load_dword v8, v[6:7], off
	v_mov_b32_e32 v7, s13
	v_add_co_u32_e32 v6, vcc, s12, v4
	v_addc_co_u32_e32 v7, vcc, v7, v5, vcc
	global_load_sbyte v5, v[6:7], off
	v_mov_b32_e32 v9, s23
	s_mov_b64 s[28:29], 0
	s_waitcnt vmcnt(1)
	v_subrev_u32_e32 v6, s2, v8
	v_ashrrev_i32_e32 v7, 31, v6
	v_lshlrev_b64 v[6:7], 2, v[6:7]
	v_add_co_u32_e32 v6, vcc, s22, v6
	v_addc_co_u32_e32 v7, vcc, v9, v7, vcc
	global_load_dword v9, v[6:7], off
	s_waitcnt vmcnt(1)
	v_cvt_f32_i32_e32 v5, v5
	v_mul_f32_e32 v5, v3, v5
.LBB172_10:                             ;   Parent Loop BB172_7 Depth=1
                                        ;     Parent Loop BB172_9 Depth=2
                                        ; =>    This Inner Loop Header: Depth=3
	s_waitcnt vmcnt(0)
	v_add_f32_e32 v8, v9, v5
	global_atomic_cmpswap v8, v[6:7], v[8:9], off glc
	s_waitcnt vmcnt(0)
	v_cmp_eq_u32_e32 vcc, v8, v9
	s_or_b64 s[28:29], vcc, s[28:29]
	v_mov_b32_e32 v9, v8
	s_andn2_b64 exec, exec, s[28:29]
	s_cbranch_execnz .LBB172_10
; %bb.11:                               ;   in Loop: Header=BB172_9 Depth=2
	s_or_b64 exec, exec, s[28:29]
	v_add_u32_e32 v4, 8, v4
	v_cmp_ge_i32_e32 vcc, v4, v13
	s_or_b64 s[26:27], vcc, s[26:27]
	s_andn2_b64 exec, exec, s[26:27]
	s_cbranch_execnz .LBB172_9
	s_branch .LBB172_6
.LBB172_12:
	s_or_b64 exec, exec, s[4:5]
	s_mov_b64 s[4:5], 0
.LBB172_13:
	s_andn2_b64 vcc, exec, s[4:5]
	s_cbranch_vccnz .LBB172_23
; %bb.14:
	s_and_saveexec_b64 s[4:5], s[0:1]
	s_cbranch_execz .LBB172_23
; %bb.15:
	v_subrev_u32_e32 v8, s2, v1
	s_mov_b64 s[0:1], 0
	v_mov_b32_e32 v9, s19
	v_mov_b32_e32 v10, s9
	s_branch .LBB172_17
.LBB172_16:                             ;   in Loop: Header=BB172_17 Depth=1
	s_or_b64 exec, exec, s[4:5]
	v_add_u32_e32 v0, s3, v0
	v_cmp_le_i32_e32 vcc, s21, v0
	s_or_b64 s[0:1], vcc, s[0:1]
	s_andn2_b64 exec, exec, s[0:1]
	s_cbranch_execz .LBB172_23
.LBB172_17:                             ; =>This Loop Header: Depth=1
                                        ;     Child Loop BB172_20 Depth 2
                                        ;       Child Loop BB172_22 Depth 3
	v_ashrrev_i32_e32 v1, 31, v0
	v_lshlrev_b64 v[2:3], 2, v[0:1]
	v_add_co_u32_e32 v4, vcc, s18, v2
	v_addc_co_u32_e32 v5, vcc, v9, v3, vcc
	v_add_co_u32_e32 v2, vcc, s8, v2
	v_addc_co_u32_e32 v3, vcc, v10, v3, vcc
	global_load_dword v6, v[2:3], off
	global_load_dword v7, v[4:5], off
	s_waitcnt vmcnt(1)
	v_subrev_u32_e32 v11, s2, v6
	s_waitcnt vmcnt(0)
	v_add_u32_e32 v2, v7, v8
	v_cmp_lt_i32_e32 vcc, v2, v11
	s_and_saveexec_b64 s[4:5], vcc
	s_cbranch_execz .LBB172_16
; %bb.18:                               ;   in Loop: Header=BB172_17 Depth=1
	v_mov_b32_e32 v3, s15
	v_add_co_u32_e32 v4, vcc, s14, v0
	v_addc_co_u32_e32 v5, vcc, v3, v1, vcc
	global_load_sbyte v1, v[4:5], off
	s_mov_b64 s[6:7], 0
	s_waitcnt vmcnt(0)
	v_cvt_f32_i32_e32 v1, v1
	v_mul_f32_e32 v1, s16, v1
	s_branch .LBB172_20
.LBB172_19:                             ;   in Loop: Header=BB172_20 Depth=2
	s_or_b64 exec, exec, s[24:25]
	v_add_u32_e32 v2, 8, v2
	v_cmp_ge_i32_e32 vcc, v2, v11
	s_or_b64 s[6:7], vcc, s[6:7]
	s_andn2_b64 exec, exec, s[6:7]
	s_cbranch_execz .LBB172_16
.LBB172_20:                             ;   Parent Loop BB172_17 Depth=1
                                        ; =>  This Loop Header: Depth=2
                                        ;       Child Loop BB172_22 Depth 3
	v_ashrrev_i32_e32 v3, 31, v2
	v_lshlrev_b64 v[4:5], 2, v[2:3]
	v_mov_b32_e32 v6, s11
	v_add_co_u32_e32 v4, vcc, s10, v4
	v_addc_co_u32_e32 v5, vcc, v6, v5, vcc
	global_load_dword v4, v[4:5], off
	s_waitcnt vmcnt(0)
	v_subrev_u32_e32 v4, s2, v4
	v_cmp_ne_u32_e32 vcc, v4, v0
	s_and_saveexec_b64 s[24:25], vcc
	s_cbranch_execz .LBB172_19
; %bb.21:                               ;   in Loop: Header=BB172_20 Depth=2
	v_mov_b32_e32 v5, s13
	v_add_co_u32_e32 v6, vcc, s12, v2
	v_addc_co_u32_e32 v7, vcc, v5, v3, vcc
	global_load_sbyte v3, v[6:7], off
	v_ashrrev_i32_e32 v5, 31, v4
	v_lshlrev_b64 v[4:5], 2, v[4:5]
	v_mov_b32_e32 v6, s23
	v_add_co_u32_e32 v4, vcc, s22, v4
	v_addc_co_u32_e32 v5, vcc, v6, v5, vcc
	global_load_dword v7, v[4:5], off
	s_mov_b64 s[26:27], 0
	s_waitcnt vmcnt(1)
	v_cvt_f32_i32_e32 v3, v3
	v_mul_f32_e32 v3, v1, v3
.LBB172_22:                             ;   Parent Loop BB172_17 Depth=1
                                        ;     Parent Loop BB172_20 Depth=2
                                        ; =>    This Inner Loop Header: Depth=3
	s_waitcnt vmcnt(0)
	v_add_f32_e32 v6, v7, v3
	global_atomic_cmpswap v6, v[4:5], v[6:7], off glc
	s_waitcnt vmcnt(0)
	v_cmp_eq_u32_e32 vcc, v6, v7
	s_or_b64 s[26:27], vcc, s[26:27]
	v_mov_b32_e32 v7, v6
	s_andn2_b64 exec, exec, s[26:27]
	s_cbranch_execnz .LBB172_22
	s_branch .LBB172_19
.LBB172_23:
	s_endpgm
	.section	.rodata,"a",@progbits
	.p2align	6, 0x0
	.amdhsa_kernel _ZN9rocsparseL21csrmvt_general_kernelILj256ELj8EiiaaffEEvbbT2_NS_24const_host_device_scalarIT6_EEPKT1_S7_PKS1_PKT3_PKT4_PT5_21rocsparse_index_base_b
		.amdhsa_group_segment_fixed_size 0
		.amdhsa_private_segment_fixed_size 0
		.amdhsa_kernarg_size 328
		.amdhsa_user_sgpr_count 6
		.amdhsa_user_sgpr_private_segment_buffer 1
		.amdhsa_user_sgpr_dispatch_ptr 0
		.amdhsa_user_sgpr_queue_ptr 0
		.amdhsa_user_sgpr_kernarg_segment_ptr 1
		.amdhsa_user_sgpr_dispatch_id 0
		.amdhsa_user_sgpr_flat_scratch_init 0
		.amdhsa_user_sgpr_kernarg_preload_length 0
		.amdhsa_user_sgpr_kernarg_preload_offset 0
		.amdhsa_user_sgpr_private_segment_size 0
		.amdhsa_uses_dynamic_stack 0
		.amdhsa_system_sgpr_private_segment_wavefront_offset 0
		.amdhsa_system_sgpr_workgroup_id_x 1
		.amdhsa_system_sgpr_workgroup_id_y 0
		.amdhsa_system_sgpr_workgroup_id_z 0
		.amdhsa_system_sgpr_workgroup_info 0
		.amdhsa_system_vgpr_workitem_id 0
		.amdhsa_next_free_vgpr 14
		.amdhsa_next_free_sgpr 30
		.amdhsa_accum_offset 16
		.amdhsa_reserve_vcc 1
		.amdhsa_reserve_flat_scratch 0
		.amdhsa_float_round_mode_32 0
		.amdhsa_float_round_mode_16_64 0
		.amdhsa_float_denorm_mode_32 3
		.amdhsa_float_denorm_mode_16_64 3
		.amdhsa_dx10_clamp 1
		.amdhsa_ieee_mode 1
		.amdhsa_fp16_overflow 0
		.amdhsa_tg_split 0
		.amdhsa_exception_fp_ieee_invalid_op 0
		.amdhsa_exception_fp_denorm_src 0
		.amdhsa_exception_fp_ieee_div_zero 0
		.amdhsa_exception_fp_ieee_overflow 0
		.amdhsa_exception_fp_ieee_underflow 0
		.amdhsa_exception_fp_ieee_inexact 0
		.amdhsa_exception_int_div_zero 0
	.end_amdhsa_kernel
	.section	.text._ZN9rocsparseL21csrmvt_general_kernelILj256ELj8EiiaaffEEvbbT2_NS_24const_host_device_scalarIT6_EEPKT1_S7_PKS1_PKT3_PKT4_PT5_21rocsparse_index_base_b,"axG",@progbits,_ZN9rocsparseL21csrmvt_general_kernelILj256ELj8EiiaaffEEvbbT2_NS_24const_host_device_scalarIT6_EEPKT1_S7_PKS1_PKT3_PKT4_PT5_21rocsparse_index_base_b,comdat
.Lfunc_end172:
	.size	_ZN9rocsparseL21csrmvt_general_kernelILj256ELj8EiiaaffEEvbbT2_NS_24const_host_device_scalarIT6_EEPKT1_S7_PKS1_PKT3_PKT4_PT5_21rocsparse_index_base_b, .Lfunc_end172-_ZN9rocsparseL21csrmvt_general_kernelILj256ELj8EiiaaffEEvbbT2_NS_24const_host_device_scalarIT6_EEPKT1_S7_PKS1_PKT3_PKT4_PT5_21rocsparse_index_base_b
                                        ; -- End function
	.section	.AMDGPU.csdata,"",@progbits
; Kernel info:
; codeLenInByte = 856
; NumSgprs: 34
; NumVgprs: 14
; NumAgprs: 0
; TotalNumVgprs: 14
; ScratchSize: 0
; MemoryBound: 0
; FloatMode: 240
; IeeeMode: 1
; LDSByteSize: 0 bytes/workgroup (compile time only)
; SGPRBlocks: 4
; VGPRBlocks: 1
; NumSGPRsForWavesPerEU: 34
; NumVGPRsForWavesPerEU: 14
; AccumOffset: 16
; Occupancy: 8
; WaveLimiterHint : 1
; COMPUTE_PGM_RSRC2:SCRATCH_EN: 0
; COMPUTE_PGM_RSRC2:USER_SGPR: 6
; COMPUTE_PGM_RSRC2:TRAP_HANDLER: 0
; COMPUTE_PGM_RSRC2:TGID_X_EN: 1
; COMPUTE_PGM_RSRC2:TGID_Y_EN: 0
; COMPUTE_PGM_RSRC2:TGID_Z_EN: 0
; COMPUTE_PGM_RSRC2:TIDIG_COMP_CNT: 0
; COMPUTE_PGM_RSRC3_GFX90A:ACCUM_OFFSET: 3
; COMPUTE_PGM_RSRC3_GFX90A:TG_SPLIT: 0
	.section	.text._ZN9rocsparseL21csrmvt_general_kernelILj256ELj16EiiaaffEEvbbT2_NS_24const_host_device_scalarIT6_EEPKT1_S7_PKS1_PKT3_PKT4_PT5_21rocsparse_index_base_b,"axG",@progbits,_ZN9rocsparseL21csrmvt_general_kernelILj256ELj16EiiaaffEEvbbT2_NS_24const_host_device_scalarIT6_EEPKT1_S7_PKS1_PKT3_PKT4_PT5_21rocsparse_index_base_b,comdat
	.globl	_ZN9rocsparseL21csrmvt_general_kernelILj256ELj16EiiaaffEEvbbT2_NS_24const_host_device_scalarIT6_EEPKT1_S7_PKS1_PKT3_PKT4_PT5_21rocsparse_index_base_b ; -- Begin function _ZN9rocsparseL21csrmvt_general_kernelILj256ELj16EiiaaffEEvbbT2_NS_24const_host_device_scalarIT6_EEPKT1_S7_PKS1_PKT3_PKT4_PT5_21rocsparse_index_base_b
	.p2align	8
	.type	_ZN9rocsparseL21csrmvt_general_kernelILj256ELj16EiiaaffEEvbbT2_NS_24const_host_device_scalarIT6_EEPKT1_S7_PKS1_PKT3_PKT4_PT5_21rocsparse_index_base_b,@function
_ZN9rocsparseL21csrmvt_general_kernelILj256ELj16EiiaaffEEvbbT2_NS_24const_host_device_scalarIT6_EEPKT1_S7_PKS1_PKT3_PKT4_PT5_21rocsparse_index_base_b: ; @_ZN9rocsparseL21csrmvt_general_kernelILj256ELj16EiiaaffEEvbbT2_NS_24const_host_device_scalarIT6_EEPKT1_S7_PKS1_PKT3_PKT4_PT5_21rocsparse_index_base_b
; %bb.0:
	s_load_dwordx2 s[2:3], s[4:5], 0x40
	s_load_dwordx4 s[16:19], s[4:5], 0x8
	s_waitcnt lgkmcnt(0)
	s_bitcmp1_b32 s3, 0
	s_cselect_b64 s[0:1], -1, 0
	s_and_b64 vcc, exec, s[0:1]
	s_cbranch_vccnz .LBB173_2
; %bb.1:
	s_load_dword s16, s[16:17], 0x0
.LBB173_2:
	s_waitcnt lgkmcnt(0)
	v_cmp_eq_f32_e64 s[0:1], s16, 0
	s_and_b64 vcc, exec, s[0:1]
	s_cbranch_vccnz .LBB173_23
; %bb.3:
	s_load_dwordx2 s[20:21], s[4:5], 0x0
	s_load_dword s0, s[4:5], 0x48
	s_load_dwordx2 s[22:23], s[4:5], 0x38
	s_load_dwordx8 s[8:15], s[4:5], 0x18
	v_and_b32_e32 v1, 15, v0
	v_lshl_or_b32 v0, s6, 8, v0
	s_waitcnt lgkmcnt(0)
	s_and_b32 s1, s20, 1
	s_lshl_b32 s3, s0, 4
	v_lshrrev_b32_e32 v0, 4, v0
	s_cmp_eq_u32 s1, 0
	v_cmp_gt_i32_e64 s[0:1], s21, v0
	s_mov_b64 s[4:5], -1
	s_cbranch_scc0 .LBB173_13
; %bb.4:
	s_and_saveexec_b64 s[4:5], s[0:1]
	s_cbranch_execz .LBB173_12
; %bb.5:
	v_subrev_u32_e32 v10, s2, v1
	s_mov_b64 s[6:7], 0
	v_mov_b32_e32 v11, s19
	v_mov_b32_e32 v12, s9
	;; [unrolled: 1-line block ×3, first 2 shown]
	s_branch .LBB173_7
.LBB173_6:                              ;   in Loop: Header=BB173_7 Depth=1
	s_or_b64 exec, exec, s[24:25]
	v_add_u32_e32 v2, s3, v2
	v_cmp_le_i32_e32 vcc, s21, v2
	s_or_b64 s[6:7], vcc, s[6:7]
	s_andn2_b64 exec, exec, s[6:7]
	s_cbranch_execz .LBB173_12
.LBB173_7:                              ; =>This Loop Header: Depth=1
                                        ;     Child Loop BB173_9 Depth 2
                                        ;       Child Loop BB173_10 Depth 3
	v_ashrrev_i32_e32 v3, 31, v2
	v_lshlrev_b64 v[4:5], 2, v[2:3]
	v_add_co_u32_e32 v6, vcc, s18, v4
	v_addc_co_u32_e32 v7, vcc, v11, v5, vcc
	v_add_co_u32_e32 v4, vcc, s8, v4
	v_addc_co_u32_e32 v5, vcc, v12, v5, vcc
	global_load_dword v8, v[4:5], off
	global_load_dword v9, v[6:7], off
	s_waitcnt vmcnt(1)
	v_subrev_u32_e32 v13, s2, v8
	s_waitcnt vmcnt(0)
	v_add_u32_e32 v4, v9, v10
	v_cmp_lt_i32_e32 vcc, v4, v13
	s_and_saveexec_b64 s[24:25], vcc
	s_cbranch_execz .LBB173_6
; %bb.8:                                ;   in Loop: Header=BB173_7 Depth=1
	v_mov_b32_e32 v5, s15
	v_add_co_u32_e32 v6, vcc, s14, v2
	v_addc_co_u32_e32 v7, vcc, v5, v3, vcc
	global_load_sbyte v3, v[6:7], off
	s_mov_b64 s[26:27], 0
	s_waitcnt vmcnt(0)
	v_cvt_f32_i32_e32 v3, v3
	v_mul_f32_e32 v3, s16, v3
.LBB173_9:                              ;   Parent Loop BB173_7 Depth=1
                                        ; =>  This Loop Header: Depth=2
                                        ;       Child Loop BB173_10 Depth 3
	v_ashrrev_i32_e32 v5, 31, v4
	v_lshlrev_b64 v[6:7], 2, v[4:5]
	v_mov_b32_e32 v8, s11
	v_add_co_u32_e32 v6, vcc, s10, v6
	v_addc_co_u32_e32 v7, vcc, v8, v7, vcc
	global_load_dword v8, v[6:7], off
	v_mov_b32_e32 v7, s13
	v_add_co_u32_e32 v6, vcc, s12, v4
	v_addc_co_u32_e32 v7, vcc, v7, v5, vcc
	global_load_sbyte v5, v[6:7], off
	v_mov_b32_e32 v9, s23
	s_mov_b64 s[28:29], 0
	s_waitcnt vmcnt(1)
	v_subrev_u32_e32 v6, s2, v8
	v_ashrrev_i32_e32 v7, 31, v6
	v_lshlrev_b64 v[6:7], 2, v[6:7]
	v_add_co_u32_e32 v6, vcc, s22, v6
	v_addc_co_u32_e32 v7, vcc, v9, v7, vcc
	global_load_dword v9, v[6:7], off
	s_waitcnt vmcnt(1)
	v_cvt_f32_i32_e32 v5, v5
	v_mul_f32_e32 v5, v3, v5
.LBB173_10:                             ;   Parent Loop BB173_7 Depth=1
                                        ;     Parent Loop BB173_9 Depth=2
                                        ; =>    This Inner Loop Header: Depth=3
	s_waitcnt vmcnt(0)
	v_add_f32_e32 v8, v9, v5
	global_atomic_cmpswap v8, v[6:7], v[8:9], off glc
	s_waitcnt vmcnt(0)
	v_cmp_eq_u32_e32 vcc, v8, v9
	s_or_b64 s[28:29], vcc, s[28:29]
	v_mov_b32_e32 v9, v8
	s_andn2_b64 exec, exec, s[28:29]
	s_cbranch_execnz .LBB173_10
; %bb.11:                               ;   in Loop: Header=BB173_9 Depth=2
	s_or_b64 exec, exec, s[28:29]
	v_add_u32_e32 v4, 16, v4
	v_cmp_ge_i32_e32 vcc, v4, v13
	s_or_b64 s[26:27], vcc, s[26:27]
	s_andn2_b64 exec, exec, s[26:27]
	s_cbranch_execnz .LBB173_9
	s_branch .LBB173_6
.LBB173_12:
	s_or_b64 exec, exec, s[4:5]
	s_mov_b64 s[4:5], 0
.LBB173_13:
	s_andn2_b64 vcc, exec, s[4:5]
	s_cbranch_vccnz .LBB173_23
; %bb.14:
	s_and_saveexec_b64 s[4:5], s[0:1]
	s_cbranch_execz .LBB173_23
; %bb.15:
	v_subrev_u32_e32 v8, s2, v1
	s_mov_b64 s[0:1], 0
	v_mov_b32_e32 v9, s19
	v_mov_b32_e32 v10, s9
	s_branch .LBB173_17
.LBB173_16:                             ;   in Loop: Header=BB173_17 Depth=1
	s_or_b64 exec, exec, s[4:5]
	v_add_u32_e32 v0, s3, v0
	v_cmp_le_i32_e32 vcc, s21, v0
	s_or_b64 s[0:1], vcc, s[0:1]
	s_andn2_b64 exec, exec, s[0:1]
	s_cbranch_execz .LBB173_23
.LBB173_17:                             ; =>This Loop Header: Depth=1
                                        ;     Child Loop BB173_20 Depth 2
                                        ;       Child Loop BB173_22 Depth 3
	v_ashrrev_i32_e32 v1, 31, v0
	v_lshlrev_b64 v[2:3], 2, v[0:1]
	v_add_co_u32_e32 v4, vcc, s18, v2
	v_addc_co_u32_e32 v5, vcc, v9, v3, vcc
	v_add_co_u32_e32 v2, vcc, s8, v2
	v_addc_co_u32_e32 v3, vcc, v10, v3, vcc
	global_load_dword v6, v[2:3], off
	global_load_dword v7, v[4:5], off
	s_waitcnt vmcnt(1)
	v_subrev_u32_e32 v11, s2, v6
	s_waitcnt vmcnt(0)
	v_add_u32_e32 v2, v7, v8
	v_cmp_lt_i32_e32 vcc, v2, v11
	s_and_saveexec_b64 s[4:5], vcc
	s_cbranch_execz .LBB173_16
; %bb.18:                               ;   in Loop: Header=BB173_17 Depth=1
	v_mov_b32_e32 v3, s15
	v_add_co_u32_e32 v4, vcc, s14, v0
	v_addc_co_u32_e32 v5, vcc, v3, v1, vcc
	global_load_sbyte v1, v[4:5], off
	s_mov_b64 s[6:7], 0
	s_waitcnt vmcnt(0)
	v_cvt_f32_i32_e32 v1, v1
	v_mul_f32_e32 v1, s16, v1
	s_branch .LBB173_20
.LBB173_19:                             ;   in Loop: Header=BB173_20 Depth=2
	s_or_b64 exec, exec, s[24:25]
	v_add_u32_e32 v2, 16, v2
	v_cmp_ge_i32_e32 vcc, v2, v11
	s_or_b64 s[6:7], vcc, s[6:7]
	s_andn2_b64 exec, exec, s[6:7]
	s_cbranch_execz .LBB173_16
.LBB173_20:                             ;   Parent Loop BB173_17 Depth=1
                                        ; =>  This Loop Header: Depth=2
                                        ;       Child Loop BB173_22 Depth 3
	v_ashrrev_i32_e32 v3, 31, v2
	v_lshlrev_b64 v[4:5], 2, v[2:3]
	v_mov_b32_e32 v6, s11
	v_add_co_u32_e32 v4, vcc, s10, v4
	v_addc_co_u32_e32 v5, vcc, v6, v5, vcc
	global_load_dword v4, v[4:5], off
	s_waitcnt vmcnt(0)
	v_subrev_u32_e32 v4, s2, v4
	v_cmp_ne_u32_e32 vcc, v4, v0
	s_and_saveexec_b64 s[24:25], vcc
	s_cbranch_execz .LBB173_19
; %bb.21:                               ;   in Loop: Header=BB173_20 Depth=2
	v_mov_b32_e32 v5, s13
	v_add_co_u32_e32 v6, vcc, s12, v2
	v_addc_co_u32_e32 v7, vcc, v5, v3, vcc
	global_load_sbyte v3, v[6:7], off
	v_ashrrev_i32_e32 v5, 31, v4
	v_lshlrev_b64 v[4:5], 2, v[4:5]
	v_mov_b32_e32 v6, s23
	v_add_co_u32_e32 v4, vcc, s22, v4
	v_addc_co_u32_e32 v5, vcc, v6, v5, vcc
	global_load_dword v7, v[4:5], off
	s_mov_b64 s[26:27], 0
	s_waitcnt vmcnt(1)
	v_cvt_f32_i32_e32 v3, v3
	v_mul_f32_e32 v3, v1, v3
.LBB173_22:                             ;   Parent Loop BB173_17 Depth=1
                                        ;     Parent Loop BB173_20 Depth=2
                                        ; =>    This Inner Loop Header: Depth=3
	s_waitcnt vmcnt(0)
	v_add_f32_e32 v6, v7, v3
	global_atomic_cmpswap v6, v[4:5], v[6:7], off glc
	s_waitcnt vmcnt(0)
	v_cmp_eq_u32_e32 vcc, v6, v7
	s_or_b64 s[26:27], vcc, s[26:27]
	v_mov_b32_e32 v7, v6
	s_andn2_b64 exec, exec, s[26:27]
	s_cbranch_execnz .LBB173_22
	s_branch .LBB173_19
.LBB173_23:
	s_endpgm
	.section	.rodata,"a",@progbits
	.p2align	6, 0x0
	.amdhsa_kernel _ZN9rocsparseL21csrmvt_general_kernelILj256ELj16EiiaaffEEvbbT2_NS_24const_host_device_scalarIT6_EEPKT1_S7_PKS1_PKT3_PKT4_PT5_21rocsparse_index_base_b
		.amdhsa_group_segment_fixed_size 0
		.amdhsa_private_segment_fixed_size 0
		.amdhsa_kernarg_size 328
		.amdhsa_user_sgpr_count 6
		.amdhsa_user_sgpr_private_segment_buffer 1
		.amdhsa_user_sgpr_dispatch_ptr 0
		.amdhsa_user_sgpr_queue_ptr 0
		.amdhsa_user_sgpr_kernarg_segment_ptr 1
		.amdhsa_user_sgpr_dispatch_id 0
		.amdhsa_user_sgpr_flat_scratch_init 0
		.amdhsa_user_sgpr_kernarg_preload_length 0
		.amdhsa_user_sgpr_kernarg_preload_offset 0
		.amdhsa_user_sgpr_private_segment_size 0
		.amdhsa_uses_dynamic_stack 0
		.amdhsa_system_sgpr_private_segment_wavefront_offset 0
		.amdhsa_system_sgpr_workgroup_id_x 1
		.amdhsa_system_sgpr_workgroup_id_y 0
		.amdhsa_system_sgpr_workgroup_id_z 0
		.amdhsa_system_sgpr_workgroup_info 0
		.amdhsa_system_vgpr_workitem_id 0
		.amdhsa_next_free_vgpr 14
		.amdhsa_next_free_sgpr 30
		.amdhsa_accum_offset 16
		.amdhsa_reserve_vcc 1
		.amdhsa_reserve_flat_scratch 0
		.amdhsa_float_round_mode_32 0
		.amdhsa_float_round_mode_16_64 0
		.amdhsa_float_denorm_mode_32 3
		.amdhsa_float_denorm_mode_16_64 3
		.amdhsa_dx10_clamp 1
		.amdhsa_ieee_mode 1
		.amdhsa_fp16_overflow 0
		.amdhsa_tg_split 0
		.amdhsa_exception_fp_ieee_invalid_op 0
		.amdhsa_exception_fp_denorm_src 0
		.amdhsa_exception_fp_ieee_div_zero 0
		.amdhsa_exception_fp_ieee_overflow 0
		.amdhsa_exception_fp_ieee_underflow 0
		.amdhsa_exception_fp_ieee_inexact 0
		.amdhsa_exception_int_div_zero 0
	.end_amdhsa_kernel
	.section	.text._ZN9rocsparseL21csrmvt_general_kernelILj256ELj16EiiaaffEEvbbT2_NS_24const_host_device_scalarIT6_EEPKT1_S7_PKS1_PKT3_PKT4_PT5_21rocsparse_index_base_b,"axG",@progbits,_ZN9rocsparseL21csrmvt_general_kernelILj256ELj16EiiaaffEEvbbT2_NS_24const_host_device_scalarIT6_EEPKT1_S7_PKS1_PKT3_PKT4_PT5_21rocsparse_index_base_b,comdat
.Lfunc_end173:
	.size	_ZN9rocsparseL21csrmvt_general_kernelILj256ELj16EiiaaffEEvbbT2_NS_24const_host_device_scalarIT6_EEPKT1_S7_PKS1_PKT3_PKT4_PT5_21rocsparse_index_base_b, .Lfunc_end173-_ZN9rocsparseL21csrmvt_general_kernelILj256ELj16EiiaaffEEvbbT2_NS_24const_host_device_scalarIT6_EEPKT1_S7_PKS1_PKT3_PKT4_PT5_21rocsparse_index_base_b
                                        ; -- End function
	.section	.AMDGPU.csdata,"",@progbits
; Kernel info:
; codeLenInByte = 856
; NumSgprs: 34
; NumVgprs: 14
; NumAgprs: 0
; TotalNumVgprs: 14
; ScratchSize: 0
; MemoryBound: 0
; FloatMode: 240
; IeeeMode: 1
; LDSByteSize: 0 bytes/workgroup (compile time only)
; SGPRBlocks: 4
; VGPRBlocks: 1
; NumSGPRsForWavesPerEU: 34
; NumVGPRsForWavesPerEU: 14
; AccumOffset: 16
; Occupancy: 8
; WaveLimiterHint : 1
; COMPUTE_PGM_RSRC2:SCRATCH_EN: 0
; COMPUTE_PGM_RSRC2:USER_SGPR: 6
; COMPUTE_PGM_RSRC2:TRAP_HANDLER: 0
; COMPUTE_PGM_RSRC2:TGID_X_EN: 1
; COMPUTE_PGM_RSRC2:TGID_Y_EN: 0
; COMPUTE_PGM_RSRC2:TGID_Z_EN: 0
; COMPUTE_PGM_RSRC2:TIDIG_COMP_CNT: 0
; COMPUTE_PGM_RSRC3_GFX90A:ACCUM_OFFSET: 3
; COMPUTE_PGM_RSRC3_GFX90A:TG_SPLIT: 0
	.section	.text._ZN9rocsparseL21csrmvt_general_kernelILj256ELj32EiiaaffEEvbbT2_NS_24const_host_device_scalarIT6_EEPKT1_S7_PKS1_PKT3_PKT4_PT5_21rocsparse_index_base_b,"axG",@progbits,_ZN9rocsparseL21csrmvt_general_kernelILj256ELj32EiiaaffEEvbbT2_NS_24const_host_device_scalarIT6_EEPKT1_S7_PKS1_PKT3_PKT4_PT5_21rocsparse_index_base_b,comdat
	.globl	_ZN9rocsparseL21csrmvt_general_kernelILj256ELj32EiiaaffEEvbbT2_NS_24const_host_device_scalarIT6_EEPKT1_S7_PKS1_PKT3_PKT4_PT5_21rocsparse_index_base_b ; -- Begin function _ZN9rocsparseL21csrmvt_general_kernelILj256ELj32EiiaaffEEvbbT2_NS_24const_host_device_scalarIT6_EEPKT1_S7_PKS1_PKT3_PKT4_PT5_21rocsparse_index_base_b
	.p2align	8
	.type	_ZN9rocsparseL21csrmvt_general_kernelILj256ELj32EiiaaffEEvbbT2_NS_24const_host_device_scalarIT6_EEPKT1_S7_PKS1_PKT3_PKT4_PT5_21rocsparse_index_base_b,@function
_ZN9rocsparseL21csrmvt_general_kernelILj256ELj32EiiaaffEEvbbT2_NS_24const_host_device_scalarIT6_EEPKT1_S7_PKS1_PKT3_PKT4_PT5_21rocsparse_index_base_b: ; @_ZN9rocsparseL21csrmvt_general_kernelILj256ELj32EiiaaffEEvbbT2_NS_24const_host_device_scalarIT6_EEPKT1_S7_PKS1_PKT3_PKT4_PT5_21rocsparse_index_base_b
; %bb.0:
	s_load_dwordx2 s[2:3], s[4:5], 0x40
	s_load_dwordx4 s[16:19], s[4:5], 0x8
	s_waitcnt lgkmcnt(0)
	s_bitcmp1_b32 s3, 0
	s_cselect_b64 s[0:1], -1, 0
	s_and_b64 vcc, exec, s[0:1]
	s_cbranch_vccnz .LBB174_2
; %bb.1:
	s_load_dword s16, s[16:17], 0x0
.LBB174_2:
	s_waitcnt lgkmcnt(0)
	v_cmp_eq_f32_e64 s[0:1], s16, 0
	s_and_b64 vcc, exec, s[0:1]
	s_cbranch_vccnz .LBB174_23
; %bb.3:
	s_load_dwordx2 s[20:21], s[4:5], 0x0
	s_load_dword s0, s[4:5], 0x48
	s_load_dwordx2 s[22:23], s[4:5], 0x38
	s_load_dwordx8 s[8:15], s[4:5], 0x18
	v_and_b32_e32 v1, 31, v0
	v_lshl_or_b32 v0, s6, 8, v0
	s_waitcnt lgkmcnt(0)
	s_and_b32 s1, s20, 1
	s_lshl_b32 s3, s0, 3
	v_lshrrev_b32_e32 v0, 5, v0
	s_cmp_eq_u32 s1, 0
	v_cmp_gt_i32_e64 s[0:1], s21, v0
	s_mov_b64 s[4:5], -1
	s_cbranch_scc0 .LBB174_13
; %bb.4:
	s_and_saveexec_b64 s[4:5], s[0:1]
	s_cbranch_execz .LBB174_12
; %bb.5:
	v_subrev_u32_e32 v10, s2, v1
	s_mov_b64 s[6:7], 0
	v_mov_b32_e32 v11, s19
	v_mov_b32_e32 v12, s9
	v_mov_b32_e32 v2, v0
	s_branch .LBB174_7
.LBB174_6:                              ;   in Loop: Header=BB174_7 Depth=1
	s_or_b64 exec, exec, s[24:25]
	v_add_u32_e32 v2, s3, v2
	v_cmp_le_i32_e32 vcc, s21, v2
	s_or_b64 s[6:7], vcc, s[6:7]
	s_andn2_b64 exec, exec, s[6:7]
	s_cbranch_execz .LBB174_12
.LBB174_7:                              ; =>This Loop Header: Depth=1
                                        ;     Child Loop BB174_9 Depth 2
                                        ;       Child Loop BB174_10 Depth 3
	v_ashrrev_i32_e32 v3, 31, v2
	v_lshlrev_b64 v[4:5], 2, v[2:3]
	v_add_co_u32_e32 v6, vcc, s18, v4
	v_addc_co_u32_e32 v7, vcc, v11, v5, vcc
	v_add_co_u32_e32 v4, vcc, s8, v4
	v_addc_co_u32_e32 v5, vcc, v12, v5, vcc
	global_load_dword v8, v[4:5], off
	global_load_dword v9, v[6:7], off
	s_waitcnt vmcnt(1)
	v_subrev_u32_e32 v13, s2, v8
	s_waitcnt vmcnt(0)
	v_add_u32_e32 v4, v9, v10
	v_cmp_lt_i32_e32 vcc, v4, v13
	s_and_saveexec_b64 s[24:25], vcc
	s_cbranch_execz .LBB174_6
; %bb.8:                                ;   in Loop: Header=BB174_7 Depth=1
	v_mov_b32_e32 v5, s15
	v_add_co_u32_e32 v6, vcc, s14, v2
	v_addc_co_u32_e32 v7, vcc, v5, v3, vcc
	global_load_sbyte v3, v[6:7], off
	s_mov_b64 s[26:27], 0
	s_waitcnt vmcnt(0)
	v_cvt_f32_i32_e32 v3, v3
	v_mul_f32_e32 v3, s16, v3
.LBB174_9:                              ;   Parent Loop BB174_7 Depth=1
                                        ; =>  This Loop Header: Depth=2
                                        ;       Child Loop BB174_10 Depth 3
	v_ashrrev_i32_e32 v5, 31, v4
	v_lshlrev_b64 v[6:7], 2, v[4:5]
	v_mov_b32_e32 v8, s11
	v_add_co_u32_e32 v6, vcc, s10, v6
	v_addc_co_u32_e32 v7, vcc, v8, v7, vcc
	global_load_dword v8, v[6:7], off
	v_mov_b32_e32 v7, s13
	v_add_co_u32_e32 v6, vcc, s12, v4
	v_addc_co_u32_e32 v7, vcc, v7, v5, vcc
	global_load_sbyte v5, v[6:7], off
	v_mov_b32_e32 v9, s23
	s_mov_b64 s[28:29], 0
	s_waitcnt vmcnt(1)
	v_subrev_u32_e32 v6, s2, v8
	v_ashrrev_i32_e32 v7, 31, v6
	v_lshlrev_b64 v[6:7], 2, v[6:7]
	v_add_co_u32_e32 v6, vcc, s22, v6
	v_addc_co_u32_e32 v7, vcc, v9, v7, vcc
	global_load_dword v9, v[6:7], off
	s_waitcnt vmcnt(1)
	v_cvt_f32_i32_e32 v5, v5
	v_mul_f32_e32 v5, v3, v5
.LBB174_10:                             ;   Parent Loop BB174_7 Depth=1
                                        ;     Parent Loop BB174_9 Depth=2
                                        ; =>    This Inner Loop Header: Depth=3
	s_waitcnt vmcnt(0)
	v_add_f32_e32 v8, v9, v5
	global_atomic_cmpswap v8, v[6:7], v[8:9], off glc
	s_waitcnt vmcnt(0)
	v_cmp_eq_u32_e32 vcc, v8, v9
	s_or_b64 s[28:29], vcc, s[28:29]
	v_mov_b32_e32 v9, v8
	s_andn2_b64 exec, exec, s[28:29]
	s_cbranch_execnz .LBB174_10
; %bb.11:                               ;   in Loop: Header=BB174_9 Depth=2
	s_or_b64 exec, exec, s[28:29]
	v_add_u32_e32 v4, 32, v4
	v_cmp_ge_i32_e32 vcc, v4, v13
	s_or_b64 s[26:27], vcc, s[26:27]
	s_andn2_b64 exec, exec, s[26:27]
	s_cbranch_execnz .LBB174_9
	s_branch .LBB174_6
.LBB174_12:
	s_or_b64 exec, exec, s[4:5]
	s_mov_b64 s[4:5], 0
.LBB174_13:
	s_andn2_b64 vcc, exec, s[4:5]
	s_cbranch_vccnz .LBB174_23
; %bb.14:
	s_and_saveexec_b64 s[4:5], s[0:1]
	s_cbranch_execz .LBB174_23
; %bb.15:
	v_subrev_u32_e32 v8, s2, v1
	s_mov_b64 s[0:1], 0
	v_mov_b32_e32 v9, s19
	v_mov_b32_e32 v10, s9
	s_branch .LBB174_17
.LBB174_16:                             ;   in Loop: Header=BB174_17 Depth=1
	s_or_b64 exec, exec, s[4:5]
	v_add_u32_e32 v0, s3, v0
	v_cmp_le_i32_e32 vcc, s21, v0
	s_or_b64 s[0:1], vcc, s[0:1]
	s_andn2_b64 exec, exec, s[0:1]
	s_cbranch_execz .LBB174_23
.LBB174_17:                             ; =>This Loop Header: Depth=1
                                        ;     Child Loop BB174_20 Depth 2
                                        ;       Child Loop BB174_22 Depth 3
	v_ashrrev_i32_e32 v1, 31, v0
	v_lshlrev_b64 v[2:3], 2, v[0:1]
	v_add_co_u32_e32 v4, vcc, s18, v2
	v_addc_co_u32_e32 v5, vcc, v9, v3, vcc
	v_add_co_u32_e32 v2, vcc, s8, v2
	v_addc_co_u32_e32 v3, vcc, v10, v3, vcc
	global_load_dword v6, v[2:3], off
	global_load_dword v7, v[4:5], off
	s_waitcnt vmcnt(1)
	v_subrev_u32_e32 v11, s2, v6
	s_waitcnt vmcnt(0)
	v_add_u32_e32 v2, v7, v8
	v_cmp_lt_i32_e32 vcc, v2, v11
	s_and_saveexec_b64 s[4:5], vcc
	s_cbranch_execz .LBB174_16
; %bb.18:                               ;   in Loop: Header=BB174_17 Depth=1
	v_mov_b32_e32 v3, s15
	v_add_co_u32_e32 v4, vcc, s14, v0
	v_addc_co_u32_e32 v5, vcc, v3, v1, vcc
	global_load_sbyte v1, v[4:5], off
	s_mov_b64 s[6:7], 0
	s_waitcnt vmcnt(0)
	v_cvt_f32_i32_e32 v1, v1
	v_mul_f32_e32 v1, s16, v1
	s_branch .LBB174_20
.LBB174_19:                             ;   in Loop: Header=BB174_20 Depth=2
	s_or_b64 exec, exec, s[24:25]
	v_add_u32_e32 v2, 32, v2
	v_cmp_ge_i32_e32 vcc, v2, v11
	s_or_b64 s[6:7], vcc, s[6:7]
	s_andn2_b64 exec, exec, s[6:7]
	s_cbranch_execz .LBB174_16
.LBB174_20:                             ;   Parent Loop BB174_17 Depth=1
                                        ; =>  This Loop Header: Depth=2
                                        ;       Child Loop BB174_22 Depth 3
	v_ashrrev_i32_e32 v3, 31, v2
	v_lshlrev_b64 v[4:5], 2, v[2:3]
	v_mov_b32_e32 v6, s11
	v_add_co_u32_e32 v4, vcc, s10, v4
	v_addc_co_u32_e32 v5, vcc, v6, v5, vcc
	global_load_dword v4, v[4:5], off
	s_waitcnt vmcnt(0)
	v_subrev_u32_e32 v4, s2, v4
	v_cmp_ne_u32_e32 vcc, v4, v0
	s_and_saveexec_b64 s[24:25], vcc
	s_cbranch_execz .LBB174_19
; %bb.21:                               ;   in Loop: Header=BB174_20 Depth=2
	v_mov_b32_e32 v5, s13
	v_add_co_u32_e32 v6, vcc, s12, v2
	v_addc_co_u32_e32 v7, vcc, v5, v3, vcc
	global_load_sbyte v3, v[6:7], off
	v_ashrrev_i32_e32 v5, 31, v4
	v_lshlrev_b64 v[4:5], 2, v[4:5]
	v_mov_b32_e32 v6, s23
	v_add_co_u32_e32 v4, vcc, s22, v4
	v_addc_co_u32_e32 v5, vcc, v6, v5, vcc
	global_load_dword v7, v[4:5], off
	s_mov_b64 s[26:27], 0
	s_waitcnt vmcnt(1)
	v_cvt_f32_i32_e32 v3, v3
	v_mul_f32_e32 v3, v1, v3
.LBB174_22:                             ;   Parent Loop BB174_17 Depth=1
                                        ;     Parent Loop BB174_20 Depth=2
                                        ; =>    This Inner Loop Header: Depth=3
	s_waitcnt vmcnt(0)
	v_add_f32_e32 v6, v7, v3
	global_atomic_cmpswap v6, v[4:5], v[6:7], off glc
	s_waitcnt vmcnt(0)
	v_cmp_eq_u32_e32 vcc, v6, v7
	s_or_b64 s[26:27], vcc, s[26:27]
	v_mov_b32_e32 v7, v6
	s_andn2_b64 exec, exec, s[26:27]
	s_cbranch_execnz .LBB174_22
	s_branch .LBB174_19
.LBB174_23:
	s_endpgm
	.section	.rodata,"a",@progbits
	.p2align	6, 0x0
	.amdhsa_kernel _ZN9rocsparseL21csrmvt_general_kernelILj256ELj32EiiaaffEEvbbT2_NS_24const_host_device_scalarIT6_EEPKT1_S7_PKS1_PKT3_PKT4_PT5_21rocsparse_index_base_b
		.amdhsa_group_segment_fixed_size 0
		.amdhsa_private_segment_fixed_size 0
		.amdhsa_kernarg_size 328
		.amdhsa_user_sgpr_count 6
		.amdhsa_user_sgpr_private_segment_buffer 1
		.amdhsa_user_sgpr_dispatch_ptr 0
		.amdhsa_user_sgpr_queue_ptr 0
		.amdhsa_user_sgpr_kernarg_segment_ptr 1
		.amdhsa_user_sgpr_dispatch_id 0
		.amdhsa_user_sgpr_flat_scratch_init 0
		.amdhsa_user_sgpr_kernarg_preload_length 0
		.amdhsa_user_sgpr_kernarg_preload_offset 0
		.amdhsa_user_sgpr_private_segment_size 0
		.amdhsa_uses_dynamic_stack 0
		.amdhsa_system_sgpr_private_segment_wavefront_offset 0
		.amdhsa_system_sgpr_workgroup_id_x 1
		.amdhsa_system_sgpr_workgroup_id_y 0
		.amdhsa_system_sgpr_workgroup_id_z 0
		.amdhsa_system_sgpr_workgroup_info 0
		.amdhsa_system_vgpr_workitem_id 0
		.amdhsa_next_free_vgpr 14
		.amdhsa_next_free_sgpr 30
		.amdhsa_accum_offset 16
		.amdhsa_reserve_vcc 1
		.amdhsa_reserve_flat_scratch 0
		.amdhsa_float_round_mode_32 0
		.amdhsa_float_round_mode_16_64 0
		.amdhsa_float_denorm_mode_32 3
		.amdhsa_float_denorm_mode_16_64 3
		.amdhsa_dx10_clamp 1
		.amdhsa_ieee_mode 1
		.amdhsa_fp16_overflow 0
		.amdhsa_tg_split 0
		.amdhsa_exception_fp_ieee_invalid_op 0
		.amdhsa_exception_fp_denorm_src 0
		.amdhsa_exception_fp_ieee_div_zero 0
		.amdhsa_exception_fp_ieee_overflow 0
		.amdhsa_exception_fp_ieee_underflow 0
		.amdhsa_exception_fp_ieee_inexact 0
		.amdhsa_exception_int_div_zero 0
	.end_amdhsa_kernel
	.section	.text._ZN9rocsparseL21csrmvt_general_kernelILj256ELj32EiiaaffEEvbbT2_NS_24const_host_device_scalarIT6_EEPKT1_S7_PKS1_PKT3_PKT4_PT5_21rocsparse_index_base_b,"axG",@progbits,_ZN9rocsparseL21csrmvt_general_kernelILj256ELj32EiiaaffEEvbbT2_NS_24const_host_device_scalarIT6_EEPKT1_S7_PKS1_PKT3_PKT4_PT5_21rocsparse_index_base_b,comdat
.Lfunc_end174:
	.size	_ZN9rocsparseL21csrmvt_general_kernelILj256ELj32EiiaaffEEvbbT2_NS_24const_host_device_scalarIT6_EEPKT1_S7_PKS1_PKT3_PKT4_PT5_21rocsparse_index_base_b, .Lfunc_end174-_ZN9rocsparseL21csrmvt_general_kernelILj256ELj32EiiaaffEEvbbT2_NS_24const_host_device_scalarIT6_EEPKT1_S7_PKS1_PKT3_PKT4_PT5_21rocsparse_index_base_b
                                        ; -- End function
	.section	.AMDGPU.csdata,"",@progbits
; Kernel info:
; codeLenInByte = 856
; NumSgprs: 34
; NumVgprs: 14
; NumAgprs: 0
; TotalNumVgprs: 14
; ScratchSize: 0
; MemoryBound: 0
; FloatMode: 240
; IeeeMode: 1
; LDSByteSize: 0 bytes/workgroup (compile time only)
; SGPRBlocks: 4
; VGPRBlocks: 1
; NumSGPRsForWavesPerEU: 34
; NumVGPRsForWavesPerEU: 14
; AccumOffset: 16
; Occupancy: 8
; WaveLimiterHint : 1
; COMPUTE_PGM_RSRC2:SCRATCH_EN: 0
; COMPUTE_PGM_RSRC2:USER_SGPR: 6
; COMPUTE_PGM_RSRC2:TRAP_HANDLER: 0
; COMPUTE_PGM_RSRC2:TGID_X_EN: 1
; COMPUTE_PGM_RSRC2:TGID_Y_EN: 0
; COMPUTE_PGM_RSRC2:TGID_Z_EN: 0
; COMPUTE_PGM_RSRC2:TIDIG_COMP_CNT: 0
; COMPUTE_PGM_RSRC3_GFX90A:ACCUM_OFFSET: 3
; COMPUTE_PGM_RSRC3_GFX90A:TG_SPLIT: 0
	.section	.text._ZN9rocsparseL21csrmvt_general_kernelILj256ELj64EiiaaffEEvbbT2_NS_24const_host_device_scalarIT6_EEPKT1_S7_PKS1_PKT3_PKT4_PT5_21rocsparse_index_base_b,"axG",@progbits,_ZN9rocsparseL21csrmvt_general_kernelILj256ELj64EiiaaffEEvbbT2_NS_24const_host_device_scalarIT6_EEPKT1_S7_PKS1_PKT3_PKT4_PT5_21rocsparse_index_base_b,comdat
	.globl	_ZN9rocsparseL21csrmvt_general_kernelILj256ELj64EiiaaffEEvbbT2_NS_24const_host_device_scalarIT6_EEPKT1_S7_PKS1_PKT3_PKT4_PT5_21rocsparse_index_base_b ; -- Begin function _ZN9rocsparseL21csrmvt_general_kernelILj256ELj64EiiaaffEEvbbT2_NS_24const_host_device_scalarIT6_EEPKT1_S7_PKS1_PKT3_PKT4_PT5_21rocsparse_index_base_b
	.p2align	8
	.type	_ZN9rocsparseL21csrmvt_general_kernelILj256ELj64EiiaaffEEvbbT2_NS_24const_host_device_scalarIT6_EEPKT1_S7_PKS1_PKT3_PKT4_PT5_21rocsparse_index_base_b,@function
_ZN9rocsparseL21csrmvt_general_kernelILj256ELj64EiiaaffEEvbbT2_NS_24const_host_device_scalarIT6_EEPKT1_S7_PKS1_PKT3_PKT4_PT5_21rocsparse_index_base_b: ; @_ZN9rocsparseL21csrmvt_general_kernelILj256ELj64EiiaaffEEvbbT2_NS_24const_host_device_scalarIT6_EEPKT1_S7_PKS1_PKT3_PKT4_PT5_21rocsparse_index_base_b
; %bb.0:
	s_load_dwordx2 s[2:3], s[4:5], 0x40
	s_load_dwordx4 s[16:19], s[4:5], 0x8
	s_waitcnt lgkmcnt(0)
	s_bitcmp1_b32 s3, 0
	s_cselect_b64 s[0:1], -1, 0
	s_and_b64 vcc, exec, s[0:1]
	s_cbranch_vccnz .LBB175_2
; %bb.1:
	s_load_dword s16, s[16:17], 0x0
.LBB175_2:
	s_waitcnt lgkmcnt(0)
	v_cmp_eq_f32_e64 s[0:1], s16, 0
	s_and_b64 vcc, exec, s[0:1]
	s_cbranch_vccnz .LBB175_23
; %bb.3:
	s_load_dwordx2 s[20:21], s[4:5], 0x0
	s_load_dword s0, s[4:5], 0x48
	s_load_dwordx2 s[22:23], s[4:5], 0x38
	s_load_dwordx8 s[8:15], s[4:5], 0x18
	v_and_b32_e32 v1, 63, v0
	v_lshl_or_b32 v0, s6, 8, v0
	s_waitcnt lgkmcnt(0)
	s_and_b32 s1, s20, 1
	s_lshl_b32 s3, s0, 2
	v_lshrrev_b32_e32 v0, 6, v0
	s_cmp_eq_u32 s1, 0
	v_cmp_gt_i32_e64 s[0:1], s21, v0
	s_mov_b64 s[4:5], -1
	s_cbranch_scc0 .LBB175_13
; %bb.4:
	s_and_saveexec_b64 s[4:5], s[0:1]
	s_cbranch_execz .LBB175_12
; %bb.5:
	v_subrev_u32_e32 v10, s2, v1
	s_mov_b64 s[6:7], 0
	v_mov_b32_e32 v11, s19
	v_mov_b32_e32 v12, s9
	;; [unrolled: 1-line block ×3, first 2 shown]
	s_branch .LBB175_7
.LBB175_6:                              ;   in Loop: Header=BB175_7 Depth=1
	s_or_b64 exec, exec, s[24:25]
	v_add_u32_e32 v2, s3, v2
	v_cmp_le_i32_e32 vcc, s21, v2
	s_or_b64 s[6:7], vcc, s[6:7]
	s_andn2_b64 exec, exec, s[6:7]
	s_cbranch_execz .LBB175_12
.LBB175_7:                              ; =>This Loop Header: Depth=1
                                        ;     Child Loop BB175_9 Depth 2
                                        ;       Child Loop BB175_10 Depth 3
	v_ashrrev_i32_e32 v3, 31, v2
	v_lshlrev_b64 v[4:5], 2, v[2:3]
	v_add_co_u32_e32 v6, vcc, s18, v4
	v_addc_co_u32_e32 v7, vcc, v11, v5, vcc
	v_add_co_u32_e32 v4, vcc, s8, v4
	v_addc_co_u32_e32 v5, vcc, v12, v5, vcc
	global_load_dword v8, v[4:5], off
	global_load_dword v9, v[6:7], off
	s_waitcnt vmcnt(1)
	v_subrev_u32_e32 v13, s2, v8
	s_waitcnt vmcnt(0)
	v_add_u32_e32 v4, v9, v10
	v_cmp_lt_i32_e32 vcc, v4, v13
	s_and_saveexec_b64 s[24:25], vcc
	s_cbranch_execz .LBB175_6
; %bb.8:                                ;   in Loop: Header=BB175_7 Depth=1
	v_mov_b32_e32 v5, s15
	v_add_co_u32_e32 v6, vcc, s14, v2
	v_addc_co_u32_e32 v7, vcc, v5, v3, vcc
	global_load_sbyte v3, v[6:7], off
	s_mov_b64 s[26:27], 0
	s_waitcnt vmcnt(0)
	v_cvt_f32_i32_e32 v3, v3
	v_mul_f32_e32 v3, s16, v3
.LBB175_9:                              ;   Parent Loop BB175_7 Depth=1
                                        ; =>  This Loop Header: Depth=2
                                        ;       Child Loop BB175_10 Depth 3
	v_ashrrev_i32_e32 v5, 31, v4
	v_lshlrev_b64 v[6:7], 2, v[4:5]
	v_mov_b32_e32 v8, s11
	v_add_co_u32_e32 v6, vcc, s10, v6
	v_addc_co_u32_e32 v7, vcc, v8, v7, vcc
	global_load_dword v8, v[6:7], off
	v_mov_b32_e32 v7, s13
	v_add_co_u32_e32 v6, vcc, s12, v4
	v_addc_co_u32_e32 v7, vcc, v7, v5, vcc
	global_load_sbyte v5, v[6:7], off
	v_mov_b32_e32 v9, s23
	s_mov_b64 s[28:29], 0
	s_waitcnt vmcnt(1)
	v_subrev_u32_e32 v6, s2, v8
	v_ashrrev_i32_e32 v7, 31, v6
	v_lshlrev_b64 v[6:7], 2, v[6:7]
	v_add_co_u32_e32 v6, vcc, s22, v6
	v_addc_co_u32_e32 v7, vcc, v9, v7, vcc
	global_load_dword v9, v[6:7], off
	s_waitcnt vmcnt(1)
	v_cvt_f32_i32_e32 v5, v5
	v_mul_f32_e32 v5, v3, v5
.LBB175_10:                             ;   Parent Loop BB175_7 Depth=1
                                        ;     Parent Loop BB175_9 Depth=2
                                        ; =>    This Inner Loop Header: Depth=3
	s_waitcnt vmcnt(0)
	v_add_f32_e32 v8, v9, v5
	global_atomic_cmpswap v8, v[6:7], v[8:9], off glc
	s_waitcnt vmcnt(0)
	v_cmp_eq_u32_e32 vcc, v8, v9
	s_or_b64 s[28:29], vcc, s[28:29]
	v_mov_b32_e32 v9, v8
	s_andn2_b64 exec, exec, s[28:29]
	s_cbranch_execnz .LBB175_10
; %bb.11:                               ;   in Loop: Header=BB175_9 Depth=2
	s_or_b64 exec, exec, s[28:29]
	v_add_u32_e32 v4, 64, v4
	v_cmp_ge_i32_e32 vcc, v4, v13
	s_or_b64 s[26:27], vcc, s[26:27]
	s_andn2_b64 exec, exec, s[26:27]
	s_cbranch_execnz .LBB175_9
	s_branch .LBB175_6
.LBB175_12:
	s_or_b64 exec, exec, s[4:5]
	s_mov_b64 s[4:5], 0
.LBB175_13:
	s_andn2_b64 vcc, exec, s[4:5]
	s_cbranch_vccnz .LBB175_23
; %bb.14:
	s_and_saveexec_b64 s[4:5], s[0:1]
	s_cbranch_execz .LBB175_23
; %bb.15:
	v_subrev_u32_e32 v8, s2, v1
	s_mov_b64 s[0:1], 0
	v_mov_b32_e32 v9, s19
	v_mov_b32_e32 v10, s9
	s_branch .LBB175_17
.LBB175_16:                             ;   in Loop: Header=BB175_17 Depth=1
	s_or_b64 exec, exec, s[4:5]
	v_add_u32_e32 v0, s3, v0
	v_cmp_le_i32_e32 vcc, s21, v0
	s_or_b64 s[0:1], vcc, s[0:1]
	s_andn2_b64 exec, exec, s[0:1]
	s_cbranch_execz .LBB175_23
.LBB175_17:                             ; =>This Loop Header: Depth=1
                                        ;     Child Loop BB175_20 Depth 2
                                        ;       Child Loop BB175_22 Depth 3
	v_ashrrev_i32_e32 v1, 31, v0
	v_lshlrev_b64 v[2:3], 2, v[0:1]
	v_add_co_u32_e32 v4, vcc, s18, v2
	v_addc_co_u32_e32 v5, vcc, v9, v3, vcc
	v_add_co_u32_e32 v2, vcc, s8, v2
	v_addc_co_u32_e32 v3, vcc, v10, v3, vcc
	global_load_dword v6, v[2:3], off
	global_load_dword v7, v[4:5], off
	s_waitcnt vmcnt(1)
	v_subrev_u32_e32 v11, s2, v6
	s_waitcnt vmcnt(0)
	v_add_u32_e32 v2, v7, v8
	v_cmp_lt_i32_e32 vcc, v2, v11
	s_and_saveexec_b64 s[4:5], vcc
	s_cbranch_execz .LBB175_16
; %bb.18:                               ;   in Loop: Header=BB175_17 Depth=1
	v_mov_b32_e32 v3, s15
	v_add_co_u32_e32 v4, vcc, s14, v0
	v_addc_co_u32_e32 v5, vcc, v3, v1, vcc
	global_load_sbyte v1, v[4:5], off
	s_mov_b64 s[6:7], 0
	s_waitcnt vmcnt(0)
	v_cvt_f32_i32_e32 v1, v1
	v_mul_f32_e32 v1, s16, v1
	s_branch .LBB175_20
.LBB175_19:                             ;   in Loop: Header=BB175_20 Depth=2
	s_or_b64 exec, exec, s[24:25]
	v_add_u32_e32 v2, 64, v2
	v_cmp_ge_i32_e32 vcc, v2, v11
	s_or_b64 s[6:7], vcc, s[6:7]
	s_andn2_b64 exec, exec, s[6:7]
	s_cbranch_execz .LBB175_16
.LBB175_20:                             ;   Parent Loop BB175_17 Depth=1
                                        ; =>  This Loop Header: Depth=2
                                        ;       Child Loop BB175_22 Depth 3
	v_ashrrev_i32_e32 v3, 31, v2
	v_lshlrev_b64 v[4:5], 2, v[2:3]
	v_mov_b32_e32 v6, s11
	v_add_co_u32_e32 v4, vcc, s10, v4
	v_addc_co_u32_e32 v5, vcc, v6, v5, vcc
	global_load_dword v4, v[4:5], off
	s_waitcnt vmcnt(0)
	v_subrev_u32_e32 v4, s2, v4
	v_cmp_ne_u32_e32 vcc, v4, v0
	s_and_saveexec_b64 s[24:25], vcc
	s_cbranch_execz .LBB175_19
; %bb.21:                               ;   in Loop: Header=BB175_20 Depth=2
	v_mov_b32_e32 v5, s13
	v_add_co_u32_e32 v6, vcc, s12, v2
	v_addc_co_u32_e32 v7, vcc, v5, v3, vcc
	global_load_sbyte v3, v[6:7], off
	v_ashrrev_i32_e32 v5, 31, v4
	v_lshlrev_b64 v[4:5], 2, v[4:5]
	v_mov_b32_e32 v6, s23
	v_add_co_u32_e32 v4, vcc, s22, v4
	v_addc_co_u32_e32 v5, vcc, v6, v5, vcc
	global_load_dword v7, v[4:5], off
	s_mov_b64 s[26:27], 0
	s_waitcnt vmcnt(1)
	v_cvt_f32_i32_e32 v3, v3
	v_mul_f32_e32 v3, v1, v3
.LBB175_22:                             ;   Parent Loop BB175_17 Depth=1
                                        ;     Parent Loop BB175_20 Depth=2
                                        ; =>    This Inner Loop Header: Depth=3
	s_waitcnt vmcnt(0)
	v_add_f32_e32 v6, v7, v3
	global_atomic_cmpswap v6, v[4:5], v[6:7], off glc
	s_waitcnt vmcnt(0)
	v_cmp_eq_u32_e32 vcc, v6, v7
	s_or_b64 s[26:27], vcc, s[26:27]
	v_mov_b32_e32 v7, v6
	s_andn2_b64 exec, exec, s[26:27]
	s_cbranch_execnz .LBB175_22
	s_branch .LBB175_19
.LBB175_23:
	s_endpgm
	.section	.rodata,"a",@progbits
	.p2align	6, 0x0
	.amdhsa_kernel _ZN9rocsparseL21csrmvt_general_kernelILj256ELj64EiiaaffEEvbbT2_NS_24const_host_device_scalarIT6_EEPKT1_S7_PKS1_PKT3_PKT4_PT5_21rocsparse_index_base_b
		.amdhsa_group_segment_fixed_size 0
		.amdhsa_private_segment_fixed_size 0
		.amdhsa_kernarg_size 328
		.amdhsa_user_sgpr_count 6
		.amdhsa_user_sgpr_private_segment_buffer 1
		.amdhsa_user_sgpr_dispatch_ptr 0
		.amdhsa_user_sgpr_queue_ptr 0
		.amdhsa_user_sgpr_kernarg_segment_ptr 1
		.amdhsa_user_sgpr_dispatch_id 0
		.amdhsa_user_sgpr_flat_scratch_init 0
		.amdhsa_user_sgpr_kernarg_preload_length 0
		.amdhsa_user_sgpr_kernarg_preload_offset 0
		.amdhsa_user_sgpr_private_segment_size 0
		.amdhsa_uses_dynamic_stack 0
		.amdhsa_system_sgpr_private_segment_wavefront_offset 0
		.amdhsa_system_sgpr_workgroup_id_x 1
		.amdhsa_system_sgpr_workgroup_id_y 0
		.amdhsa_system_sgpr_workgroup_id_z 0
		.amdhsa_system_sgpr_workgroup_info 0
		.amdhsa_system_vgpr_workitem_id 0
		.amdhsa_next_free_vgpr 14
		.amdhsa_next_free_sgpr 30
		.amdhsa_accum_offset 16
		.amdhsa_reserve_vcc 1
		.amdhsa_reserve_flat_scratch 0
		.amdhsa_float_round_mode_32 0
		.amdhsa_float_round_mode_16_64 0
		.amdhsa_float_denorm_mode_32 3
		.amdhsa_float_denorm_mode_16_64 3
		.amdhsa_dx10_clamp 1
		.amdhsa_ieee_mode 1
		.amdhsa_fp16_overflow 0
		.amdhsa_tg_split 0
		.amdhsa_exception_fp_ieee_invalid_op 0
		.amdhsa_exception_fp_denorm_src 0
		.amdhsa_exception_fp_ieee_div_zero 0
		.amdhsa_exception_fp_ieee_overflow 0
		.amdhsa_exception_fp_ieee_underflow 0
		.amdhsa_exception_fp_ieee_inexact 0
		.amdhsa_exception_int_div_zero 0
	.end_amdhsa_kernel
	.section	.text._ZN9rocsparseL21csrmvt_general_kernelILj256ELj64EiiaaffEEvbbT2_NS_24const_host_device_scalarIT6_EEPKT1_S7_PKS1_PKT3_PKT4_PT5_21rocsparse_index_base_b,"axG",@progbits,_ZN9rocsparseL21csrmvt_general_kernelILj256ELj64EiiaaffEEvbbT2_NS_24const_host_device_scalarIT6_EEPKT1_S7_PKS1_PKT3_PKT4_PT5_21rocsparse_index_base_b,comdat
.Lfunc_end175:
	.size	_ZN9rocsparseL21csrmvt_general_kernelILj256ELj64EiiaaffEEvbbT2_NS_24const_host_device_scalarIT6_EEPKT1_S7_PKS1_PKT3_PKT4_PT5_21rocsparse_index_base_b, .Lfunc_end175-_ZN9rocsparseL21csrmvt_general_kernelILj256ELj64EiiaaffEEvbbT2_NS_24const_host_device_scalarIT6_EEPKT1_S7_PKS1_PKT3_PKT4_PT5_21rocsparse_index_base_b
                                        ; -- End function
	.section	.AMDGPU.csdata,"",@progbits
; Kernel info:
; codeLenInByte = 856
; NumSgprs: 34
; NumVgprs: 14
; NumAgprs: 0
; TotalNumVgprs: 14
; ScratchSize: 0
; MemoryBound: 0
; FloatMode: 240
; IeeeMode: 1
; LDSByteSize: 0 bytes/workgroup (compile time only)
; SGPRBlocks: 4
; VGPRBlocks: 1
; NumSGPRsForWavesPerEU: 34
; NumVGPRsForWavesPerEU: 14
; AccumOffset: 16
; Occupancy: 8
; WaveLimiterHint : 1
; COMPUTE_PGM_RSRC2:SCRATCH_EN: 0
; COMPUTE_PGM_RSRC2:USER_SGPR: 6
; COMPUTE_PGM_RSRC2:TRAP_HANDLER: 0
; COMPUTE_PGM_RSRC2:TGID_X_EN: 1
; COMPUTE_PGM_RSRC2:TGID_Y_EN: 0
; COMPUTE_PGM_RSRC2:TGID_Z_EN: 0
; COMPUTE_PGM_RSRC2:TIDIG_COMP_CNT: 0
; COMPUTE_PGM_RSRC3_GFX90A:ACCUM_OFFSET: 3
; COMPUTE_PGM_RSRC3_GFX90A:TG_SPLIT: 0
	.section	.text._ZN9rocsparseL21csrmvn_general_kernelILj256ELj2EliaaffEEvbT2_NS_24const_host_device_scalarIT6_EEPKT1_S7_PKS1_PKT3_PKT4_S4_PT5_21rocsparse_index_base_b,"axG",@progbits,_ZN9rocsparseL21csrmvn_general_kernelILj256ELj2EliaaffEEvbT2_NS_24const_host_device_scalarIT6_EEPKT1_S7_PKS1_PKT3_PKT4_S4_PT5_21rocsparse_index_base_b,comdat
	.globl	_ZN9rocsparseL21csrmvn_general_kernelILj256ELj2EliaaffEEvbT2_NS_24const_host_device_scalarIT6_EEPKT1_S7_PKS1_PKT3_PKT4_S4_PT5_21rocsparse_index_base_b ; -- Begin function _ZN9rocsparseL21csrmvn_general_kernelILj256ELj2EliaaffEEvbT2_NS_24const_host_device_scalarIT6_EEPKT1_S7_PKS1_PKT3_PKT4_S4_PT5_21rocsparse_index_base_b
	.p2align	8
	.type	_ZN9rocsparseL21csrmvn_general_kernelILj256ELj2EliaaffEEvbT2_NS_24const_host_device_scalarIT6_EEPKT1_S7_PKS1_PKT3_PKT4_S4_PT5_21rocsparse_index_base_b,@function
_ZN9rocsparseL21csrmvn_general_kernelILj256ELj2EliaaffEEvbT2_NS_24const_host_device_scalarIT6_EEPKT1_S7_PKS1_PKT3_PKT4_S4_PT5_21rocsparse_index_base_b: ; @_ZN9rocsparseL21csrmvn_general_kernelILj256ELj2EliaaffEEvbT2_NS_24const_host_device_scalarIT6_EEPKT1_S7_PKS1_PKT3_PKT4_S4_PT5_21rocsparse_index_base_b
; %bb.0:
	s_load_dwordx2 s[20:21], s[4:5], 0x48
	s_load_dwordx4 s[16:19], s[4:5], 0x8
	s_load_dwordx2 s[22:23], s[4:5], 0x38
	s_waitcnt lgkmcnt(0)
	s_bitcmp1_b32 s21, 0
	s_cselect_b64 s[2:3], -1, 0
	s_xor_b64 s[0:1], s[2:3], -1
	s_and_b64 vcc, exec, s[2:3]
	s_cbranch_vccnz .LBB176_2
; %bb.1:
	s_load_dword s16, s[16:17], 0x0
.LBB176_2:
	s_andn2_b64 vcc, exec, s[0:1]
	s_cbranch_vccnz .LBB176_4
; %bb.3:
	s_load_dword s22, s[22:23], 0x0
.LBB176_4:
	s_waitcnt lgkmcnt(0)
	v_cmp_neq_f32_e64 s[0:1], s16, 0
	v_cmp_neq_f32_e64 s[2:3], s22, 1.0
	s_or_b64 s[0:1], s[0:1], s[2:3]
	s_andn2_b64 vcc, exec, s[0:1]
	s_cbranch_vccnz .LBB176_16
; %bb.5:
	s_load_dword s17, s[4:5], 0x4
	v_lshl_or_b32 v1, s6, 8, v0
	v_lshrrev_b32_e32 v2, 1, v1
	s_waitcnt lgkmcnt(0)
	v_cmp_gt_i32_e32 vcc, s17, v2
	s_and_saveexec_b64 s[0:1], vcc
	s_cbranch_execz .LBB176_16
; %bb.6:
	s_load_dword s0, s[4:5], 0x50
	s_load_dwordx2 s[6:7], s[4:5], 0x40
	s_load_dwordx8 s[8:15], s[4:5], 0x18
	v_and_b32_e32 v0, 1, v0
	v_subrev_co_u32_e32 v8, vcc, s20, v0
	s_waitcnt lgkmcnt(0)
	s_lshl_b32 s21, s0, 7
	v_subb_co_u32_e64 v9, s[0:1], 0, 0, vcc
	s_mov_b32 s2, 0
	s_ashr_i32 s0, s20, 31
	s_sub_u32 s23, s14, s20
	v_mov_b32_e32 v12, s2
	v_cmp_neq_f32_e64 s[2:3], s22, 0
	s_subb_u32 s26, s15, s0
	v_cmp_eq_u32_e64 s[0:1], 1, v0
	v_cndmask_b32_e64 v0, 0, 1, s[2:3]
	s_mov_b64 s[14:15], 0
	v_mov_b32_e32 v10, s19
	v_mov_b32_e32 v11, s9
	v_cmp_ne_u32_e64 s[2:3], 1, v0
	s_branch .LBB176_9
.LBB176_7:                              ;   in Loop: Header=BB176_9 Depth=1
	global_store_dword v[0:1], v4, off
.LBB176_8:                              ;   in Loop: Header=BB176_9 Depth=1
	s_or_b64 exec, exec, s[24:25]
	v_add_u32_e32 v2, s21, v2
	v_cmp_le_i32_e32 vcc, s17, v2
	s_or_b64 s[14:15], vcc, s[14:15]
	s_andn2_b64 exec, exec, s[14:15]
	s_cbranch_execz .LBB176_16
.LBB176_9:                              ; =>This Loop Header: Depth=1
                                        ;     Child Loop BB176_11 Depth 2
	v_ashrrev_i32_e32 v3, 31, v2
	v_lshlrev_b64 v[0:1], 3, v[2:3]
	v_add_co_u32_e32 v4, vcc, s8, v0
	v_addc_co_u32_e32 v5, vcc, v11, v1, vcc
	global_load_dwordx2 v[4:5], v[4:5], off
	v_add_co_u32_e32 v0, vcc, s18, v0
	v_addc_co_u32_e32 v1, vcc, v10, v1, vcc
	global_load_dwordx2 v[6:7], v[0:1], off
	v_mov_b32_e32 v13, 0
	s_waitcnt vmcnt(1)
	v_subrev_co_u32_e32 v0, vcc, s20, v4
	v_subb_co_u32_e32 v1, vcc, v5, v12, vcc
	s_waitcnt vmcnt(0)
	v_add_co_u32_e32 v4, vcc, v6, v8
	v_addc_co_u32_e32 v5, vcc, v7, v9, vcc
	v_cmp_lt_i64_e32 vcc, v[4:5], v[0:1]
	s_and_saveexec_b64 s[4:5], vcc
	s_cbranch_execz .LBB176_13
; %bb.10:                               ;   in Loop: Header=BB176_9 Depth=1
	v_lshlrev_b64 v[6:7], 2, v[4:5]
	v_mov_b32_e32 v13, s11
	v_add_co_u32_e32 v6, vcc, s10, v6
	v_addc_co_u32_e32 v7, vcc, v13, v7, vcc
	s_mov_b64 s[24:25], 0
	v_mov_b32_e32 v13, 0
.LBB176_11:                             ;   Parent Loop BB176_9 Depth=1
                                        ; =>  This Inner Loop Header: Depth=2
	global_load_dword v16, v[6:7], off
	v_mov_b32_e32 v15, s13
	v_add_co_u32_e32 v14, vcc, s12, v4
	v_addc_co_u32_e32 v15, vcc, v15, v5, vcc
	v_mov_b32_e32 v17, s26
	global_load_sbyte v18, v[14:15], off
	s_waitcnt vmcnt(1)
	v_ashrrev_i32_e32 v15, 31, v16
	v_add_co_u32_e32 v14, vcc, s23, v16
	v_addc_co_u32_e32 v15, vcc, v17, v15, vcc
	global_load_sbyte v14, v[14:15], off
	v_add_co_u32_e32 v6, vcc, 8, v6
	s_waitcnt vmcnt(1)
	v_cvt_f32_i32_e32 v15, v18
	v_addc_co_u32_e32 v7, vcc, 0, v7, vcc
	v_add_co_u32_e32 v4, vcc, 2, v4
	v_addc_co_u32_e32 v5, vcc, 0, v5, vcc
	v_cmp_ge_i64_e32 vcc, v[4:5], v[0:1]
	v_mul_f32_e32 v15, s16, v15
	s_or_b64 s[24:25], vcc, s[24:25]
	s_waitcnt vmcnt(0)
	v_cvt_f32_i32_e32 v14, v14
	v_fmac_f32_e32 v13, v15, v14
	s_andn2_b64 exec, exec, s[24:25]
	s_cbranch_execnz .LBB176_11
; %bb.12:                               ;   in Loop: Header=BB176_9 Depth=1
	s_or_b64 exec, exec, s[24:25]
.LBB176_13:                             ;   in Loop: Header=BB176_9 Depth=1
	s_or_b64 exec, exec, s[4:5]
	v_mov_b32_dpp v0, v13 row_shr:1 row_mask:0xf bank_mask:0xf
	s_and_saveexec_b64 s[24:25], s[0:1]
	s_cbranch_execz .LBB176_8
; %bb.14:                               ;   in Loop: Header=BB176_9 Depth=1
	v_add_f32_e32 v4, v13, v0
	v_lshlrev_b64 v[0:1], 2, v[2:3]
	v_mov_b32_e32 v3, s7
	v_add_co_u32_e64 v0, s[4:5], s6, v0
	s_and_b64 vcc, exec, s[2:3]
	v_addc_co_u32_e64 v1, s[4:5], v3, v1, s[4:5]
	s_cbranch_vccnz .LBB176_7
; %bb.15:                               ;   in Loop: Header=BB176_9 Depth=1
	global_load_dword v3, v[0:1], off
	s_waitcnt vmcnt(0)
	v_fmac_f32_e32 v4, s22, v3
	s_branch .LBB176_7
.LBB176_16:
	s_endpgm
	.section	.rodata,"a",@progbits
	.p2align	6, 0x0
	.amdhsa_kernel _ZN9rocsparseL21csrmvn_general_kernelILj256ELj2EliaaffEEvbT2_NS_24const_host_device_scalarIT6_EEPKT1_S7_PKS1_PKT3_PKT4_S4_PT5_21rocsparse_index_base_b
		.amdhsa_group_segment_fixed_size 0
		.amdhsa_private_segment_fixed_size 0
		.amdhsa_kernarg_size 336
		.amdhsa_user_sgpr_count 6
		.amdhsa_user_sgpr_private_segment_buffer 1
		.amdhsa_user_sgpr_dispatch_ptr 0
		.amdhsa_user_sgpr_queue_ptr 0
		.amdhsa_user_sgpr_kernarg_segment_ptr 1
		.amdhsa_user_sgpr_dispatch_id 0
		.amdhsa_user_sgpr_flat_scratch_init 0
		.amdhsa_user_sgpr_kernarg_preload_length 0
		.amdhsa_user_sgpr_kernarg_preload_offset 0
		.amdhsa_user_sgpr_private_segment_size 0
		.amdhsa_uses_dynamic_stack 0
		.amdhsa_system_sgpr_private_segment_wavefront_offset 0
		.amdhsa_system_sgpr_workgroup_id_x 1
		.amdhsa_system_sgpr_workgroup_id_y 0
		.amdhsa_system_sgpr_workgroup_id_z 0
		.amdhsa_system_sgpr_workgroup_info 0
		.amdhsa_system_vgpr_workitem_id 0
		.amdhsa_next_free_vgpr 19
		.amdhsa_next_free_sgpr 27
		.amdhsa_accum_offset 20
		.amdhsa_reserve_vcc 1
		.amdhsa_reserve_flat_scratch 0
		.amdhsa_float_round_mode_32 0
		.amdhsa_float_round_mode_16_64 0
		.amdhsa_float_denorm_mode_32 3
		.amdhsa_float_denorm_mode_16_64 3
		.amdhsa_dx10_clamp 1
		.amdhsa_ieee_mode 1
		.amdhsa_fp16_overflow 0
		.amdhsa_tg_split 0
		.amdhsa_exception_fp_ieee_invalid_op 0
		.amdhsa_exception_fp_denorm_src 0
		.amdhsa_exception_fp_ieee_div_zero 0
		.amdhsa_exception_fp_ieee_overflow 0
		.amdhsa_exception_fp_ieee_underflow 0
		.amdhsa_exception_fp_ieee_inexact 0
		.amdhsa_exception_int_div_zero 0
	.end_amdhsa_kernel
	.section	.text._ZN9rocsparseL21csrmvn_general_kernelILj256ELj2EliaaffEEvbT2_NS_24const_host_device_scalarIT6_EEPKT1_S7_PKS1_PKT3_PKT4_S4_PT5_21rocsparse_index_base_b,"axG",@progbits,_ZN9rocsparseL21csrmvn_general_kernelILj256ELj2EliaaffEEvbT2_NS_24const_host_device_scalarIT6_EEPKT1_S7_PKS1_PKT3_PKT4_S4_PT5_21rocsparse_index_base_b,comdat
.Lfunc_end176:
	.size	_ZN9rocsparseL21csrmvn_general_kernelILj256ELj2EliaaffEEvbT2_NS_24const_host_device_scalarIT6_EEPKT1_S7_PKS1_PKT3_PKT4_S4_PT5_21rocsparse_index_base_b, .Lfunc_end176-_ZN9rocsparseL21csrmvn_general_kernelILj256ELj2EliaaffEEvbT2_NS_24const_host_device_scalarIT6_EEPKT1_S7_PKS1_PKT3_PKT4_S4_PT5_21rocsparse_index_base_b
                                        ; -- End function
	.section	.AMDGPU.csdata,"",@progbits
; Kernel info:
; codeLenInByte = 600
; NumSgprs: 31
; NumVgprs: 19
; NumAgprs: 0
; TotalNumVgprs: 19
; ScratchSize: 0
; MemoryBound: 0
; FloatMode: 240
; IeeeMode: 1
; LDSByteSize: 0 bytes/workgroup (compile time only)
; SGPRBlocks: 3
; VGPRBlocks: 2
; NumSGPRsForWavesPerEU: 31
; NumVGPRsForWavesPerEU: 19
; AccumOffset: 20
; Occupancy: 8
; WaveLimiterHint : 1
; COMPUTE_PGM_RSRC2:SCRATCH_EN: 0
; COMPUTE_PGM_RSRC2:USER_SGPR: 6
; COMPUTE_PGM_RSRC2:TRAP_HANDLER: 0
; COMPUTE_PGM_RSRC2:TGID_X_EN: 1
; COMPUTE_PGM_RSRC2:TGID_Y_EN: 0
; COMPUTE_PGM_RSRC2:TGID_Z_EN: 0
; COMPUTE_PGM_RSRC2:TIDIG_COMP_CNT: 0
; COMPUTE_PGM_RSRC3_GFX90A:ACCUM_OFFSET: 4
; COMPUTE_PGM_RSRC3_GFX90A:TG_SPLIT: 0
	.section	.text._ZN9rocsparseL21csrmvn_general_kernelILj256ELj4EliaaffEEvbT2_NS_24const_host_device_scalarIT6_EEPKT1_S7_PKS1_PKT3_PKT4_S4_PT5_21rocsparse_index_base_b,"axG",@progbits,_ZN9rocsparseL21csrmvn_general_kernelILj256ELj4EliaaffEEvbT2_NS_24const_host_device_scalarIT6_EEPKT1_S7_PKS1_PKT3_PKT4_S4_PT5_21rocsparse_index_base_b,comdat
	.globl	_ZN9rocsparseL21csrmvn_general_kernelILj256ELj4EliaaffEEvbT2_NS_24const_host_device_scalarIT6_EEPKT1_S7_PKS1_PKT3_PKT4_S4_PT5_21rocsparse_index_base_b ; -- Begin function _ZN9rocsparseL21csrmvn_general_kernelILj256ELj4EliaaffEEvbT2_NS_24const_host_device_scalarIT6_EEPKT1_S7_PKS1_PKT3_PKT4_S4_PT5_21rocsparse_index_base_b
	.p2align	8
	.type	_ZN9rocsparseL21csrmvn_general_kernelILj256ELj4EliaaffEEvbT2_NS_24const_host_device_scalarIT6_EEPKT1_S7_PKS1_PKT3_PKT4_S4_PT5_21rocsparse_index_base_b,@function
_ZN9rocsparseL21csrmvn_general_kernelILj256ELj4EliaaffEEvbT2_NS_24const_host_device_scalarIT6_EEPKT1_S7_PKS1_PKT3_PKT4_S4_PT5_21rocsparse_index_base_b: ; @_ZN9rocsparseL21csrmvn_general_kernelILj256ELj4EliaaffEEvbT2_NS_24const_host_device_scalarIT6_EEPKT1_S7_PKS1_PKT3_PKT4_S4_PT5_21rocsparse_index_base_b
; %bb.0:
	s_load_dwordx2 s[20:21], s[4:5], 0x48
	s_load_dwordx4 s[16:19], s[4:5], 0x8
	s_load_dwordx2 s[22:23], s[4:5], 0x38
	s_waitcnt lgkmcnt(0)
	s_bitcmp1_b32 s21, 0
	s_cselect_b64 s[2:3], -1, 0
	s_xor_b64 s[0:1], s[2:3], -1
	s_and_b64 vcc, exec, s[2:3]
	s_cbranch_vccnz .LBB177_2
; %bb.1:
	s_load_dword s16, s[16:17], 0x0
.LBB177_2:
	s_andn2_b64 vcc, exec, s[0:1]
	s_cbranch_vccnz .LBB177_4
; %bb.3:
	s_load_dword s22, s[22:23], 0x0
.LBB177_4:
	s_waitcnt lgkmcnt(0)
	v_cmp_neq_f32_e64 s[0:1], s16, 0
	v_cmp_neq_f32_e64 s[2:3], s22, 1.0
	s_or_b64 s[0:1], s[0:1], s[2:3]
	s_andn2_b64 vcc, exec, s[0:1]
	s_cbranch_vccnz .LBB177_16
; %bb.5:
	s_load_dword s17, s[4:5], 0x4
	v_lshl_or_b32 v1, s6, 8, v0
	v_lshrrev_b32_e32 v2, 2, v1
	s_waitcnt lgkmcnt(0)
	v_cmp_gt_i32_e32 vcc, s17, v2
	s_and_saveexec_b64 s[0:1], vcc
	s_cbranch_execz .LBB177_16
; %bb.6:
	s_load_dword s0, s[4:5], 0x50
	s_load_dwordx2 s[6:7], s[4:5], 0x40
	s_load_dwordx8 s[8:15], s[4:5], 0x18
	v_and_b32_e32 v0, 3, v0
	v_subrev_co_u32_e32 v8, vcc, s20, v0
	s_waitcnt lgkmcnt(0)
	s_lshl_b32 s21, s0, 6
	v_subb_co_u32_e64 v9, s[0:1], 0, 0, vcc
	s_mov_b32 s2, 0
	s_ashr_i32 s0, s20, 31
	s_sub_u32 s23, s14, s20
	v_mov_b32_e32 v12, s2
	v_cmp_neq_f32_e64 s[2:3], s22, 0
	s_subb_u32 s26, s15, s0
	v_cmp_eq_u32_e64 s[0:1], 3, v0
	v_cndmask_b32_e64 v0, 0, 1, s[2:3]
	s_mov_b64 s[14:15], 0
	v_mov_b32_e32 v10, s19
	v_mov_b32_e32 v11, s9
	v_cmp_ne_u32_e64 s[2:3], 1, v0
	s_branch .LBB177_9
.LBB177_7:                              ;   in Loop: Header=BB177_9 Depth=1
	global_store_dword v[0:1], v4, off
.LBB177_8:                              ;   in Loop: Header=BB177_9 Depth=1
	s_or_b64 exec, exec, s[24:25]
	v_add_u32_e32 v2, s21, v2
	v_cmp_le_i32_e32 vcc, s17, v2
	s_or_b64 s[14:15], vcc, s[14:15]
	s_andn2_b64 exec, exec, s[14:15]
	s_cbranch_execz .LBB177_16
.LBB177_9:                              ; =>This Loop Header: Depth=1
                                        ;     Child Loop BB177_11 Depth 2
	v_ashrrev_i32_e32 v3, 31, v2
	v_lshlrev_b64 v[0:1], 3, v[2:3]
	v_add_co_u32_e32 v4, vcc, s8, v0
	v_addc_co_u32_e32 v5, vcc, v11, v1, vcc
	global_load_dwordx2 v[4:5], v[4:5], off
	v_add_co_u32_e32 v0, vcc, s18, v0
	v_addc_co_u32_e32 v1, vcc, v10, v1, vcc
	global_load_dwordx2 v[6:7], v[0:1], off
	v_mov_b32_e32 v13, 0
	s_waitcnt vmcnt(1)
	v_subrev_co_u32_e32 v0, vcc, s20, v4
	v_subb_co_u32_e32 v1, vcc, v5, v12, vcc
	s_waitcnt vmcnt(0)
	v_add_co_u32_e32 v4, vcc, v6, v8
	v_addc_co_u32_e32 v5, vcc, v7, v9, vcc
	v_cmp_lt_i64_e32 vcc, v[4:5], v[0:1]
	s_and_saveexec_b64 s[4:5], vcc
	s_cbranch_execz .LBB177_13
; %bb.10:                               ;   in Loop: Header=BB177_9 Depth=1
	v_lshlrev_b64 v[6:7], 2, v[4:5]
	v_mov_b32_e32 v13, s11
	v_add_co_u32_e32 v6, vcc, s10, v6
	v_addc_co_u32_e32 v7, vcc, v13, v7, vcc
	s_mov_b64 s[24:25], 0
	v_mov_b32_e32 v13, 0
.LBB177_11:                             ;   Parent Loop BB177_9 Depth=1
                                        ; =>  This Inner Loop Header: Depth=2
	global_load_dword v16, v[6:7], off
	v_mov_b32_e32 v15, s13
	v_add_co_u32_e32 v14, vcc, s12, v4
	v_addc_co_u32_e32 v15, vcc, v15, v5, vcc
	v_mov_b32_e32 v17, s26
	global_load_sbyte v18, v[14:15], off
	s_waitcnt vmcnt(1)
	v_ashrrev_i32_e32 v15, 31, v16
	v_add_co_u32_e32 v14, vcc, s23, v16
	v_addc_co_u32_e32 v15, vcc, v17, v15, vcc
	global_load_sbyte v14, v[14:15], off
	v_add_co_u32_e32 v6, vcc, 16, v6
	s_waitcnt vmcnt(1)
	v_cvt_f32_i32_e32 v15, v18
	v_addc_co_u32_e32 v7, vcc, 0, v7, vcc
	v_add_co_u32_e32 v4, vcc, 4, v4
	v_addc_co_u32_e32 v5, vcc, 0, v5, vcc
	v_cmp_ge_i64_e32 vcc, v[4:5], v[0:1]
	v_mul_f32_e32 v15, s16, v15
	s_or_b64 s[24:25], vcc, s[24:25]
	s_waitcnt vmcnt(0)
	v_cvt_f32_i32_e32 v14, v14
	v_fmac_f32_e32 v13, v15, v14
	s_andn2_b64 exec, exec, s[24:25]
	s_cbranch_execnz .LBB177_11
; %bb.12:                               ;   in Loop: Header=BB177_9 Depth=1
	s_or_b64 exec, exec, s[24:25]
.LBB177_13:                             ;   in Loop: Header=BB177_9 Depth=1
	s_or_b64 exec, exec, s[4:5]
	v_mov_b32_dpp v0, v13 row_shr:1 row_mask:0xf bank_mask:0xf
	v_add_f32_e32 v0, v13, v0
	s_nop 1
	v_mov_b32_dpp v1, v0 row_shr:2 row_mask:0xf bank_mask:0xf
	s_and_saveexec_b64 s[24:25], s[0:1]
	s_cbranch_execz .LBB177_8
; %bb.14:                               ;   in Loop: Header=BB177_9 Depth=1
	v_add_f32_e32 v4, v0, v1
	v_lshlrev_b64 v[0:1], 2, v[2:3]
	v_mov_b32_e32 v3, s7
	v_add_co_u32_e64 v0, s[4:5], s6, v0
	s_and_b64 vcc, exec, s[2:3]
	v_addc_co_u32_e64 v1, s[4:5], v3, v1, s[4:5]
	s_cbranch_vccnz .LBB177_7
; %bb.15:                               ;   in Loop: Header=BB177_9 Depth=1
	global_load_dword v3, v[0:1], off
	s_waitcnt vmcnt(0)
	v_fmac_f32_e32 v4, s22, v3
	s_branch .LBB177_7
.LBB177_16:
	s_endpgm
	.section	.rodata,"a",@progbits
	.p2align	6, 0x0
	.amdhsa_kernel _ZN9rocsparseL21csrmvn_general_kernelILj256ELj4EliaaffEEvbT2_NS_24const_host_device_scalarIT6_EEPKT1_S7_PKS1_PKT3_PKT4_S4_PT5_21rocsparse_index_base_b
		.amdhsa_group_segment_fixed_size 0
		.amdhsa_private_segment_fixed_size 0
		.amdhsa_kernarg_size 336
		.amdhsa_user_sgpr_count 6
		.amdhsa_user_sgpr_private_segment_buffer 1
		.amdhsa_user_sgpr_dispatch_ptr 0
		.amdhsa_user_sgpr_queue_ptr 0
		.amdhsa_user_sgpr_kernarg_segment_ptr 1
		.amdhsa_user_sgpr_dispatch_id 0
		.amdhsa_user_sgpr_flat_scratch_init 0
		.amdhsa_user_sgpr_kernarg_preload_length 0
		.amdhsa_user_sgpr_kernarg_preload_offset 0
		.amdhsa_user_sgpr_private_segment_size 0
		.amdhsa_uses_dynamic_stack 0
		.amdhsa_system_sgpr_private_segment_wavefront_offset 0
		.amdhsa_system_sgpr_workgroup_id_x 1
		.amdhsa_system_sgpr_workgroup_id_y 0
		.amdhsa_system_sgpr_workgroup_id_z 0
		.amdhsa_system_sgpr_workgroup_info 0
		.amdhsa_system_vgpr_workitem_id 0
		.amdhsa_next_free_vgpr 19
		.amdhsa_next_free_sgpr 27
		.amdhsa_accum_offset 20
		.amdhsa_reserve_vcc 1
		.amdhsa_reserve_flat_scratch 0
		.amdhsa_float_round_mode_32 0
		.amdhsa_float_round_mode_16_64 0
		.amdhsa_float_denorm_mode_32 3
		.amdhsa_float_denorm_mode_16_64 3
		.amdhsa_dx10_clamp 1
		.amdhsa_ieee_mode 1
		.amdhsa_fp16_overflow 0
		.amdhsa_tg_split 0
		.amdhsa_exception_fp_ieee_invalid_op 0
		.amdhsa_exception_fp_denorm_src 0
		.amdhsa_exception_fp_ieee_div_zero 0
		.amdhsa_exception_fp_ieee_overflow 0
		.amdhsa_exception_fp_ieee_underflow 0
		.amdhsa_exception_fp_ieee_inexact 0
		.amdhsa_exception_int_div_zero 0
	.end_amdhsa_kernel
	.section	.text._ZN9rocsparseL21csrmvn_general_kernelILj256ELj4EliaaffEEvbT2_NS_24const_host_device_scalarIT6_EEPKT1_S7_PKS1_PKT3_PKT4_S4_PT5_21rocsparse_index_base_b,"axG",@progbits,_ZN9rocsparseL21csrmvn_general_kernelILj256ELj4EliaaffEEvbT2_NS_24const_host_device_scalarIT6_EEPKT1_S7_PKS1_PKT3_PKT4_S4_PT5_21rocsparse_index_base_b,comdat
.Lfunc_end177:
	.size	_ZN9rocsparseL21csrmvn_general_kernelILj256ELj4EliaaffEEvbT2_NS_24const_host_device_scalarIT6_EEPKT1_S7_PKS1_PKT3_PKT4_S4_PT5_21rocsparse_index_base_b, .Lfunc_end177-_ZN9rocsparseL21csrmvn_general_kernelILj256ELj4EliaaffEEvbT2_NS_24const_host_device_scalarIT6_EEPKT1_S7_PKS1_PKT3_PKT4_S4_PT5_21rocsparse_index_base_b
                                        ; -- End function
	.section	.AMDGPU.csdata,"",@progbits
; Kernel info:
; codeLenInByte = 616
; NumSgprs: 31
; NumVgprs: 19
; NumAgprs: 0
; TotalNumVgprs: 19
; ScratchSize: 0
; MemoryBound: 0
; FloatMode: 240
; IeeeMode: 1
; LDSByteSize: 0 bytes/workgroup (compile time only)
; SGPRBlocks: 3
; VGPRBlocks: 2
; NumSGPRsForWavesPerEU: 31
; NumVGPRsForWavesPerEU: 19
; AccumOffset: 20
; Occupancy: 8
; WaveLimiterHint : 1
; COMPUTE_PGM_RSRC2:SCRATCH_EN: 0
; COMPUTE_PGM_RSRC2:USER_SGPR: 6
; COMPUTE_PGM_RSRC2:TRAP_HANDLER: 0
; COMPUTE_PGM_RSRC2:TGID_X_EN: 1
; COMPUTE_PGM_RSRC2:TGID_Y_EN: 0
; COMPUTE_PGM_RSRC2:TGID_Z_EN: 0
; COMPUTE_PGM_RSRC2:TIDIG_COMP_CNT: 0
; COMPUTE_PGM_RSRC3_GFX90A:ACCUM_OFFSET: 4
; COMPUTE_PGM_RSRC3_GFX90A:TG_SPLIT: 0
	.section	.text._ZN9rocsparseL21csrmvn_general_kernelILj256ELj8EliaaffEEvbT2_NS_24const_host_device_scalarIT6_EEPKT1_S7_PKS1_PKT3_PKT4_S4_PT5_21rocsparse_index_base_b,"axG",@progbits,_ZN9rocsparseL21csrmvn_general_kernelILj256ELj8EliaaffEEvbT2_NS_24const_host_device_scalarIT6_EEPKT1_S7_PKS1_PKT3_PKT4_S4_PT5_21rocsparse_index_base_b,comdat
	.globl	_ZN9rocsparseL21csrmvn_general_kernelILj256ELj8EliaaffEEvbT2_NS_24const_host_device_scalarIT6_EEPKT1_S7_PKS1_PKT3_PKT4_S4_PT5_21rocsparse_index_base_b ; -- Begin function _ZN9rocsparseL21csrmvn_general_kernelILj256ELj8EliaaffEEvbT2_NS_24const_host_device_scalarIT6_EEPKT1_S7_PKS1_PKT3_PKT4_S4_PT5_21rocsparse_index_base_b
	.p2align	8
	.type	_ZN9rocsparseL21csrmvn_general_kernelILj256ELj8EliaaffEEvbT2_NS_24const_host_device_scalarIT6_EEPKT1_S7_PKS1_PKT3_PKT4_S4_PT5_21rocsparse_index_base_b,@function
_ZN9rocsparseL21csrmvn_general_kernelILj256ELj8EliaaffEEvbT2_NS_24const_host_device_scalarIT6_EEPKT1_S7_PKS1_PKT3_PKT4_S4_PT5_21rocsparse_index_base_b: ; @_ZN9rocsparseL21csrmvn_general_kernelILj256ELj8EliaaffEEvbT2_NS_24const_host_device_scalarIT6_EEPKT1_S7_PKS1_PKT3_PKT4_S4_PT5_21rocsparse_index_base_b
; %bb.0:
	s_load_dwordx2 s[20:21], s[4:5], 0x48
	s_load_dwordx4 s[16:19], s[4:5], 0x8
	s_load_dwordx2 s[22:23], s[4:5], 0x38
	s_waitcnt lgkmcnt(0)
	s_bitcmp1_b32 s21, 0
	s_cselect_b64 s[2:3], -1, 0
	s_xor_b64 s[0:1], s[2:3], -1
	s_and_b64 vcc, exec, s[2:3]
	s_cbranch_vccnz .LBB178_2
; %bb.1:
	s_load_dword s16, s[16:17], 0x0
.LBB178_2:
	s_andn2_b64 vcc, exec, s[0:1]
	s_cbranch_vccnz .LBB178_4
; %bb.3:
	s_load_dword s22, s[22:23], 0x0
.LBB178_4:
	s_waitcnt lgkmcnt(0)
	v_cmp_neq_f32_e64 s[0:1], s16, 0
	v_cmp_neq_f32_e64 s[2:3], s22, 1.0
	s_or_b64 s[0:1], s[0:1], s[2:3]
	s_andn2_b64 vcc, exec, s[0:1]
	s_cbranch_vccnz .LBB178_16
; %bb.5:
	s_load_dword s17, s[4:5], 0x4
	v_lshl_or_b32 v1, s6, 8, v0
	v_lshrrev_b32_e32 v2, 3, v1
	s_waitcnt lgkmcnt(0)
	v_cmp_gt_i32_e32 vcc, s17, v2
	s_and_saveexec_b64 s[0:1], vcc
	s_cbranch_execz .LBB178_16
; %bb.6:
	s_load_dword s0, s[4:5], 0x50
	s_load_dwordx2 s[6:7], s[4:5], 0x40
	s_load_dwordx8 s[8:15], s[4:5], 0x18
	v_and_b32_e32 v0, 7, v0
	v_subrev_co_u32_e32 v8, vcc, s20, v0
	s_waitcnt lgkmcnt(0)
	s_lshl_b32 s21, s0, 5
	v_subb_co_u32_e64 v9, s[0:1], 0, 0, vcc
	s_mov_b32 s2, 0
	s_ashr_i32 s0, s20, 31
	s_sub_u32 s23, s14, s20
	v_mov_b32_e32 v12, s2
	v_cmp_neq_f32_e64 s[2:3], s22, 0
	s_subb_u32 s26, s15, s0
	v_cmp_eq_u32_e64 s[0:1], 7, v0
	v_cndmask_b32_e64 v0, 0, 1, s[2:3]
	s_mov_b64 s[14:15], 0
	v_mov_b32_e32 v10, s19
	v_mov_b32_e32 v11, s9
	v_cmp_ne_u32_e64 s[2:3], 1, v0
	s_branch .LBB178_9
.LBB178_7:                              ;   in Loop: Header=BB178_9 Depth=1
	global_store_dword v[0:1], v4, off
.LBB178_8:                              ;   in Loop: Header=BB178_9 Depth=1
	s_or_b64 exec, exec, s[24:25]
	v_add_u32_e32 v2, s21, v2
	v_cmp_le_i32_e32 vcc, s17, v2
	s_or_b64 s[14:15], vcc, s[14:15]
	s_andn2_b64 exec, exec, s[14:15]
	s_cbranch_execz .LBB178_16
.LBB178_9:                              ; =>This Loop Header: Depth=1
                                        ;     Child Loop BB178_11 Depth 2
	v_ashrrev_i32_e32 v3, 31, v2
	v_lshlrev_b64 v[0:1], 3, v[2:3]
	v_add_co_u32_e32 v4, vcc, s8, v0
	v_addc_co_u32_e32 v5, vcc, v11, v1, vcc
	global_load_dwordx2 v[4:5], v[4:5], off
	v_add_co_u32_e32 v0, vcc, s18, v0
	v_addc_co_u32_e32 v1, vcc, v10, v1, vcc
	global_load_dwordx2 v[6:7], v[0:1], off
	v_mov_b32_e32 v13, 0
	s_waitcnt vmcnt(1)
	v_subrev_co_u32_e32 v0, vcc, s20, v4
	v_subb_co_u32_e32 v1, vcc, v5, v12, vcc
	s_waitcnt vmcnt(0)
	v_add_co_u32_e32 v4, vcc, v6, v8
	v_addc_co_u32_e32 v5, vcc, v7, v9, vcc
	v_cmp_lt_i64_e32 vcc, v[4:5], v[0:1]
	s_and_saveexec_b64 s[4:5], vcc
	s_cbranch_execz .LBB178_13
; %bb.10:                               ;   in Loop: Header=BB178_9 Depth=1
	v_lshlrev_b64 v[6:7], 2, v[4:5]
	v_mov_b32_e32 v13, s11
	v_add_co_u32_e32 v6, vcc, s10, v6
	v_addc_co_u32_e32 v7, vcc, v13, v7, vcc
	s_mov_b64 s[24:25], 0
	v_mov_b32_e32 v13, 0
.LBB178_11:                             ;   Parent Loop BB178_9 Depth=1
                                        ; =>  This Inner Loop Header: Depth=2
	global_load_dword v16, v[6:7], off
	v_mov_b32_e32 v15, s13
	v_add_co_u32_e32 v14, vcc, s12, v4
	v_addc_co_u32_e32 v15, vcc, v15, v5, vcc
	v_mov_b32_e32 v17, s26
	global_load_sbyte v18, v[14:15], off
	s_waitcnt vmcnt(1)
	v_ashrrev_i32_e32 v15, 31, v16
	v_add_co_u32_e32 v14, vcc, s23, v16
	v_addc_co_u32_e32 v15, vcc, v17, v15, vcc
	global_load_sbyte v14, v[14:15], off
	v_add_co_u32_e32 v6, vcc, 32, v6
	s_waitcnt vmcnt(1)
	v_cvt_f32_i32_e32 v15, v18
	v_addc_co_u32_e32 v7, vcc, 0, v7, vcc
	v_add_co_u32_e32 v4, vcc, 8, v4
	v_addc_co_u32_e32 v5, vcc, 0, v5, vcc
	v_cmp_ge_i64_e32 vcc, v[4:5], v[0:1]
	v_mul_f32_e32 v15, s16, v15
	s_or_b64 s[24:25], vcc, s[24:25]
	s_waitcnt vmcnt(0)
	v_cvt_f32_i32_e32 v14, v14
	v_fmac_f32_e32 v13, v15, v14
	s_andn2_b64 exec, exec, s[24:25]
	s_cbranch_execnz .LBB178_11
; %bb.12:                               ;   in Loop: Header=BB178_9 Depth=1
	s_or_b64 exec, exec, s[24:25]
.LBB178_13:                             ;   in Loop: Header=BB178_9 Depth=1
	s_or_b64 exec, exec, s[4:5]
	v_mov_b32_dpp v0, v13 row_shr:1 row_mask:0xf bank_mask:0xf
	v_add_f32_e32 v0, v13, v0
	s_nop 1
	v_mov_b32_dpp v1, v0 row_shr:2 row_mask:0xf bank_mask:0xf
	v_add_f32_e32 v0, v0, v1
	s_nop 1
	v_mov_b32_dpp v1, v0 row_shr:4 row_mask:0xf bank_mask:0xe
	s_and_saveexec_b64 s[24:25], s[0:1]
	s_cbranch_execz .LBB178_8
; %bb.14:                               ;   in Loop: Header=BB178_9 Depth=1
	v_add_f32_e32 v4, v0, v1
	v_lshlrev_b64 v[0:1], 2, v[2:3]
	v_mov_b32_e32 v3, s7
	v_add_co_u32_e64 v0, s[4:5], s6, v0
	s_and_b64 vcc, exec, s[2:3]
	v_addc_co_u32_e64 v1, s[4:5], v3, v1, s[4:5]
	s_cbranch_vccnz .LBB178_7
; %bb.15:                               ;   in Loop: Header=BB178_9 Depth=1
	global_load_dword v3, v[0:1], off
	s_waitcnt vmcnt(0)
	v_fmac_f32_e32 v4, s22, v3
	s_branch .LBB178_7
.LBB178_16:
	s_endpgm
	.section	.rodata,"a",@progbits
	.p2align	6, 0x0
	.amdhsa_kernel _ZN9rocsparseL21csrmvn_general_kernelILj256ELj8EliaaffEEvbT2_NS_24const_host_device_scalarIT6_EEPKT1_S7_PKS1_PKT3_PKT4_S4_PT5_21rocsparse_index_base_b
		.amdhsa_group_segment_fixed_size 0
		.amdhsa_private_segment_fixed_size 0
		.amdhsa_kernarg_size 336
		.amdhsa_user_sgpr_count 6
		.amdhsa_user_sgpr_private_segment_buffer 1
		.amdhsa_user_sgpr_dispatch_ptr 0
		.amdhsa_user_sgpr_queue_ptr 0
		.amdhsa_user_sgpr_kernarg_segment_ptr 1
		.amdhsa_user_sgpr_dispatch_id 0
		.amdhsa_user_sgpr_flat_scratch_init 0
		.amdhsa_user_sgpr_kernarg_preload_length 0
		.amdhsa_user_sgpr_kernarg_preload_offset 0
		.amdhsa_user_sgpr_private_segment_size 0
		.amdhsa_uses_dynamic_stack 0
		.amdhsa_system_sgpr_private_segment_wavefront_offset 0
		.amdhsa_system_sgpr_workgroup_id_x 1
		.amdhsa_system_sgpr_workgroup_id_y 0
		.amdhsa_system_sgpr_workgroup_id_z 0
		.amdhsa_system_sgpr_workgroup_info 0
		.amdhsa_system_vgpr_workitem_id 0
		.amdhsa_next_free_vgpr 19
		.amdhsa_next_free_sgpr 27
		.amdhsa_accum_offset 20
		.amdhsa_reserve_vcc 1
		.amdhsa_reserve_flat_scratch 0
		.amdhsa_float_round_mode_32 0
		.amdhsa_float_round_mode_16_64 0
		.amdhsa_float_denorm_mode_32 3
		.amdhsa_float_denorm_mode_16_64 3
		.amdhsa_dx10_clamp 1
		.amdhsa_ieee_mode 1
		.amdhsa_fp16_overflow 0
		.amdhsa_tg_split 0
		.amdhsa_exception_fp_ieee_invalid_op 0
		.amdhsa_exception_fp_denorm_src 0
		.amdhsa_exception_fp_ieee_div_zero 0
		.amdhsa_exception_fp_ieee_overflow 0
		.amdhsa_exception_fp_ieee_underflow 0
		.amdhsa_exception_fp_ieee_inexact 0
		.amdhsa_exception_int_div_zero 0
	.end_amdhsa_kernel
	.section	.text._ZN9rocsparseL21csrmvn_general_kernelILj256ELj8EliaaffEEvbT2_NS_24const_host_device_scalarIT6_EEPKT1_S7_PKS1_PKT3_PKT4_S4_PT5_21rocsparse_index_base_b,"axG",@progbits,_ZN9rocsparseL21csrmvn_general_kernelILj256ELj8EliaaffEEvbT2_NS_24const_host_device_scalarIT6_EEPKT1_S7_PKS1_PKT3_PKT4_S4_PT5_21rocsparse_index_base_b,comdat
.Lfunc_end178:
	.size	_ZN9rocsparseL21csrmvn_general_kernelILj256ELj8EliaaffEEvbT2_NS_24const_host_device_scalarIT6_EEPKT1_S7_PKS1_PKT3_PKT4_S4_PT5_21rocsparse_index_base_b, .Lfunc_end178-_ZN9rocsparseL21csrmvn_general_kernelILj256ELj8EliaaffEEvbT2_NS_24const_host_device_scalarIT6_EEPKT1_S7_PKS1_PKT3_PKT4_S4_PT5_21rocsparse_index_base_b
                                        ; -- End function
	.section	.AMDGPU.csdata,"",@progbits
; Kernel info:
; codeLenInByte = 632
; NumSgprs: 31
; NumVgprs: 19
; NumAgprs: 0
; TotalNumVgprs: 19
; ScratchSize: 0
; MemoryBound: 0
; FloatMode: 240
; IeeeMode: 1
; LDSByteSize: 0 bytes/workgroup (compile time only)
; SGPRBlocks: 3
; VGPRBlocks: 2
; NumSGPRsForWavesPerEU: 31
; NumVGPRsForWavesPerEU: 19
; AccumOffset: 20
; Occupancy: 8
; WaveLimiterHint : 1
; COMPUTE_PGM_RSRC2:SCRATCH_EN: 0
; COMPUTE_PGM_RSRC2:USER_SGPR: 6
; COMPUTE_PGM_RSRC2:TRAP_HANDLER: 0
; COMPUTE_PGM_RSRC2:TGID_X_EN: 1
; COMPUTE_PGM_RSRC2:TGID_Y_EN: 0
; COMPUTE_PGM_RSRC2:TGID_Z_EN: 0
; COMPUTE_PGM_RSRC2:TIDIG_COMP_CNT: 0
; COMPUTE_PGM_RSRC3_GFX90A:ACCUM_OFFSET: 4
; COMPUTE_PGM_RSRC3_GFX90A:TG_SPLIT: 0
	.section	.text._ZN9rocsparseL21csrmvn_general_kernelILj256ELj16EliaaffEEvbT2_NS_24const_host_device_scalarIT6_EEPKT1_S7_PKS1_PKT3_PKT4_S4_PT5_21rocsparse_index_base_b,"axG",@progbits,_ZN9rocsparseL21csrmvn_general_kernelILj256ELj16EliaaffEEvbT2_NS_24const_host_device_scalarIT6_EEPKT1_S7_PKS1_PKT3_PKT4_S4_PT5_21rocsparse_index_base_b,comdat
	.globl	_ZN9rocsparseL21csrmvn_general_kernelILj256ELj16EliaaffEEvbT2_NS_24const_host_device_scalarIT6_EEPKT1_S7_PKS1_PKT3_PKT4_S4_PT5_21rocsparse_index_base_b ; -- Begin function _ZN9rocsparseL21csrmvn_general_kernelILj256ELj16EliaaffEEvbT2_NS_24const_host_device_scalarIT6_EEPKT1_S7_PKS1_PKT3_PKT4_S4_PT5_21rocsparse_index_base_b
	.p2align	8
	.type	_ZN9rocsparseL21csrmvn_general_kernelILj256ELj16EliaaffEEvbT2_NS_24const_host_device_scalarIT6_EEPKT1_S7_PKS1_PKT3_PKT4_S4_PT5_21rocsparse_index_base_b,@function
_ZN9rocsparseL21csrmvn_general_kernelILj256ELj16EliaaffEEvbT2_NS_24const_host_device_scalarIT6_EEPKT1_S7_PKS1_PKT3_PKT4_S4_PT5_21rocsparse_index_base_b: ; @_ZN9rocsparseL21csrmvn_general_kernelILj256ELj16EliaaffEEvbT2_NS_24const_host_device_scalarIT6_EEPKT1_S7_PKS1_PKT3_PKT4_S4_PT5_21rocsparse_index_base_b
; %bb.0:
	s_load_dwordx2 s[20:21], s[4:5], 0x48
	s_load_dwordx4 s[16:19], s[4:5], 0x8
	s_load_dwordx2 s[22:23], s[4:5], 0x38
	s_waitcnt lgkmcnt(0)
	s_bitcmp1_b32 s21, 0
	s_cselect_b64 s[2:3], -1, 0
	s_xor_b64 s[0:1], s[2:3], -1
	s_and_b64 vcc, exec, s[2:3]
	s_cbranch_vccnz .LBB179_2
; %bb.1:
	s_load_dword s16, s[16:17], 0x0
.LBB179_2:
	s_andn2_b64 vcc, exec, s[0:1]
	s_cbranch_vccnz .LBB179_4
; %bb.3:
	s_load_dword s22, s[22:23], 0x0
.LBB179_4:
	s_waitcnt lgkmcnt(0)
	v_cmp_neq_f32_e64 s[0:1], s16, 0
	v_cmp_neq_f32_e64 s[2:3], s22, 1.0
	s_or_b64 s[0:1], s[0:1], s[2:3]
	s_andn2_b64 vcc, exec, s[0:1]
	s_cbranch_vccnz .LBB179_16
; %bb.5:
	s_load_dword s17, s[4:5], 0x4
	v_lshl_or_b32 v1, s6, 8, v0
	v_lshrrev_b32_e32 v2, 4, v1
	s_waitcnt lgkmcnt(0)
	v_cmp_gt_i32_e32 vcc, s17, v2
	s_and_saveexec_b64 s[0:1], vcc
	s_cbranch_execz .LBB179_16
; %bb.6:
	s_load_dword s0, s[4:5], 0x50
	s_load_dwordx2 s[6:7], s[4:5], 0x40
	s_load_dwordx8 s[8:15], s[4:5], 0x18
	v_and_b32_e32 v0, 15, v0
	v_subrev_co_u32_e32 v8, vcc, s20, v0
	s_waitcnt lgkmcnt(0)
	s_lshl_b32 s21, s0, 4
	v_subb_co_u32_e64 v9, s[0:1], 0, 0, vcc
	s_mov_b32 s2, 0
	s_ashr_i32 s0, s20, 31
	s_sub_u32 s23, s14, s20
	v_mov_b32_e32 v12, s2
	v_cmp_neq_f32_e64 s[2:3], s22, 0
	s_subb_u32 s26, s15, s0
	v_cmp_eq_u32_e64 s[0:1], 15, v0
	v_cndmask_b32_e64 v0, 0, 1, s[2:3]
	s_mov_b64 s[14:15], 0
	v_mov_b32_e32 v10, s19
	v_mov_b32_e32 v11, s9
	v_cmp_ne_u32_e64 s[2:3], 1, v0
	s_branch .LBB179_9
.LBB179_7:                              ;   in Loop: Header=BB179_9 Depth=1
	global_store_dword v[0:1], v4, off
.LBB179_8:                              ;   in Loop: Header=BB179_9 Depth=1
	s_or_b64 exec, exec, s[24:25]
	v_add_u32_e32 v2, s21, v2
	v_cmp_le_i32_e32 vcc, s17, v2
	s_or_b64 s[14:15], vcc, s[14:15]
	s_andn2_b64 exec, exec, s[14:15]
	s_cbranch_execz .LBB179_16
.LBB179_9:                              ; =>This Loop Header: Depth=1
                                        ;     Child Loop BB179_11 Depth 2
	v_ashrrev_i32_e32 v3, 31, v2
	v_lshlrev_b64 v[0:1], 3, v[2:3]
	v_add_co_u32_e32 v4, vcc, s8, v0
	v_addc_co_u32_e32 v5, vcc, v11, v1, vcc
	global_load_dwordx2 v[4:5], v[4:5], off
	v_add_co_u32_e32 v0, vcc, s18, v0
	v_addc_co_u32_e32 v1, vcc, v10, v1, vcc
	global_load_dwordx2 v[6:7], v[0:1], off
	v_mov_b32_e32 v13, 0
	s_waitcnt vmcnt(1)
	v_subrev_co_u32_e32 v0, vcc, s20, v4
	v_subb_co_u32_e32 v1, vcc, v5, v12, vcc
	s_waitcnt vmcnt(0)
	v_add_co_u32_e32 v4, vcc, v6, v8
	v_addc_co_u32_e32 v5, vcc, v7, v9, vcc
	v_cmp_lt_i64_e32 vcc, v[4:5], v[0:1]
	s_and_saveexec_b64 s[4:5], vcc
	s_cbranch_execz .LBB179_13
; %bb.10:                               ;   in Loop: Header=BB179_9 Depth=1
	v_lshlrev_b64 v[6:7], 2, v[4:5]
	v_mov_b32_e32 v13, s11
	v_add_co_u32_e32 v6, vcc, s10, v6
	v_addc_co_u32_e32 v7, vcc, v13, v7, vcc
	s_mov_b64 s[24:25], 0
	v_mov_b32_e32 v13, 0
.LBB179_11:                             ;   Parent Loop BB179_9 Depth=1
                                        ; =>  This Inner Loop Header: Depth=2
	global_load_dword v16, v[6:7], off
	v_mov_b32_e32 v15, s13
	v_add_co_u32_e32 v14, vcc, s12, v4
	v_addc_co_u32_e32 v15, vcc, v15, v5, vcc
	v_mov_b32_e32 v17, s26
	global_load_sbyte v18, v[14:15], off
	s_waitcnt vmcnt(1)
	v_ashrrev_i32_e32 v15, 31, v16
	v_add_co_u32_e32 v14, vcc, s23, v16
	v_addc_co_u32_e32 v15, vcc, v17, v15, vcc
	global_load_sbyte v14, v[14:15], off
	v_add_co_u32_e32 v6, vcc, 64, v6
	s_waitcnt vmcnt(1)
	v_cvt_f32_i32_e32 v15, v18
	v_addc_co_u32_e32 v7, vcc, 0, v7, vcc
	v_add_co_u32_e32 v4, vcc, 16, v4
	v_addc_co_u32_e32 v5, vcc, 0, v5, vcc
	v_cmp_ge_i64_e32 vcc, v[4:5], v[0:1]
	v_mul_f32_e32 v15, s16, v15
	s_or_b64 s[24:25], vcc, s[24:25]
	s_waitcnt vmcnt(0)
	v_cvt_f32_i32_e32 v14, v14
	v_fmac_f32_e32 v13, v15, v14
	s_andn2_b64 exec, exec, s[24:25]
	s_cbranch_execnz .LBB179_11
; %bb.12:                               ;   in Loop: Header=BB179_9 Depth=1
	s_or_b64 exec, exec, s[24:25]
.LBB179_13:                             ;   in Loop: Header=BB179_9 Depth=1
	s_or_b64 exec, exec, s[4:5]
	v_mov_b32_dpp v0, v13 row_shr:1 row_mask:0xf bank_mask:0xf
	v_add_f32_e32 v0, v13, v0
	s_nop 1
	v_mov_b32_dpp v1, v0 row_shr:2 row_mask:0xf bank_mask:0xf
	v_add_f32_e32 v0, v0, v1
	s_nop 1
	;; [unrolled: 3-line block ×3, first 2 shown]
	v_mov_b32_dpp v1, v0 row_shr:8 row_mask:0xf bank_mask:0xc
	s_and_saveexec_b64 s[24:25], s[0:1]
	s_cbranch_execz .LBB179_8
; %bb.14:                               ;   in Loop: Header=BB179_9 Depth=1
	v_add_f32_e32 v4, v0, v1
	v_lshlrev_b64 v[0:1], 2, v[2:3]
	v_mov_b32_e32 v3, s7
	v_add_co_u32_e64 v0, s[4:5], s6, v0
	s_and_b64 vcc, exec, s[2:3]
	v_addc_co_u32_e64 v1, s[4:5], v3, v1, s[4:5]
	s_cbranch_vccnz .LBB179_7
; %bb.15:                               ;   in Loop: Header=BB179_9 Depth=1
	global_load_dword v3, v[0:1], off
	s_waitcnt vmcnt(0)
	v_fmac_f32_e32 v4, s22, v3
	s_branch .LBB179_7
.LBB179_16:
	s_endpgm
	.section	.rodata,"a",@progbits
	.p2align	6, 0x0
	.amdhsa_kernel _ZN9rocsparseL21csrmvn_general_kernelILj256ELj16EliaaffEEvbT2_NS_24const_host_device_scalarIT6_EEPKT1_S7_PKS1_PKT3_PKT4_S4_PT5_21rocsparse_index_base_b
		.amdhsa_group_segment_fixed_size 0
		.amdhsa_private_segment_fixed_size 0
		.amdhsa_kernarg_size 336
		.amdhsa_user_sgpr_count 6
		.amdhsa_user_sgpr_private_segment_buffer 1
		.amdhsa_user_sgpr_dispatch_ptr 0
		.amdhsa_user_sgpr_queue_ptr 0
		.amdhsa_user_sgpr_kernarg_segment_ptr 1
		.amdhsa_user_sgpr_dispatch_id 0
		.amdhsa_user_sgpr_flat_scratch_init 0
		.amdhsa_user_sgpr_kernarg_preload_length 0
		.amdhsa_user_sgpr_kernarg_preload_offset 0
		.amdhsa_user_sgpr_private_segment_size 0
		.amdhsa_uses_dynamic_stack 0
		.amdhsa_system_sgpr_private_segment_wavefront_offset 0
		.amdhsa_system_sgpr_workgroup_id_x 1
		.amdhsa_system_sgpr_workgroup_id_y 0
		.amdhsa_system_sgpr_workgroup_id_z 0
		.amdhsa_system_sgpr_workgroup_info 0
		.amdhsa_system_vgpr_workitem_id 0
		.amdhsa_next_free_vgpr 19
		.amdhsa_next_free_sgpr 27
		.amdhsa_accum_offset 20
		.amdhsa_reserve_vcc 1
		.amdhsa_reserve_flat_scratch 0
		.amdhsa_float_round_mode_32 0
		.amdhsa_float_round_mode_16_64 0
		.amdhsa_float_denorm_mode_32 3
		.amdhsa_float_denorm_mode_16_64 3
		.amdhsa_dx10_clamp 1
		.amdhsa_ieee_mode 1
		.amdhsa_fp16_overflow 0
		.amdhsa_tg_split 0
		.amdhsa_exception_fp_ieee_invalid_op 0
		.amdhsa_exception_fp_denorm_src 0
		.amdhsa_exception_fp_ieee_div_zero 0
		.amdhsa_exception_fp_ieee_overflow 0
		.amdhsa_exception_fp_ieee_underflow 0
		.amdhsa_exception_fp_ieee_inexact 0
		.amdhsa_exception_int_div_zero 0
	.end_amdhsa_kernel
	.section	.text._ZN9rocsparseL21csrmvn_general_kernelILj256ELj16EliaaffEEvbT2_NS_24const_host_device_scalarIT6_EEPKT1_S7_PKS1_PKT3_PKT4_S4_PT5_21rocsparse_index_base_b,"axG",@progbits,_ZN9rocsparseL21csrmvn_general_kernelILj256ELj16EliaaffEEvbT2_NS_24const_host_device_scalarIT6_EEPKT1_S7_PKS1_PKT3_PKT4_S4_PT5_21rocsparse_index_base_b,comdat
.Lfunc_end179:
	.size	_ZN9rocsparseL21csrmvn_general_kernelILj256ELj16EliaaffEEvbT2_NS_24const_host_device_scalarIT6_EEPKT1_S7_PKS1_PKT3_PKT4_S4_PT5_21rocsparse_index_base_b, .Lfunc_end179-_ZN9rocsparseL21csrmvn_general_kernelILj256ELj16EliaaffEEvbT2_NS_24const_host_device_scalarIT6_EEPKT1_S7_PKS1_PKT3_PKT4_S4_PT5_21rocsparse_index_base_b
                                        ; -- End function
	.section	.AMDGPU.csdata,"",@progbits
; Kernel info:
; codeLenInByte = 648
; NumSgprs: 31
; NumVgprs: 19
; NumAgprs: 0
; TotalNumVgprs: 19
; ScratchSize: 0
; MemoryBound: 0
; FloatMode: 240
; IeeeMode: 1
; LDSByteSize: 0 bytes/workgroup (compile time only)
; SGPRBlocks: 3
; VGPRBlocks: 2
; NumSGPRsForWavesPerEU: 31
; NumVGPRsForWavesPerEU: 19
; AccumOffset: 20
; Occupancy: 8
; WaveLimiterHint : 1
; COMPUTE_PGM_RSRC2:SCRATCH_EN: 0
; COMPUTE_PGM_RSRC2:USER_SGPR: 6
; COMPUTE_PGM_RSRC2:TRAP_HANDLER: 0
; COMPUTE_PGM_RSRC2:TGID_X_EN: 1
; COMPUTE_PGM_RSRC2:TGID_Y_EN: 0
; COMPUTE_PGM_RSRC2:TGID_Z_EN: 0
; COMPUTE_PGM_RSRC2:TIDIG_COMP_CNT: 0
; COMPUTE_PGM_RSRC3_GFX90A:ACCUM_OFFSET: 4
; COMPUTE_PGM_RSRC3_GFX90A:TG_SPLIT: 0
	.section	.text._ZN9rocsparseL21csrmvn_general_kernelILj256ELj32EliaaffEEvbT2_NS_24const_host_device_scalarIT6_EEPKT1_S7_PKS1_PKT3_PKT4_S4_PT5_21rocsparse_index_base_b,"axG",@progbits,_ZN9rocsparseL21csrmvn_general_kernelILj256ELj32EliaaffEEvbT2_NS_24const_host_device_scalarIT6_EEPKT1_S7_PKS1_PKT3_PKT4_S4_PT5_21rocsparse_index_base_b,comdat
	.globl	_ZN9rocsparseL21csrmvn_general_kernelILj256ELj32EliaaffEEvbT2_NS_24const_host_device_scalarIT6_EEPKT1_S7_PKS1_PKT3_PKT4_S4_PT5_21rocsparse_index_base_b ; -- Begin function _ZN9rocsparseL21csrmvn_general_kernelILj256ELj32EliaaffEEvbT2_NS_24const_host_device_scalarIT6_EEPKT1_S7_PKS1_PKT3_PKT4_S4_PT5_21rocsparse_index_base_b
	.p2align	8
	.type	_ZN9rocsparseL21csrmvn_general_kernelILj256ELj32EliaaffEEvbT2_NS_24const_host_device_scalarIT6_EEPKT1_S7_PKS1_PKT3_PKT4_S4_PT5_21rocsparse_index_base_b,@function
_ZN9rocsparseL21csrmvn_general_kernelILj256ELj32EliaaffEEvbT2_NS_24const_host_device_scalarIT6_EEPKT1_S7_PKS1_PKT3_PKT4_S4_PT5_21rocsparse_index_base_b: ; @_ZN9rocsparseL21csrmvn_general_kernelILj256ELj32EliaaffEEvbT2_NS_24const_host_device_scalarIT6_EEPKT1_S7_PKS1_PKT3_PKT4_S4_PT5_21rocsparse_index_base_b
; %bb.0:
	s_load_dwordx2 s[20:21], s[4:5], 0x48
	s_load_dwordx4 s[16:19], s[4:5], 0x8
	s_load_dwordx2 s[22:23], s[4:5], 0x38
	s_waitcnt lgkmcnt(0)
	s_bitcmp1_b32 s21, 0
	s_cselect_b64 s[2:3], -1, 0
	s_xor_b64 s[0:1], s[2:3], -1
	s_and_b64 vcc, exec, s[2:3]
	s_cbranch_vccnz .LBB180_2
; %bb.1:
	s_load_dword s16, s[16:17], 0x0
.LBB180_2:
	s_andn2_b64 vcc, exec, s[0:1]
	s_cbranch_vccnz .LBB180_4
; %bb.3:
	s_load_dword s22, s[22:23], 0x0
.LBB180_4:
	s_waitcnt lgkmcnt(0)
	v_cmp_neq_f32_e64 s[0:1], s16, 0
	v_cmp_neq_f32_e64 s[2:3], s22, 1.0
	s_or_b64 s[0:1], s[0:1], s[2:3]
	s_andn2_b64 vcc, exec, s[0:1]
	s_cbranch_vccnz .LBB180_16
; %bb.5:
	s_load_dword s17, s[4:5], 0x4
	v_lshl_or_b32 v1, s6, 8, v0
	v_lshrrev_b32_e32 v2, 5, v1
	s_waitcnt lgkmcnt(0)
	v_cmp_gt_i32_e32 vcc, s17, v2
	s_and_saveexec_b64 s[0:1], vcc
	s_cbranch_execz .LBB180_16
; %bb.6:
	s_load_dword s0, s[4:5], 0x50
	s_load_dwordx2 s[6:7], s[4:5], 0x40
	s_load_dwordx8 s[8:15], s[4:5], 0x18
	v_and_b32_e32 v0, 31, v0
	v_subrev_co_u32_e32 v8, vcc, s20, v0
	s_waitcnt lgkmcnt(0)
	s_lshl_b32 s21, s0, 3
	v_subb_co_u32_e64 v9, s[0:1], 0, 0, vcc
	s_mov_b32 s2, 0
	s_ashr_i32 s0, s20, 31
	s_sub_u32 s23, s14, s20
	v_mov_b32_e32 v12, s2
	v_cmp_neq_f32_e64 s[2:3], s22, 0
	s_subb_u32 s28, s15, s0
	v_cmp_eq_u32_e64 s[0:1], 31, v0
	v_cndmask_b32_e64 v0, 0, 1, s[2:3]
	s_mov_b64 s[14:15], 0
	v_mov_b32_e32 v10, s19
	v_mov_b32_e32 v11, s9
	v_cmp_ne_u32_e64 s[2:3], 1, v0
	s_branch .LBB180_9
.LBB180_7:                              ;   in Loop: Header=BB180_9 Depth=1
	global_store_dword v[0:1], v4, off
.LBB180_8:                              ;   in Loop: Header=BB180_9 Depth=1
	s_or_b64 exec, exec, s[24:25]
	v_add_u32_e32 v2, s21, v2
	v_cmp_le_i32_e32 vcc, s17, v2
	s_or_b64 s[14:15], vcc, s[14:15]
	s_andn2_b64 exec, exec, s[14:15]
	s_cbranch_execz .LBB180_16
.LBB180_9:                              ; =>This Loop Header: Depth=1
                                        ;     Child Loop BB180_11 Depth 2
	v_ashrrev_i32_e32 v3, 31, v2
	v_lshlrev_b64 v[0:1], 3, v[2:3]
	v_add_co_u32_e32 v4, vcc, s8, v0
	v_addc_co_u32_e32 v5, vcc, v11, v1, vcc
	global_load_dwordx2 v[4:5], v[4:5], off
	v_add_co_u32_e32 v0, vcc, s18, v0
	v_addc_co_u32_e32 v1, vcc, v10, v1, vcc
	global_load_dwordx2 v[6:7], v[0:1], off
	v_mov_b32_e32 v13, 0
	s_waitcnt vmcnt(1)
	v_subrev_co_u32_e32 v0, vcc, s20, v4
	v_subb_co_u32_e32 v1, vcc, v5, v12, vcc
	s_waitcnt vmcnt(0)
	v_add_co_u32_e32 v4, vcc, v6, v8
	v_addc_co_u32_e32 v5, vcc, v7, v9, vcc
	v_cmp_lt_i64_e32 vcc, v[4:5], v[0:1]
	s_and_saveexec_b64 s[24:25], vcc
	s_cbranch_execz .LBB180_13
; %bb.10:                               ;   in Loop: Header=BB180_9 Depth=1
	v_lshlrev_b64 v[6:7], 2, v[4:5]
	v_mov_b32_e32 v13, s11
	v_add_co_u32_e32 v6, vcc, s10, v6
	v_addc_co_u32_e32 v7, vcc, v13, v7, vcc
	s_mov_b64 s[26:27], 0
	v_mov_b32_e32 v13, 0
.LBB180_11:                             ;   Parent Loop BB180_9 Depth=1
                                        ; =>  This Inner Loop Header: Depth=2
	global_load_dword v16, v[6:7], off
	v_mov_b32_e32 v15, s13
	v_add_co_u32_e32 v14, vcc, s12, v4
	v_addc_co_u32_e32 v15, vcc, v15, v5, vcc
	v_mov_b32_e32 v17, s28
	global_load_sbyte v18, v[14:15], off
	v_add_co_u32_e64 v4, s[4:5], 32, v4
	v_addc_co_u32_e64 v5, s[4:5], 0, v5, s[4:5]
	s_waitcnt vmcnt(1)
	v_ashrrev_i32_e32 v15, 31, v16
	v_add_co_u32_e32 v14, vcc, s23, v16
	v_addc_co_u32_e32 v15, vcc, v17, v15, vcc
	global_load_sbyte v14, v[14:15], off
	v_add_co_u32_e32 v6, vcc, 0x80, v6
	s_waitcnt vmcnt(1)
	v_cvt_f32_i32_e32 v15, v18
	v_addc_co_u32_e32 v7, vcc, 0, v7, vcc
	v_cmp_ge_i64_e32 vcc, v[4:5], v[0:1]
	v_mul_f32_e32 v15, s16, v15
	s_or_b64 s[26:27], vcc, s[26:27]
	s_waitcnt vmcnt(0)
	v_cvt_f32_i32_e32 v14, v14
	v_fmac_f32_e32 v13, v15, v14
	s_andn2_b64 exec, exec, s[26:27]
	s_cbranch_execnz .LBB180_11
; %bb.12:                               ;   in Loop: Header=BB180_9 Depth=1
	s_or_b64 exec, exec, s[26:27]
.LBB180_13:                             ;   in Loop: Header=BB180_9 Depth=1
	s_or_b64 exec, exec, s[24:25]
	v_mov_b32_dpp v0, v13 row_shr:1 row_mask:0xf bank_mask:0xf
	v_add_f32_e32 v0, v13, v0
	s_nop 1
	v_mov_b32_dpp v1, v0 row_shr:2 row_mask:0xf bank_mask:0xf
	v_add_f32_e32 v0, v0, v1
	s_nop 1
	;; [unrolled: 3-line block ×4, first 2 shown]
	v_mov_b32_dpp v1, v0 row_bcast:15 row_mask:0xa bank_mask:0xf
	s_and_saveexec_b64 s[24:25], s[0:1]
	s_cbranch_execz .LBB180_8
; %bb.14:                               ;   in Loop: Header=BB180_9 Depth=1
	v_add_f32_e32 v4, v0, v1
	v_lshlrev_b64 v[0:1], 2, v[2:3]
	v_mov_b32_e32 v3, s7
	v_add_co_u32_e64 v0, s[4:5], s6, v0
	s_and_b64 vcc, exec, s[2:3]
	v_addc_co_u32_e64 v1, s[4:5], v3, v1, s[4:5]
	s_cbranch_vccnz .LBB180_7
; %bb.15:                               ;   in Loop: Header=BB180_9 Depth=1
	global_load_dword v3, v[0:1], off
	s_waitcnt vmcnt(0)
	v_fmac_f32_e32 v4, s22, v3
	s_branch .LBB180_7
.LBB180_16:
	s_endpgm
	.section	.rodata,"a",@progbits
	.p2align	6, 0x0
	.amdhsa_kernel _ZN9rocsparseL21csrmvn_general_kernelILj256ELj32EliaaffEEvbT2_NS_24const_host_device_scalarIT6_EEPKT1_S7_PKS1_PKT3_PKT4_S4_PT5_21rocsparse_index_base_b
		.amdhsa_group_segment_fixed_size 0
		.amdhsa_private_segment_fixed_size 0
		.amdhsa_kernarg_size 336
		.amdhsa_user_sgpr_count 6
		.amdhsa_user_sgpr_private_segment_buffer 1
		.amdhsa_user_sgpr_dispatch_ptr 0
		.amdhsa_user_sgpr_queue_ptr 0
		.amdhsa_user_sgpr_kernarg_segment_ptr 1
		.amdhsa_user_sgpr_dispatch_id 0
		.amdhsa_user_sgpr_flat_scratch_init 0
		.amdhsa_user_sgpr_kernarg_preload_length 0
		.amdhsa_user_sgpr_kernarg_preload_offset 0
		.amdhsa_user_sgpr_private_segment_size 0
		.amdhsa_uses_dynamic_stack 0
		.amdhsa_system_sgpr_private_segment_wavefront_offset 0
		.amdhsa_system_sgpr_workgroup_id_x 1
		.amdhsa_system_sgpr_workgroup_id_y 0
		.amdhsa_system_sgpr_workgroup_id_z 0
		.amdhsa_system_sgpr_workgroup_info 0
		.amdhsa_system_vgpr_workitem_id 0
		.amdhsa_next_free_vgpr 19
		.amdhsa_next_free_sgpr 29
		.amdhsa_accum_offset 20
		.amdhsa_reserve_vcc 1
		.amdhsa_reserve_flat_scratch 0
		.amdhsa_float_round_mode_32 0
		.amdhsa_float_round_mode_16_64 0
		.amdhsa_float_denorm_mode_32 3
		.amdhsa_float_denorm_mode_16_64 3
		.amdhsa_dx10_clamp 1
		.amdhsa_ieee_mode 1
		.amdhsa_fp16_overflow 0
		.amdhsa_tg_split 0
		.amdhsa_exception_fp_ieee_invalid_op 0
		.amdhsa_exception_fp_denorm_src 0
		.amdhsa_exception_fp_ieee_div_zero 0
		.amdhsa_exception_fp_ieee_overflow 0
		.amdhsa_exception_fp_ieee_underflow 0
		.amdhsa_exception_fp_ieee_inexact 0
		.amdhsa_exception_int_div_zero 0
	.end_amdhsa_kernel
	.section	.text._ZN9rocsparseL21csrmvn_general_kernelILj256ELj32EliaaffEEvbT2_NS_24const_host_device_scalarIT6_EEPKT1_S7_PKS1_PKT3_PKT4_S4_PT5_21rocsparse_index_base_b,"axG",@progbits,_ZN9rocsparseL21csrmvn_general_kernelILj256ELj32EliaaffEEvbT2_NS_24const_host_device_scalarIT6_EEPKT1_S7_PKS1_PKT3_PKT4_S4_PT5_21rocsparse_index_base_b,comdat
.Lfunc_end180:
	.size	_ZN9rocsparseL21csrmvn_general_kernelILj256ELj32EliaaffEEvbT2_NS_24const_host_device_scalarIT6_EEPKT1_S7_PKS1_PKT3_PKT4_S4_PT5_21rocsparse_index_base_b, .Lfunc_end180-_ZN9rocsparseL21csrmvn_general_kernelILj256ELj32EliaaffEEvbT2_NS_24const_host_device_scalarIT6_EEPKT1_S7_PKS1_PKT3_PKT4_S4_PT5_21rocsparse_index_base_b
                                        ; -- End function
	.section	.AMDGPU.csdata,"",@progbits
; Kernel info:
; codeLenInByte = 676
; NumSgprs: 33
; NumVgprs: 19
; NumAgprs: 0
; TotalNumVgprs: 19
; ScratchSize: 0
; MemoryBound: 0
; FloatMode: 240
; IeeeMode: 1
; LDSByteSize: 0 bytes/workgroup (compile time only)
; SGPRBlocks: 4
; VGPRBlocks: 2
; NumSGPRsForWavesPerEU: 33
; NumVGPRsForWavesPerEU: 19
; AccumOffset: 20
; Occupancy: 8
; WaveLimiterHint : 1
; COMPUTE_PGM_RSRC2:SCRATCH_EN: 0
; COMPUTE_PGM_RSRC2:USER_SGPR: 6
; COMPUTE_PGM_RSRC2:TRAP_HANDLER: 0
; COMPUTE_PGM_RSRC2:TGID_X_EN: 1
; COMPUTE_PGM_RSRC2:TGID_Y_EN: 0
; COMPUTE_PGM_RSRC2:TGID_Z_EN: 0
; COMPUTE_PGM_RSRC2:TIDIG_COMP_CNT: 0
; COMPUTE_PGM_RSRC3_GFX90A:ACCUM_OFFSET: 4
; COMPUTE_PGM_RSRC3_GFX90A:TG_SPLIT: 0
	.section	.text._ZN9rocsparseL21csrmvn_general_kernelILj256ELj64EliaaffEEvbT2_NS_24const_host_device_scalarIT6_EEPKT1_S7_PKS1_PKT3_PKT4_S4_PT5_21rocsparse_index_base_b,"axG",@progbits,_ZN9rocsparseL21csrmvn_general_kernelILj256ELj64EliaaffEEvbT2_NS_24const_host_device_scalarIT6_EEPKT1_S7_PKS1_PKT3_PKT4_S4_PT5_21rocsparse_index_base_b,comdat
	.globl	_ZN9rocsparseL21csrmvn_general_kernelILj256ELj64EliaaffEEvbT2_NS_24const_host_device_scalarIT6_EEPKT1_S7_PKS1_PKT3_PKT4_S4_PT5_21rocsparse_index_base_b ; -- Begin function _ZN9rocsparseL21csrmvn_general_kernelILj256ELj64EliaaffEEvbT2_NS_24const_host_device_scalarIT6_EEPKT1_S7_PKS1_PKT3_PKT4_S4_PT5_21rocsparse_index_base_b
	.p2align	8
	.type	_ZN9rocsparseL21csrmvn_general_kernelILj256ELj64EliaaffEEvbT2_NS_24const_host_device_scalarIT6_EEPKT1_S7_PKS1_PKT3_PKT4_S4_PT5_21rocsparse_index_base_b,@function
_ZN9rocsparseL21csrmvn_general_kernelILj256ELj64EliaaffEEvbT2_NS_24const_host_device_scalarIT6_EEPKT1_S7_PKS1_PKT3_PKT4_S4_PT5_21rocsparse_index_base_b: ; @_ZN9rocsparseL21csrmvn_general_kernelILj256ELj64EliaaffEEvbT2_NS_24const_host_device_scalarIT6_EEPKT1_S7_PKS1_PKT3_PKT4_S4_PT5_21rocsparse_index_base_b
; %bb.0:
	s_load_dwordx2 s[20:21], s[4:5], 0x48
	s_load_dwordx4 s[16:19], s[4:5], 0x8
	s_load_dwordx2 s[22:23], s[4:5], 0x38
	s_waitcnt lgkmcnt(0)
	s_bitcmp1_b32 s21, 0
	s_cselect_b64 s[2:3], -1, 0
	s_xor_b64 s[0:1], s[2:3], -1
	s_and_b64 vcc, exec, s[2:3]
	s_cbranch_vccnz .LBB181_2
; %bb.1:
	s_load_dword s16, s[16:17], 0x0
.LBB181_2:
	s_andn2_b64 vcc, exec, s[0:1]
	s_cbranch_vccnz .LBB181_4
; %bb.3:
	s_load_dword s22, s[22:23], 0x0
.LBB181_4:
	s_waitcnt lgkmcnt(0)
	v_cmp_neq_f32_e64 s[0:1], s16, 0
	v_cmp_neq_f32_e64 s[2:3], s22, 1.0
	s_or_b64 s[0:1], s[0:1], s[2:3]
	s_andn2_b64 vcc, exec, s[0:1]
	s_cbranch_vccnz .LBB181_16
; %bb.5:
	s_load_dword s17, s[4:5], 0x4
	v_lshl_or_b32 v1, s6, 8, v0
	v_lshrrev_b32_e32 v2, 6, v1
	s_waitcnt lgkmcnt(0)
	v_cmp_gt_i32_e32 vcc, s17, v2
	s_and_saveexec_b64 s[0:1], vcc
	s_cbranch_execz .LBB181_16
; %bb.6:
	s_load_dword s0, s[4:5], 0x50
	s_load_dwordx2 s[6:7], s[4:5], 0x40
	s_load_dwordx8 s[8:15], s[4:5], 0x18
	v_and_b32_e32 v0, 63, v0
	v_subrev_co_u32_e32 v8, vcc, s20, v0
	s_waitcnt lgkmcnt(0)
	s_lshl_b32 s21, s0, 2
	v_subb_co_u32_e64 v9, s[0:1], 0, 0, vcc
	s_mov_b32 s2, 0
	s_ashr_i32 s0, s20, 31
	s_sub_u32 s23, s14, s20
	v_mov_b32_e32 v12, s2
	v_cmp_neq_f32_e64 s[2:3], s22, 0
	s_subb_u32 s28, s15, s0
	v_cmp_eq_u32_e64 s[0:1], 63, v0
	v_cndmask_b32_e64 v0, 0, 1, s[2:3]
	s_mov_b64 s[14:15], 0
	v_mov_b32_e32 v10, s19
	v_mov_b32_e32 v11, s9
	v_cmp_ne_u32_e64 s[2:3], 1, v0
	s_branch .LBB181_9
.LBB181_7:                              ;   in Loop: Header=BB181_9 Depth=1
	global_store_dword v[0:1], v4, off
.LBB181_8:                              ;   in Loop: Header=BB181_9 Depth=1
	s_or_b64 exec, exec, s[24:25]
	v_add_u32_e32 v2, s21, v2
	v_cmp_le_i32_e32 vcc, s17, v2
	s_or_b64 s[14:15], vcc, s[14:15]
	s_andn2_b64 exec, exec, s[14:15]
	s_cbranch_execz .LBB181_16
.LBB181_9:                              ; =>This Loop Header: Depth=1
                                        ;     Child Loop BB181_11 Depth 2
	v_ashrrev_i32_e32 v3, 31, v2
	v_lshlrev_b64 v[0:1], 3, v[2:3]
	v_add_co_u32_e32 v4, vcc, s8, v0
	v_addc_co_u32_e32 v5, vcc, v11, v1, vcc
	global_load_dwordx2 v[4:5], v[4:5], off
	v_add_co_u32_e32 v0, vcc, s18, v0
	v_addc_co_u32_e32 v1, vcc, v10, v1, vcc
	global_load_dwordx2 v[6:7], v[0:1], off
	v_mov_b32_e32 v13, 0
	s_waitcnt vmcnt(1)
	v_subrev_co_u32_e32 v0, vcc, s20, v4
	v_subb_co_u32_e32 v1, vcc, v5, v12, vcc
	s_waitcnt vmcnt(0)
	v_add_co_u32_e32 v4, vcc, v6, v8
	v_addc_co_u32_e32 v5, vcc, v7, v9, vcc
	v_cmp_lt_i64_e32 vcc, v[4:5], v[0:1]
	s_and_saveexec_b64 s[24:25], vcc
	s_cbranch_execz .LBB181_13
; %bb.10:                               ;   in Loop: Header=BB181_9 Depth=1
	v_lshlrev_b64 v[6:7], 2, v[4:5]
	v_mov_b32_e32 v13, s11
	v_add_co_u32_e32 v6, vcc, s10, v6
	v_addc_co_u32_e32 v7, vcc, v13, v7, vcc
	s_mov_b64 s[26:27], 0
	v_mov_b32_e32 v13, 0
.LBB181_11:                             ;   Parent Loop BB181_9 Depth=1
                                        ; =>  This Inner Loop Header: Depth=2
	global_load_dword v16, v[6:7], off
	v_mov_b32_e32 v15, s13
	v_add_co_u32_e32 v14, vcc, s12, v4
	v_addc_co_u32_e32 v15, vcc, v15, v5, vcc
	v_mov_b32_e32 v17, s28
	global_load_sbyte v18, v[14:15], off
	v_add_co_u32_e64 v4, s[4:5], 64, v4
	v_addc_co_u32_e64 v5, s[4:5], 0, v5, s[4:5]
	s_waitcnt vmcnt(1)
	v_ashrrev_i32_e32 v15, 31, v16
	v_add_co_u32_e32 v14, vcc, s23, v16
	v_addc_co_u32_e32 v15, vcc, v17, v15, vcc
	global_load_sbyte v14, v[14:15], off
	v_add_co_u32_e32 v6, vcc, 0x100, v6
	s_waitcnt vmcnt(1)
	v_cvt_f32_i32_e32 v15, v18
	v_addc_co_u32_e32 v7, vcc, 0, v7, vcc
	v_cmp_ge_i64_e32 vcc, v[4:5], v[0:1]
	v_mul_f32_e32 v15, s16, v15
	s_or_b64 s[26:27], vcc, s[26:27]
	s_waitcnt vmcnt(0)
	v_cvt_f32_i32_e32 v14, v14
	v_fmac_f32_e32 v13, v15, v14
	s_andn2_b64 exec, exec, s[26:27]
	s_cbranch_execnz .LBB181_11
; %bb.12:                               ;   in Loop: Header=BB181_9 Depth=1
	s_or_b64 exec, exec, s[26:27]
.LBB181_13:                             ;   in Loop: Header=BB181_9 Depth=1
	s_or_b64 exec, exec, s[24:25]
	v_mov_b32_dpp v0, v13 row_shr:1 row_mask:0xf bank_mask:0xf
	v_add_f32_e32 v0, v13, v0
	s_nop 1
	v_mov_b32_dpp v1, v0 row_shr:2 row_mask:0xf bank_mask:0xf
	v_add_f32_e32 v0, v0, v1
	s_nop 1
	v_mov_b32_dpp v1, v0 row_shr:4 row_mask:0xf bank_mask:0xe
	v_add_f32_e32 v0, v0, v1
	s_nop 1
	v_mov_b32_dpp v1, v0 row_shr:8 row_mask:0xf bank_mask:0xc
	v_add_f32_e32 v0, v0, v1
	s_nop 1
	v_mov_b32_dpp v1, v0 row_bcast:15 row_mask:0xa bank_mask:0xf
	v_add_f32_e32 v0, v0, v1
	s_nop 1
	v_mov_b32_dpp v1, v0 row_bcast:31 row_mask:0xc bank_mask:0xf
	s_and_saveexec_b64 s[24:25], s[0:1]
	s_cbranch_execz .LBB181_8
; %bb.14:                               ;   in Loop: Header=BB181_9 Depth=1
	v_add_f32_e32 v4, v0, v1
	v_lshlrev_b64 v[0:1], 2, v[2:3]
	v_mov_b32_e32 v3, s7
	v_add_co_u32_e64 v0, s[4:5], s6, v0
	s_and_b64 vcc, exec, s[2:3]
	v_addc_co_u32_e64 v1, s[4:5], v3, v1, s[4:5]
	s_cbranch_vccnz .LBB181_7
; %bb.15:                               ;   in Loop: Header=BB181_9 Depth=1
	global_load_dword v3, v[0:1], off
	s_waitcnt vmcnt(0)
	v_fmac_f32_e32 v4, s22, v3
	s_branch .LBB181_7
.LBB181_16:
	s_endpgm
	.section	.rodata,"a",@progbits
	.p2align	6, 0x0
	.amdhsa_kernel _ZN9rocsparseL21csrmvn_general_kernelILj256ELj64EliaaffEEvbT2_NS_24const_host_device_scalarIT6_EEPKT1_S7_PKS1_PKT3_PKT4_S4_PT5_21rocsparse_index_base_b
		.amdhsa_group_segment_fixed_size 0
		.amdhsa_private_segment_fixed_size 0
		.amdhsa_kernarg_size 336
		.amdhsa_user_sgpr_count 6
		.amdhsa_user_sgpr_private_segment_buffer 1
		.amdhsa_user_sgpr_dispatch_ptr 0
		.amdhsa_user_sgpr_queue_ptr 0
		.amdhsa_user_sgpr_kernarg_segment_ptr 1
		.amdhsa_user_sgpr_dispatch_id 0
		.amdhsa_user_sgpr_flat_scratch_init 0
		.amdhsa_user_sgpr_kernarg_preload_length 0
		.amdhsa_user_sgpr_kernarg_preload_offset 0
		.amdhsa_user_sgpr_private_segment_size 0
		.amdhsa_uses_dynamic_stack 0
		.amdhsa_system_sgpr_private_segment_wavefront_offset 0
		.amdhsa_system_sgpr_workgroup_id_x 1
		.amdhsa_system_sgpr_workgroup_id_y 0
		.amdhsa_system_sgpr_workgroup_id_z 0
		.amdhsa_system_sgpr_workgroup_info 0
		.amdhsa_system_vgpr_workitem_id 0
		.amdhsa_next_free_vgpr 19
		.amdhsa_next_free_sgpr 29
		.amdhsa_accum_offset 20
		.amdhsa_reserve_vcc 1
		.amdhsa_reserve_flat_scratch 0
		.amdhsa_float_round_mode_32 0
		.amdhsa_float_round_mode_16_64 0
		.amdhsa_float_denorm_mode_32 3
		.amdhsa_float_denorm_mode_16_64 3
		.amdhsa_dx10_clamp 1
		.amdhsa_ieee_mode 1
		.amdhsa_fp16_overflow 0
		.amdhsa_tg_split 0
		.amdhsa_exception_fp_ieee_invalid_op 0
		.amdhsa_exception_fp_denorm_src 0
		.amdhsa_exception_fp_ieee_div_zero 0
		.amdhsa_exception_fp_ieee_overflow 0
		.amdhsa_exception_fp_ieee_underflow 0
		.amdhsa_exception_fp_ieee_inexact 0
		.amdhsa_exception_int_div_zero 0
	.end_amdhsa_kernel
	.section	.text._ZN9rocsparseL21csrmvn_general_kernelILj256ELj64EliaaffEEvbT2_NS_24const_host_device_scalarIT6_EEPKT1_S7_PKS1_PKT3_PKT4_S4_PT5_21rocsparse_index_base_b,"axG",@progbits,_ZN9rocsparseL21csrmvn_general_kernelILj256ELj64EliaaffEEvbT2_NS_24const_host_device_scalarIT6_EEPKT1_S7_PKS1_PKT3_PKT4_S4_PT5_21rocsparse_index_base_b,comdat
.Lfunc_end181:
	.size	_ZN9rocsparseL21csrmvn_general_kernelILj256ELj64EliaaffEEvbT2_NS_24const_host_device_scalarIT6_EEPKT1_S7_PKS1_PKT3_PKT4_S4_PT5_21rocsparse_index_base_b, .Lfunc_end181-_ZN9rocsparseL21csrmvn_general_kernelILj256ELj64EliaaffEEvbT2_NS_24const_host_device_scalarIT6_EEPKT1_S7_PKS1_PKT3_PKT4_S4_PT5_21rocsparse_index_base_b
                                        ; -- End function
	.section	.AMDGPU.csdata,"",@progbits
; Kernel info:
; codeLenInByte = 692
; NumSgprs: 33
; NumVgprs: 19
; NumAgprs: 0
; TotalNumVgprs: 19
; ScratchSize: 0
; MemoryBound: 0
; FloatMode: 240
; IeeeMode: 1
; LDSByteSize: 0 bytes/workgroup (compile time only)
; SGPRBlocks: 4
; VGPRBlocks: 2
; NumSGPRsForWavesPerEU: 33
; NumVGPRsForWavesPerEU: 19
; AccumOffset: 20
; Occupancy: 8
; WaveLimiterHint : 1
; COMPUTE_PGM_RSRC2:SCRATCH_EN: 0
; COMPUTE_PGM_RSRC2:USER_SGPR: 6
; COMPUTE_PGM_RSRC2:TRAP_HANDLER: 0
; COMPUTE_PGM_RSRC2:TGID_X_EN: 1
; COMPUTE_PGM_RSRC2:TGID_Y_EN: 0
; COMPUTE_PGM_RSRC2:TGID_Z_EN: 0
; COMPUTE_PGM_RSRC2:TIDIG_COMP_CNT: 0
; COMPUTE_PGM_RSRC3_GFX90A:ACCUM_OFFSET: 4
; COMPUTE_PGM_RSRC3_GFX90A:TG_SPLIT: 0
	.section	.text._ZN9rocsparseL21csrmvt_general_kernelILj256ELj4EliaaffEEvbbT2_NS_24const_host_device_scalarIT6_EEPKT1_S7_PKS1_PKT3_PKT4_PT5_21rocsparse_index_base_b,"axG",@progbits,_ZN9rocsparseL21csrmvt_general_kernelILj256ELj4EliaaffEEvbbT2_NS_24const_host_device_scalarIT6_EEPKT1_S7_PKS1_PKT3_PKT4_PT5_21rocsparse_index_base_b,comdat
	.globl	_ZN9rocsparseL21csrmvt_general_kernelILj256ELj4EliaaffEEvbbT2_NS_24const_host_device_scalarIT6_EEPKT1_S7_PKS1_PKT3_PKT4_PT5_21rocsparse_index_base_b ; -- Begin function _ZN9rocsparseL21csrmvt_general_kernelILj256ELj4EliaaffEEvbbT2_NS_24const_host_device_scalarIT6_EEPKT1_S7_PKS1_PKT3_PKT4_PT5_21rocsparse_index_base_b
	.p2align	8
	.type	_ZN9rocsparseL21csrmvt_general_kernelILj256ELj4EliaaffEEvbbT2_NS_24const_host_device_scalarIT6_EEPKT1_S7_PKS1_PKT3_PKT4_PT5_21rocsparse_index_base_b,@function
_ZN9rocsparseL21csrmvt_general_kernelILj256ELj4EliaaffEEvbbT2_NS_24const_host_device_scalarIT6_EEPKT1_S7_PKS1_PKT3_PKT4_PT5_21rocsparse_index_base_b: ; @_ZN9rocsparseL21csrmvt_general_kernelILj256ELj4EliaaffEEvbbT2_NS_24const_host_device_scalarIT6_EEPKT1_S7_PKS1_PKT3_PKT4_PT5_21rocsparse_index_base_b
; %bb.0:
	s_load_dwordx2 s[2:3], s[4:5], 0x40
	s_load_dwordx4 s[16:19], s[4:5], 0x8
	s_waitcnt lgkmcnt(0)
	s_bitcmp1_b32 s3, 0
	s_cselect_b64 s[0:1], -1, 0
	s_and_b64 vcc, exec, s[0:1]
	s_cbranch_vccnz .LBB182_2
; %bb.1:
	s_load_dword s16, s[16:17], 0x0
.LBB182_2:
	s_waitcnt lgkmcnt(0)
	v_cmp_eq_f32_e64 s[0:1], s16, 0
	s_and_b64 vcc, exec, s[0:1]
	s_cbranch_vccnz .LBB182_23
; %bb.3:
	s_load_dwordx2 s[20:21], s[4:5], 0x0
	s_load_dword s0, s[4:5], 0x48
	s_load_dwordx2 s[22:23], s[4:5], 0x38
	s_load_dwordx8 s[8:15], s[4:5], 0x18
	v_and_b32_e32 v1, 3, v0
	v_lshl_or_b32 v0, s6, 8, v0
	s_waitcnt lgkmcnt(0)
	s_and_b32 s1, s20, 1
	s_lshl_b32 s3, s0, 6
	v_lshrrev_b32_e32 v0, 2, v0
	s_cmp_eq_u32 s1, 0
	v_cmp_gt_i32_e64 s[0:1], s21, v0
	s_mov_b64 s[4:5], -1
	s_cbranch_scc0 .LBB182_13
; %bb.4:
	s_and_saveexec_b64 s[4:5], s[0:1]
	s_cbranch_execz .LBB182_12
; %bb.5:
	v_subrev_co_u32_e32 v12, vcc, s2, v1
	s_mov_b32 s17, 0
	v_subb_co_u32_e64 v13, s[6:7], 0, 0, vcc
	s_mov_b64 s[6:7], 0
	v_mov_b32_e32 v14, s19
	v_mov_b32_e32 v15, s9
	;; [unrolled: 1-line block ×4, first 2 shown]
	s_branch .LBB182_7
.LBB182_6:                              ;   in Loop: Header=BB182_7 Depth=1
	s_or_b64 exec, exec, s[24:25]
	v_add_u32_e32 v2, s3, v2
	v_cmp_le_i32_e32 vcc, s21, v2
	s_or_b64 s[6:7], vcc, s[6:7]
	s_andn2_b64 exec, exec, s[6:7]
	s_cbranch_execz .LBB182_12
.LBB182_7:                              ; =>This Loop Header: Depth=1
                                        ;     Child Loop BB182_9 Depth 2
                                        ;       Child Loop BB182_10 Depth 3
	v_ashrrev_i32_e32 v3, 31, v2
	v_lshlrev_b64 v[4:5], 3, v[2:3]
	v_add_co_u32_e32 v6, vcc, s8, v4
	v_addc_co_u32_e32 v7, vcc, v15, v5, vcc
	global_load_dwordx2 v[6:7], v[6:7], off
	v_add_co_u32_e32 v4, vcc, s18, v4
	v_addc_co_u32_e32 v5, vcc, v14, v5, vcc
	global_load_dwordx2 v[8:9], v[4:5], off
	s_waitcnt vmcnt(1)
	v_subrev_co_u32_e32 v4, vcc, s2, v6
	v_subb_co_u32_e32 v5, vcc, v7, v16, vcc
	s_waitcnt vmcnt(0)
	v_add_co_u32_e32 v6, vcc, v8, v12
	v_addc_co_u32_e32 v7, vcc, v9, v13, vcc
	v_cmp_lt_i64_e32 vcc, v[6:7], v[4:5]
	s_and_saveexec_b64 s[24:25], vcc
	s_cbranch_execz .LBB182_6
; %bb.8:                                ;   in Loop: Header=BB182_7 Depth=1
	v_mov_b32_e32 v9, s15
	v_add_co_u32_e32 v8, vcc, s14, v2
	v_addc_co_u32_e32 v9, vcc, v9, v3, vcc
	global_load_sbyte v3, v[8:9], off
	s_mov_b64 s[26:27], 0
	s_waitcnt vmcnt(0)
	v_cvt_f32_i32_e32 v3, v3
	v_mul_f32_e32 v3, s16, v3
.LBB182_9:                              ;   Parent Loop BB182_7 Depth=1
                                        ; =>  This Loop Header: Depth=2
                                        ;       Child Loop BB182_10 Depth 3
	v_lshlrev_b64 v[8:9], 2, v[6:7]
	v_mov_b32_e32 v10, s11
	v_add_co_u32_e32 v8, vcc, s10, v8
	v_addc_co_u32_e32 v9, vcc, v10, v9, vcc
	global_load_dword v10, v[8:9], off
	v_mov_b32_e32 v9, s13
	v_add_co_u32_e32 v8, vcc, s12, v6
	v_addc_co_u32_e32 v9, vcc, v9, v7, vcc
	global_load_sbyte v17, v[8:9], off
	v_mov_b32_e32 v11, s23
	s_mov_b64 s[28:29], 0
	s_waitcnt vmcnt(1)
	v_subrev_u32_e32 v8, s2, v10
	v_ashrrev_i32_e32 v9, 31, v8
	v_lshlrev_b64 v[8:9], 2, v[8:9]
	v_add_co_u32_e32 v8, vcc, s22, v8
	v_addc_co_u32_e32 v9, vcc, v11, v9, vcc
	global_load_dword v11, v[8:9], off
	s_waitcnt vmcnt(1)
	v_cvt_f32_i32_e32 v10, v17
	v_mul_f32_e32 v17, v3, v10
.LBB182_10:                             ;   Parent Loop BB182_7 Depth=1
                                        ;     Parent Loop BB182_9 Depth=2
                                        ; =>    This Inner Loop Header: Depth=3
	s_waitcnt vmcnt(0)
	v_add_f32_e32 v10, v11, v17
	global_atomic_cmpswap v10, v[8:9], v[10:11], off glc
	s_waitcnt vmcnt(0)
	v_cmp_eq_u32_e32 vcc, v10, v11
	s_or_b64 s[28:29], vcc, s[28:29]
	v_mov_b32_e32 v11, v10
	s_andn2_b64 exec, exec, s[28:29]
	s_cbranch_execnz .LBB182_10
; %bb.11:                               ;   in Loop: Header=BB182_9 Depth=2
	s_or_b64 exec, exec, s[28:29]
	v_add_co_u32_e32 v6, vcc, 4, v6
	v_addc_co_u32_e32 v7, vcc, 0, v7, vcc
	v_cmp_ge_i64_e32 vcc, v[6:7], v[4:5]
	s_or_b64 s[26:27], vcc, s[26:27]
	s_andn2_b64 exec, exec, s[26:27]
	s_cbranch_execnz .LBB182_9
	s_branch .LBB182_6
.LBB182_12:
	s_or_b64 exec, exec, s[4:5]
	s_mov_b64 s[4:5], 0
.LBB182_13:
	s_andn2_b64 vcc, exec, s[4:5]
	s_cbranch_vccnz .LBB182_23
; %bb.14:
	s_and_saveexec_b64 s[4:5], s[0:1]
	s_cbranch_execz .LBB182_23
; %bb.15:
	v_subrev_co_u32_e32 v10, vcc, s2, v1
	s_mov_b32 s4, 0
	v_subb_co_u32_e64 v11, s[0:1], 0, 0, vcc
	s_mov_b64 s[0:1], 0
	v_mov_b32_e32 v12, s19
	v_mov_b32_e32 v13, s9
	;; [unrolled: 1-line block ×3, first 2 shown]
	s_branch .LBB182_17
.LBB182_16:                             ;   in Loop: Header=BB182_17 Depth=1
	s_or_b64 exec, exec, s[4:5]
	v_add_u32_e32 v0, s3, v0
	v_cmp_le_i32_e32 vcc, s21, v0
	s_or_b64 s[0:1], vcc, s[0:1]
	s_andn2_b64 exec, exec, s[0:1]
	s_cbranch_execz .LBB182_23
.LBB182_17:                             ; =>This Loop Header: Depth=1
                                        ;     Child Loop BB182_20 Depth 2
                                        ;       Child Loop BB182_22 Depth 3
	v_ashrrev_i32_e32 v1, 31, v0
	v_lshlrev_b64 v[2:3], 3, v[0:1]
	v_add_co_u32_e32 v4, vcc, s8, v2
	v_addc_co_u32_e32 v5, vcc, v13, v3, vcc
	global_load_dwordx2 v[4:5], v[4:5], off
	v_add_co_u32_e32 v2, vcc, s18, v2
	v_addc_co_u32_e32 v3, vcc, v12, v3, vcc
	global_load_dwordx2 v[6:7], v[2:3], off
	s_waitcnt vmcnt(1)
	v_subrev_co_u32_e32 v2, vcc, s2, v4
	v_subb_co_u32_e32 v3, vcc, v5, v14, vcc
	s_waitcnt vmcnt(0)
	v_add_co_u32_e32 v4, vcc, v6, v10
	v_addc_co_u32_e32 v5, vcc, v7, v11, vcc
	v_cmp_lt_i64_e32 vcc, v[4:5], v[2:3]
	s_and_saveexec_b64 s[4:5], vcc
	s_cbranch_execz .LBB182_16
; %bb.18:                               ;   in Loop: Header=BB182_17 Depth=1
	v_mov_b32_e32 v7, s15
	v_add_co_u32_e32 v6, vcc, s14, v0
	v_addc_co_u32_e32 v7, vcc, v7, v1, vcc
	global_load_sbyte v1, v[6:7], off
	s_mov_b64 s[6:7], 0
	s_waitcnt vmcnt(0)
	v_cvt_f32_i32_e32 v1, v1
	v_mul_f32_e32 v1, s16, v1
	s_branch .LBB182_20
.LBB182_19:                             ;   in Loop: Header=BB182_20 Depth=2
	s_or_b64 exec, exec, s[24:25]
	v_add_co_u32_e32 v4, vcc, 4, v4
	v_addc_co_u32_e32 v5, vcc, 0, v5, vcc
	v_cmp_ge_i64_e32 vcc, v[4:5], v[2:3]
	s_or_b64 s[6:7], vcc, s[6:7]
	s_andn2_b64 exec, exec, s[6:7]
	s_cbranch_execz .LBB182_16
.LBB182_20:                             ;   Parent Loop BB182_17 Depth=1
                                        ; =>  This Loop Header: Depth=2
                                        ;       Child Loop BB182_22 Depth 3
	v_lshlrev_b64 v[6:7], 2, v[4:5]
	v_mov_b32_e32 v8, s11
	v_add_co_u32_e32 v6, vcc, s10, v6
	v_addc_co_u32_e32 v7, vcc, v8, v7, vcc
	global_load_dword v6, v[6:7], off
	s_waitcnt vmcnt(0)
	v_subrev_u32_e32 v6, s2, v6
	v_cmp_ne_u32_e32 vcc, v6, v0
	s_and_saveexec_b64 s[24:25], vcc
	s_cbranch_execz .LBB182_19
; %bb.21:                               ;   in Loop: Header=BB182_20 Depth=2
	v_mov_b32_e32 v7, s13
	v_add_co_u32_e32 v8, vcc, s12, v4
	v_addc_co_u32_e32 v9, vcc, v7, v5, vcc
	global_load_sbyte v8, v[8:9], off
	v_ashrrev_i32_e32 v7, 31, v6
	v_lshlrev_b64 v[6:7], 2, v[6:7]
	v_mov_b32_e32 v9, s23
	v_add_co_u32_e32 v6, vcc, s22, v6
	v_addc_co_u32_e32 v7, vcc, v9, v7, vcc
	global_load_dword v9, v[6:7], off
	s_mov_b64 s[26:27], 0
	s_waitcnt vmcnt(1)
	v_cvt_f32_i32_e32 v8, v8
	v_mul_f32_e32 v15, v1, v8
.LBB182_22:                             ;   Parent Loop BB182_17 Depth=1
                                        ;     Parent Loop BB182_20 Depth=2
                                        ; =>    This Inner Loop Header: Depth=3
	s_waitcnt vmcnt(0)
	v_add_f32_e32 v8, v9, v15
	global_atomic_cmpswap v8, v[6:7], v[8:9], off glc
	s_waitcnt vmcnt(0)
	v_cmp_eq_u32_e32 vcc, v8, v9
	s_or_b64 s[26:27], vcc, s[26:27]
	v_mov_b32_e32 v9, v8
	s_andn2_b64 exec, exec, s[26:27]
	s_cbranch_execnz .LBB182_22
	s_branch .LBB182_19
.LBB182_23:
	s_endpgm
	.section	.rodata,"a",@progbits
	.p2align	6, 0x0
	.amdhsa_kernel _ZN9rocsparseL21csrmvt_general_kernelILj256ELj4EliaaffEEvbbT2_NS_24const_host_device_scalarIT6_EEPKT1_S7_PKS1_PKT3_PKT4_PT5_21rocsparse_index_base_b
		.amdhsa_group_segment_fixed_size 0
		.amdhsa_private_segment_fixed_size 0
		.amdhsa_kernarg_size 328
		.amdhsa_user_sgpr_count 6
		.amdhsa_user_sgpr_private_segment_buffer 1
		.amdhsa_user_sgpr_dispatch_ptr 0
		.amdhsa_user_sgpr_queue_ptr 0
		.amdhsa_user_sgpr_kernarg_segment_ptr 1
		.amdhsa_user_sgpr_dispatch_id 0
		.amdhsa_user_sgpr_flat_scratch_init 0
		.amdhsa_user_sgpr_kernarg_preload_length 0
		.amdhsa_user_sgpr_kernarg_preload_offset 0
		.amdhsa_user_sgpr_private_segment_size 0
		.amdhsa_uses_dynamic_stack 0
		.amdhsa_system_sgpr_private_segment_wavefront_offset 0
		.amdhsa_system_sgpr_workgroup_id_x 1
		.amdhsa_system_sgpr_workgroup_id_y 0
		.amdhsa_system_sgpr_workgroup_id_z 0
		.amdhsa_system_sgpr_workgroup_info 0
		.amdhsa_system_vgpr_workitem_id 0
		.amdhsa_next_free_vgpr 18
		.amdhsa_next_free_sgpr 30
		.amdhsa_accum_offset 20
		.amdhsa_reserve_vcc 1
		.amdhsa_reserve_flat_scratch 0
		.amdhsa_float_round_mode_32 0
		.amdhsa_float_round_mode_16_64 0
		.amdhsa_float_denorm_mode_32 3
		.amdhsa_float_denorm_mode_16_64 3
		.amdhsa_dx10_clamp 1
		.amdhsa_ieee_mode 1
		.amdhsa_fp16_overflow 0
		.amdhsa_tg_split 0
		.amdhsa_exception_fp_ieee_invalid_op 0
		.amdhsa_exception_fp_denorm_src 0
		.amdhsa_exception_fp_ieee_div_zero 0
		.amdhsa_exception_fp_ieee_overflow 0
		.amdhsa_exception_fp_ieee_underflow 0
		.amdhsa_exception_fp_ieee_inexact 0
		.amdhsa_exception_int_div_zero 0
	.end_amdhsa_kernel
	.section	.text._ZN9rocsparseL21csrmvt_general_kernelILj256ELj4EliaaffEEvbbT2_NS_24const_host_device_scalarIT6_EEPKT1_S7_PKS1_PKT3_PKT4_PT5_21rocsparse_index_base_b,"axG",@progbits,_ZN9rocsparseL21csrmvt_general_kernelILj256ELj4EliaaffEEvbbT2_NS_24const_host_device_scalarIT6_EEPKT1_S7_PKS1_PKT3_PKT4_PT5_21rocsparse_index_base_b,comdat
.Lfunc_end182:
	.size	_ZN9rocsparseL21csrmvt_general_kernelILj256ELj4EliaaffEEvbbT2_NS_24const_host_device_scalarIT6_EEPKT1_S7_PKS1_PKT3_PKT4_PT5_21rocsparse_index_base_b, .Lfunc_end182-_ZN9rocsparseL21csrmvt_general_kernelILj256ELj4EliaaffEEvbbT2_NS_24const_host_device_scalarIT6_EEPKT1_S7_PKS1_PKT3_PKT4_PT5_21rocsparse_index_base_b
                                        ; -- End function
	.section	.AMDGPU.csdata,"",@progbits
; Kernel info:
; codeLenInByte = 904
; NumSgprs: 34
; NumVgprs: 18
; NumAgprs: 0
; TotalNumVgprs: 18
; ScratchSize: 0
; MemoryBound: 0
; FloatMode: 240
; IeeeMode: 1
; LDSByteSize: 0 bytes/workgroup (compile time only)
; SGPRBlocks: 4
; VGPRBlocks: 2
; NumSGPRsForWavesPerEU: 34
; NumVGPRsForWavesPerEU: 18
; AccumOffset: 20
; Occupancy: 8
; WaveLimiterHint : 1
; COMPUTE_PGM_RSRC2:SCRATCH_EN: 0
; COMPUTE_PGM_RSRC2:USER_SGPR: 6
; COMPUTE_PGM_RSRC2:TRAP_HANDLER: 0
; COMPUTE_PGM_RSRC2:TGID_X_EN: 1
; COMPUTE_PGM_RSRC2:TGID_Y_EN: 0
; COMPUTE_PGM_RSRC2:TGID_Z_EN: 0
; COMPUTE_PGM_RSRC2:TIDIG_COMP_CNT: 0
; COMPUTE_PGM_RSRC3_GFX90A:ACCUM_OFFSET: 4
; COMPUTE_PGM_RSRC3_GFX90A:TG_SPLIT: 0
	.section	.text._ZN9rocsparseL21csrmvt_general_kernelILj256ELj8EliaaffEEvbbT2_NS_24const_host_device_scalarIT6_EEPKT1_S7_PKS1_PKT3_PKT4_PT5_21rocsparse_index_base_b,"axG",@progbits,_ZN9rocsparseL21csrmvt_general_kernelILj256ELj8EliaaffEEvbbT2_NS_24const_host_device_scalarIT6_EEPKT1_S7_PKS1_PKT3_PKT4_PT5_21rocsparse_index_base_b,comdat
	.globl	_ZN9rocsparseL21csrmvt_general_kernelILj256ELj8EliaaffEEvbbT2_NS_24const_host_device_scalarIT6_EEPKT1_S7_PKS1_PKT3_PKT4_PT5_21rocsparse_index_base_b ; -- Begin function _ZN9rocsparseL21csrmvt_general_kernelILj256ELj8EliaaffEEvbbT2_NS_24const_host_device_scalarIT6_EEPKT1_S7_PKS1_PKT3_PKT4_PT5_21rocsparse_index_base_b
	.p2align	8
	.type	_ZN9rocsparseL21csrmvt_general_kernelILj256ELj8EliaaffEEvbbT2_NS_24const_host_device_scalarIT6_EEPKT1_S7_PKS1_PKT3_PKT4_PT5_21rocsparse_index_base_b,@function
_ZN9rocsparseL21csrmvt_general_kernelILj256ELj8EliaaffEEvbbT2_NS_24const_host_device_scalarIT6_EEPKT1_S7_PKS1_PKT3_PKT4_PT5_21rocsparse_index_base_b: ; @_ZN9rocsparseL21csrmvt_general_kernelILj256ELj8EliaaffEEvbbT2_NS_24const_host_device_scalarIT6_EEPKT1_S7_PKS1_PKT3_PKT4_PT5_21rocsparse_index_base_b
; %bb.0:
	s_load_dwordx2 s[2:3], s[4:5], 0x40
	s_load_dwordx4 s[16:19], s[4:5], 0x8
	s_waitcnt lgkmcnt(0)
	s_bitcmp1_b32 s3, 0
	s_cselect_b64 s[0:1], -1, 0
	s_and_b64 vcc, exec, s[0:1]
	s_cbranch_vccnz .LBB183_2
; %bb.1:
	s_load_dword s16, s[16:17], 0x0
.LBB183_2:
	s_waitcnt lgkmcnt(0)
	v_cmp_eq_f32_e64 s[0:1], s16, 0
	s_and_b64 vcc, exec, s[0:1]
	s_cbranch_vccnz .LBB183_23
; %bb.3:
	s_load_dwordx2 s[20:21], s[4:5], 0x0
	s_load_dword s0, s[4:5], 0x48
	s_load_dwordx2 s[22:23], s[4:5], 0x38
	s_load_dwordx8 s[8:15], s[4:5], 0x18
	v_and_b32_e32 v1, 7, v0
	v_lshl_or_b32 v0, s6, 8, v0
	s_waitcnt lgkmcnt(0)
	s_and_b32 s1, s20, 1
	s_lshl_b32 s3, s0, 5
	v_lshrrev_b32_e32 v0, 3, v0
	s_cmp_eq_u32 s1, 0
	v_cmp_gt_i32_e64 s[0:1], s21, v0
	s_mov_b64 s[4:5], -1
	s_cbranch_scc0 .LBB183_13
; %bb.4:
	s_and_saveexec_b64 s[4:5], s[0:1]
	s_cbranch_execz .LBB183_12
; %bb.5:
	v_subrev_co_u32_e32 v12, vcc, s2, v1
	s_mov_b32 s17, 0
	v_subb_co_u32_e64 v13, s[6:7], 0, 0, vcc
	s_mov_b64 s[6:7], 0
	v_mov_b32_e32 v14, s19
	v_mov_b32_e32 v15, s9
	;; [unrolled: 1-line block ×4, first 2 shown]
	s_branch .LBB183_7
.LBB183_6:                              ;   in Loop: Header=BB183_7 Depth=1
	s_or_b64 exec, exec, s[24:25]
	v_add_u32_e32 v2, s3, v2
	v_cmp_le_i32_e32 vcc, s21, v2
	s_or_b64 s[6:7], vcc, s[6:7]
	s_andn2_b64 exec, exec, s[6:7]
	s_cbranch_execz .LBB183_12
.LBB183_7:                              ; =>This Loop Header: Depth=1
                                        ;     Child Loop BB183_9 Depth 2
                                        ;       Child Loop BB183_10 Depth 3
	v_ashrrev_i32_e32 v3, 31, v2
	v_lshlrev_b64 v[4:5], 3, v[2:3]
	v_add_co_u32_e32 v6, vcc, s8, v4
	v_addc_co_u32_e32 v7, vcc, v15, v5, vcc
	global_load_dwordx2 v[6:7], v[6:7], off
	v_add_co_u32_e32 v4, vcc, s18, v4
	v_addc_co_u32_e32 v5, vcc, v14, v5, vcc
	global_load_dwordx2 v[8:9], v[4:5], off
	s_waitcnt vmcnt(1)
	v_subrev_co_u32_e32 v4, vcc, s2, v6
	v_subb_co_u32_e32 v5, vcc, v7, v16, vcc
	s_waitcnt vmcnt(0)
	v_add_co_u32_e32 v6, vcc, v8, v12
	v_addc_co_u32_e32 v7, vcc, v9, v13, vcc
	v_cmp_lt_i64_e32 vcc, v[6:7], v[4:5]
	s_and_saveexec_b64 s[24:25], vcc
	s_cbranch_execz .LBB183_6
; %bb.8:                                ;   in Loop: Header=BB183_7 Depth=1
	v_mov_b32_e32 v9, s15
	v_add_co_u32_e32 v8, vcc, s14, v2
	v_addc_co_u32_e32 v9, vcc, v9, v3, vcc
	global_load_sbyte v3, v[8:9], off
	s_mov_b64 s[26:27], 0
	s_waitcnt vmcnt(0)
	v_cvt_f32_i32_e32 v3, v3
	v_mul_f32_e32 v3, s16, v3
.LBB183_9:                              ;   Parent Loop BB183_7 Depth=1
                                        ; =>  This Loop Header: Depth=2
                                        ;       Child Loop BB183_10 Depth 3
	v_lshlrev_b64 v[8:9], 2, v[6:7]
	v_mov_b32_e32 v10, s11
	v_add_co_u32_e32 v8, vcc, s10, v8
	v_addc_co_u32_e32 v9, vcc, v10, v9, vcc
	global_load_dword v10, v[8:9], off
	v_mov_b32_e32 v9, s13
	v_add_co_u32_e32 v8, vcc, s12, v6
	v_addc_co_u32_e32 v9, vcc, v9, v7, vcc
	global_load_sbyte v17, v[8:9], off
	v_mov_b32_e32 v11, s23
	s_mov_b64 s[28:29], 0
	s_waitcnt vmcnt(1)
	v_subrev_u32_e32 v8, s2, v10
	v_ashrrev_i32_e32 v9, 31, v8
	v_lshlrev_b64 v[8:9], 2, v[8:9]
	v_add_co_u32_e32 v8, vcc, s22, v8
	v_addc_co_u32_e32 v9, vcc, v11, v9, vcc
	global_load_dword v11, v[8:9], off
	s_waitcnt vmcnt(1)
	v_cvt_f32_i32_e32 v10, v17
	v_mul_f32_e32 v17, v3, v10
.LBB183_10:                             ;   Parent Loop BB183_7 Depth=1
                                        ;     Parent Loop BB183_9 Depth=2
                                        ; =>    This Inner Loop Header: Depth=3
	s_waitcnt vmcnt(0)
	v_add_f32_e32 v10, v11, v17
	global_atomic_cmpswap v10, v[8:9], v[10:11], off glc
	s_waitcnt vmcnt(0)
	v_cmp_eq_u32_e32 vcc, v10, v11
	s_or_b64 s[28:29], vcc, s[28:29]
	v_mov_b32_e32 v11, v10
	s_andn2_b64 exec, exec, s[28:29]
	s_cbranch_execnz .LBB183_10
; %bb.11:                               ;   in Loop: Header=BB183_9 Depth=2
	s_or_b64 exec, exec, s[28:29]
	v_add_co_u32_e32 v6, vcc, 8, v6
	v_addc_co_u32_e32 v7, vcc, 0, v7, vcc
	v_cmp_ge_i64_e32 vcc, v[6:7], v[4:5]
	s_or_b64 s[26:27], vcc, s[26:27]
	s_andn2_b64 exec, exec, s[26:27]
	s_cbranch_execnz .LBB183_9
	s_branch .LBB183_6
.LBB183_12:
	s_or_b64 exec, exec, s[4:5]
	s_mov_b64 s[4:5], 0
.LBB183_13:
	s_andn2_b64 vcc, exec, s[4:5]
	s_cbranch_vccnz .LBB183_23
; %bb.14:
	s_and_saveexec_b64 s[4:5], s[0:1]
	s_cbranch_execz .LBB183_23
; %bb.15:
	v_subrev_co_u32_e32 v10, vcc, s2, v1
	s_mov_b32 s4, 0
	v_subb_co_u32_e64 v11, s[0:1], 0, 0, vcc
	s_mov_b64 s[0:1], 0
	v_mov_b32_e32 v12, s19
	v_mov_b32_e32 v13, s9
	;; [unrolled: 1-line block ×3, first 2 shown]
	s_branch .LBB183_17
.LBB183_16:                             ;   in Loop: Header=BB183_17 Depth=1
	s_or_b64 exec, exec, s[4:5]
	v_add_u32_e32 v0, s3, v0
	v_cmp_le_i32_e32 vcc, s21, v0
	s_or_b64 s[0:1], vcc, s[0:1]
	s_andn2_b64 exec, exec, s[0:1]
	s_cbranch_execz .LBB183_23
.LBB183_17:                             ; =>This Loop Header: Depth=1
                                        ;     Child Loop BB183_20 Depth 2
                                        ;       Child Loop BB183_22 Depth 3
	v_ashrrev_i32_e32 v1, 31, v0
	v_lshlrev_b64 v[2:3], 3, v[0:1]
	v_add_co_u32_e32 v4, vcc, s8, v2
	v_addc_co_u32_e32 v5, vcc, v13, v3, vcc
	global_load_dwordx2 v[4:5], v[4:5], off
	v_add_co_u32_e32 v2, vcc, s18, v2
	v_addc_co_u32_e32 v3, vcc, v12, v3, vcc
	global_load_dwordx2 v[6:7], v[2:3], off
	s_waitcnt vmcnt(1)
	v_subrev_co_u32_e32 v2, vcc, s2, v4
	v_subb_co_u32_e32 v3, vcc, v5, v14, vcc
	s_waitcnt vmcnt(0)
	v_add_co_u32_e32 v4, vcc, v6, v10
	v_addc_co_u32_e32 v5, vcc, v7, v11, vcc
	v_cmp_lt_i64_e32 vcc, v[4:5], v[2:3]
	s_and_saveexec_b64 s[4:5], vcc
	s_cbranch_execz .LBB183_16
; %bb.18:                               ;   in Loop: Header=BB183_17 Depth=1
	v_mov_b32_e32 v7, s15
	v_add_co_u32_e32 v6, vcc, s14, v0
	v_addc_co_u32_e32 v7, vcc, v7, v1, vcc
	global_load_sbyte v1, v[6:7], off
	s_mov_b64 s[6:7], 0
	s_waitcnt vmcnt(0)
	v_cvt_f32_i32_e32 v1, v1
	v_mul_f32_e32 v1, s16, v1
	s_branch .LBB183_20
.LBB183_19:                             ;   in Loop: Header=BB183_20 Depth=2
	s_or_b64 exec, exec, s[24:25]
	v_add_co_u32_e32 v4, vcc, 8, v4
	v_addc_co_u32_e32 v5, vcc, 0, v5, vcc
	v_cmp_ge_i64_e32 vcc, v[4:5], v[2:3]
	s_or_b64 s[6:7], vcc, s[6:7]
	s_andn2_b64 exec, exec, s[6:7]
	s_cbranch_execz .LBB183_16
.LBB183_20:                             ;   Parent Loop BB183_17 Depth=1
                                        ; =>  This Loop Header: Depth=2
                                        ;       Child Loop BB183_22 Depth 3
	v_lshlrev_b64 v[6:7], 2, v[4:5]
	v_mov_b32_e32 v8, s11
	v_add_co_u32_e32 v6, vcc, s10, v6
	v_addc_co_u32_e32 v7, vcc, v8, v7, vcc
	global_load_dword v6, v[6:7], off
	s_waitcnt vmcnt(0)
	v_subrev_u32_e32 v6, s2, v6
	v_cmp_ne_u32_e32 vcc, v6, v0
	s_and_saveexec_b64 s[24:25], vcc
	s_cbranch_execz .LBB183_19
; %bb.21:                               ;   in Loop: Header=BB183_20 Depth=2
	v_mov_b32_e32 v7, s13
	v_add_co_u32_e32 v8, vcc, s12, v4
	v_addc_co_u32_e32 v9, vcc, v7, v5, vcc
	global_load_sbyte v8, v[8:9], off
	v_ashrrev_i32_e32 v7, 31, v6
	v_lshlrev_b64 v[6:7], 2, v[6:7]
	v_mov_b32_e32 v9, s23
	v_add_co_u32_e32 v6, vcc, s22, v6
	v_addc_co_u32_e32 v7, vcc, v9, v7, vcc
	global_load_dword v9, v[6:7], off
	s_mov_b64 s[26:27], 0
	s_waitcnt vmcnt(1)
	v_cvt_f32_i32_e32 v8, v8
	v_mul_f32_e32 v15, v1, v8
.LBB183_22:                             ;   Parent Loop BB183_17 Depth=1
                                        ;     Parent Loop BB183_20 Depth=2
                                        ; =>    This Inner Loop Header: Depth=3
	s_waitcnt vmcnt(0)
	v_add_f32_e32 v8, v9, v15
	global_atomic_cmpswap v8, v[6:7], v[8:9], off glc
	s_waitcnt vmcnt(0)
	v_cmp_eq_u32_e32 vcc, v8, v9
	s_or_b64 s[26:27], vcc, s[26:27]
	v_mov_b32_e32 v9, v8
	s_andn2_b64 exec, exec, s[26:27]
	s_cbranch_execnz .LBB183_22
	s_branch .LBB183_19
.LBB183_23:
	s_endpgm
	.section	.rodata,"a",@progbits
	.p2align	6, 0x0
	.amdhsa_kernel _ZN9rocsparseL21csrmvt_general_kernelILj256ELj8EliaaffEEvbbT2_NS_24const_host_device_scalarIT6_EEPKT1_S7_PKS1_PKT3_PKT4_PT5_21rocsparse_index_base_b
		.amdhsa_group_segment_fixed_size 0
		.amdhsa_private_segment_fixed_size 0
		.amdhsa_kernarg_size 328
		.amdhsa_user_sgpr_count 6
		.amdhsa_user_sgpr_private_segment_buffer 1
		.amdhsa_user_sgpr_dispatch_ptr 0
		.amdhsa_user_sgpr_queue_ptr 0
		.amdhsa_user_sgpr_kernarg_segment_ptr 1
		.amdhsa_user_sgpr_dispatch_id 0
		.amdhsa_user_sgpr_flat_scratch_init 0
		.amdhsa_user_sgpr_kernarg_preload_length 0
		.amdhsa_user_sgpr_kernarg_preload_offset 0
		.amdhsa_user_sgpr_private_segment_size 0
		.amdhsa_uses_dynamic_stack 0
		.amdhsa_system_sgpr_private_segment_wavefront_offset 0
		.amdhsa_system_sgpr_workgroup_id_x 1
		.amdhsa_system_sgpr_workgroup_id_y 0
		.amdhsa_system_sgpr_workgroup_id_z 0
		.amdhsa_system_sgpr_workgroup_info 0
		.amdhsa_system_vgpr_workitem_id 0
		.amdhsa_next_free_vgpr 18
		.amdhsa_next_free_sgpr 30
		.amdhsa_accum_offset 20
		.amdhsa_reserve_vcc 1
		.amdhsa_reserve_flat_scratch 0
		.amdhsa_float_round_mode_32 0
		.amdhsa_float_round_mode_16_64 0
		.amdhsa_float_denorm_mode_32 3
		.amdhsa_float_denorm_mode_16_64 3
		.amdhsa_dx10_clamp 1
		.amdhsa_ieee_mode 1
		.amdhsa_fp16_overflow 0
		.amdhsa_tg_split 0
		.amdhsa_exception_fp_ieee_invalid_op 0
		.amdhsa_exception_fp_denorm_src 0
		.amdhsa_exception_fp_ieee_div_zero 0
		.amdhsa_exception_fp_ieee_overflow 0
		.amdhsa_exception_fp_ieee_underflow 0
		.amdhsa_exception_fp_ieee_inexact 0
		.amdhsa_exception_int_div_zero 0
	.end_amdhsa_kernel
	.section	.text._ZN9rocsparseL21csrmvt_general_kernelILj256ELj8EliaaffEEvbbT2_NS_24const_host_device_scalarIT6_EEPKT1_S7_PKS1_PKT3_PKT4_PT5_21rocsparse_index_base_b,"axG",@progbits,_ZN9rocsparseL21csrmvt_general_kernelILj256ELj8EliaaffEEvbbT2_NS_24const_host_device_scalarIT6_EEPKT1_S7_PKS1_PKT3_PKT4_PT5_21rocsparse_index_base_b,comdat
.Lfunc_end183:
	.size	_ZN9rocsparseL21csrmvt_general_kernelILj256ELj8EliaaffEEvbbT2_NS_24const_host_device_scalarIT6_EEPKT1_S7_PKS1_PKT3_PKT4_PT5_21rocsparse_index_base_b, .Lfunc_end183-_ZN9rocsparseL21csrmvt_general_kernelILj256ELj8EliaaffEEvbbT2_NS_24const_host_device_scalarIT6_EEPKT1_S7_PKS1_PKT3_PKT4_PT5_21rocsparse_index_base_b
                                        ; -- End function
	.section	.AMDGPU.csdata,"",@progbits
; Kernel info:
; codeLenInByte = 904
; NumSgprs: 34
; NumVgprs: 18
; NumAgprs: 0
; TotalNumVgprs: 18
; ScratchSize: 0
; MemoryBound: 0
; FloatMode: 240
; IeeeMode: 1
; LDSByteSize: 0 bytes/workgroup (compile time only)
; SGPRBlocks: 4
; VGPRBlocks: 2
; NumSGPRsForWavesPerEU: 34
; NumVGPRsForWavesPerEU: 18
; AccumOffset: 20
; Occupancy: 8
; WaveLimiterHint : 1
; COMPUTE_PGM_RSRC2:SCRATCH_EN: 0
; COMPUTE_PGM_RSRC2:USER_SGPR: 6
; COMPUTE_PGM_RSRC2:TRAP_HANDLER: 0
; COMPUTE_PGM_RSRC2:TGID_X_EN: 1
; COMPUTE_PGM_RSRC2:TGID_Y_EN: 0
; COMPUTE_PGM_RSRC2:TGID_Z_EN: 0
; COMPUTE_PGM_RSRC2:TIDIG_COMP_CNT: 0
; COMPUTE_PGM_RSRC3_GFX90A:ACCUM_OFFSET: 4
; COMPUTE_PGM_RSRC3_GFX90A:TG_SPLIT: 0
	.section	.text._ZN9rocsparseL21csrmvt_general_kernelILj256ELj16EliaaffEEvbbT2_NS_24const_host_device_scalarIT6_EEPKT1_S7_PKS1_PKT3_PKT4_PT5_21rocsparse_index_base_b,"axG",@progbits,_ZN9rocsparseL21csrmvt_general_kernelILj256ELj16EliaaffEEvbbT2_NS_24const_host_device_scalarIT6_EEPKT1_S7_PKS1_PKT3_PKT4_PT5_21rocsparse_index_base_b,comdat
	.globl	_ZN9rocsparseL21csrmvt_general_kernelILj256ELj16EliaaffEEvbbT2_NS_24const_host_device_scalarIT6_EEPKT1_S7_PKS1_PKT3_PKT4_PT5_21rocsparse_index_base_b ; -- Begin function _ZN9rocsparseL21csrmvt_general_kernelILj256ELj16EliaaffEEvbbT2_NS_24const_host_device_scalarIT6_EEPKT1_S7_PKS1_PKT3_PKT4_PT5_21rocsparse_index_base_b
	.p2align	8
	.type	_ZN9rocsparseL21csrmvt_general_kernelILj256ELj16EliaaffEEvbbT2_NS_24const_host_device_scalarIT6_EEPKT1_S7_PKS1_PKT3_PKT4_PT5_21rocsparse_index_base_b,@function
_ZN9rocsparseL21csrmvt_general_kernelILj256ELj16EliaaffEEvbbT2_NS_24const_host_device_scalarIT6_EEPKT1_S7_PKS1_PKT3_PKT4_PT5_21rocsparse_index_base_b: ; @_ZN9rocsparseL21csrmvt_general_kernelILj256ELj16EliaaffEEvbbT2_NS_24const_host_device_scalarIT6_EEPKT1_S7_PKS1_PKT3_PKT4_PT5_21rocsparse_index_base_b
; %bb.0:
	s_load_dwordx2 s[2:3], s[4:5], 0x40
	s_load_dwordx4 s[16:19], s[4:5], 0x8
	s_waitcnt lgkmcnt(0)
	s_bitcmp1_b32 s3, 0
	s_cselect_b64 s[0:1], -1, 0
	s_and_b64 vcc, exec, s[0:1]
	s_cbranch_vccnz .LBB184_2
; %bb.1:
	s_load_dword s16, s[16:17], 0x0
.LBB184_2:
	s_waitcnt lgkmcnt(0)
	v_cmp_eq_f32_e64 s[0:1], s16, 0
	s_and_b64 vcc, exec, s[0:1]
	s_cbranch_vccnz .LBB184_23
; %bb.3:
	s_load_dwordx2 s[20:21], s[4:5], 0x0
	s_load_dword s0, s[4:5], 0x48
	s_load_dwordx2 s[22:23], s[4:5], 0x38
	s_load_dwordx8 s[8:15], s[4:5], 0x18
	v_and_b32_e32 v1, 15, v0
	v_lshl_or_b32 v0, s6, 8, v0
	s_waitcnt lgkmcnt(0)
	s_and_b32 s1, s20, 1
	s_lshl_b32 s3, s0, 4
	v_lshrrev_b32_e32 v0, 4, v0
	s_cmp_eq_u32 s1, 0
	v_cmp_gt_i32_e64 s[0:1], s21, v0
	s_mov_b64 s[4:5], -1
	s_cbranch_scc0 .LBB184_13
; %bb.4:
	s_and_saveexec_b64 s[4:5], s[0:1]
	s_cbranch_execz .LBB184_12
; %bb.5:
	v_subrev_co_u32_e32 v12, vcc, s2, v1
	s_mov_b32 s17, 0
	v_subb_co_u32_e64 v13, s[6:7], 0, 0, vcc
	s_mov_b64 s[6:7], 0
	v_mov_b32_e32 v14, s19
	v_mov_b32_e32 v15, s9
	;; [unrolled: 1-line block ×4, first 2 shown]
	s_branch .LBB184_7
.LBB184_6:                              ;   in Loop: Header=BB184_7 Depth=1
	s_or_b64 exec, exec, s[24:25]
	v_add_u32_e32 v2, s3, v2
	v_cmp_le_i32_e32 vcc, s21, v2
	s_or_b64 s[6:7], vcc, s[6:7]
	s_andn2_b64 exec, exec, s[6:7]
	s_cbranch_execz .LBB184_12
.LBB184_7:                              ; =>This Loop Header: Depth=1
                                        ;     Child Loop BB184_9 Depth 2
                                        ;       Child Loop BB184_10 Depth 3
	v_ashrrev_i32_e32 v3, 31, v2
	v_lshlrev_b64 v[4:5], 3, v[2:3]
	v_add_co_u32_e32 v6, vcc, s8, v4
	v_addc_co_u32_e32 v7, vcc, v15, v5, vcc
	global_load_dwordx2 v[6:7], v[6:7], off
	v_add_co_u32_e32 v4, vcc, s18, v4
	v_addc_co_u32_e32 v5, vcc, v14, v5, vcc
	global_load_dwordx2 v[8:9], v[4:5], off
	s_waitcnt vmcnt(1)
	v_subrev_co_u32_e32 v4, vcc, s2, v6
	v_subb_co_u32_e32 v5, vcc, v7, v16, vcc
	s_waitcnt vmcnt(0)
	v_add_co_u32_e32 v6, vcc, v8, v12
	v_addc_co_u32_e32 v7, vcc, v9, v13, vcc
	v_cmp_lt_i64_e32 vcc, v[6:7], v[4:5]
	s_and_saveexec_b64 s[24:25], vcc
	s_cbranch_execz .LBB184_6
; %bb.8:                                ;   in Loop: Header=BB184_7 Depth=1
	v_mov_b32_e32 v9, s15
	v_add_co_u32_e32 v8, vcc, s14, v2
	v_addc_co_u32_e32 v9, vcc, v9, v3, vcc
	global_load_sbyte v3, v[8:9], off
	s_mov_b64 s[26:27], 0
	s_waitcnt vmcnt(0)
	v_cvt_f32_i32_e32 v3, v3
	v_mul_f32_e32 v3, s16, v3
.LBB184_9:                              ;   Parent Loop BB184_7 Depth=1
                                        ; =>  This Loop Header: Depth=2
                                        ;       Child Loop BB184_10 Depth 3
	v_lshlrev_b64 v[8:9], 2, v[6:7]
	v_mov_b32_e32 v10, s11
	v_add_co_u32_e32 v8, vcc, s10, v8
	v_addc_co_u32_e32 v9, vcc, v10, v9, vcc
	global_load_dword v10, v[8:9], off
	v_mov_b32_e32 v9, s13
	v_add_co_u32_e32 v8, vcc, s12, v6
	v_addc_co_u32_e32 v9, vcc, v9, v7, vcc
	global_load_sbyte v17, v[8:9], off
	v_mov_b32_e32 v11, s23
	s_mov_b64 s[28:29], 0
	s_waitcnt vmcnt(1)
	v_subrev_u32_e32 v8, s2, v10
	v_ashrrev_i32_e32 v9, 31, v8
	v_lshlrev_b64 v[8:9], 2, v[8:9]
	v_add_co_u32_e32 v8, vcc, s22, v8
	v_addc_co_u32_e32 v9, vcc, v11, v9, vcc
	global_load_dword v11, v[8:9], off
	s_waitcnt vmcnt(1)
	v_cvt_f32_i32_e32 v10, v17
	v_mul_f32_e32 v17, v3, v10
.LBB184_10:                             ;   Parent Loop BB184_7 Depth=1
                                        ;     Parent Loop BB184_9 Depth=2
                                        ; =>    This Inner Loop Header: Depth=3
	s_waitcnt vmcnt(0)
	v_add_f32_e32 v10, v11, v17
	global_atomic_cmpswap v10, v[8:9], v[10:11], off glc
	s_waitcnt vmcnt(0)
	v_cmp_eq_u32_e32 vcc, v10, v11
	s_or_b64 s[28:29], vcc, s[28:29]
	v_mov_b32_e32 v11, v10
	s_andn2_b64 exec, exec, s[28:29]
	s_cbranch_execnz .LBB184_10
; %bb.11:                               ;   in Loop: Header=BB184_9 Depth=2
	s_or_b64 exec, exec, s[28:29]
	v_add_co_u32_e32 v6, vcc, 16, v6
	v_addc_co_u32_e32 v7, vcc, 0, v7, vcc
	v_cmp_ge_i64_e32 vcc, v[6:7], v[4:5]
	s_or_b64 s[26:27], vcc, s[26:27]
	s_andn2_b64 exec, exec, s[26:27]
	s_cbranch_execnz .LBB184_9
	s_branch .LBB184_6
.LBB184_12:
	s_or_b64 exec, exec, s[4:5]
	s_mov_b64 s[4:5], 0
.LBB184_13:
	s_andn2_b64 vcc, exec, s[4:5]
	s_cbranch_vccnz .LBB184_23
; %bb.14:
	s_and_saveexec_b64 s[4:5], s[0:1]
	s_cbranch_execz .LBB184_23
; %bb.15:
	v_subrev_co_u32_e32 v10, vcc, s2, v1
	s_mov_b32 s4, 0
	v_subb_co_u32_e64 v11, s[0:1], 0, 0, vcc
	s_mov_b64 s[0:1], 0
	v_mov_b32_e32 v12, s19
	v_mov_b32_e32 v13, s9
	v_mov_b32_e32 v14, s4
	s_branch .LBB184_17
.LBB184_16:                             ;   in Loop: Header=BB184_17 Depth=1
	s_or_b64 exec, exec, s[4:5]
	v_add_u32_e32 v0, s3, v0
	v_cmp_le_i32_e32 vcc, s21, v0
	s_or_b64 s[0:1], vcc, s[0:1]
	s_andn2_b64 exec, exec, s[0:1]
	s_cbranch_execz .LBB184_23
.LBB184_17:                             ; =>This Loop Header: Depth=1
                                        ;     Child Loop BB184_20 Depth 2
                                        ;       Child Loop BB184_22 Depth 3
	v_ashrrev_i32_e32 v1, 31, v0
	v_lshlrev_b64 v[2:3], 3, v[0:1]
	v_add_co_u32_e32 v4, vcc, s8, v2
	v_addc_co_u32_e32 v5, vcc, v13, v3, vcc
	global_load_dwordx2 v[4:5], v[4:5], off
	v_add_co_u32_e32 v2, vcc, s18, v2
	v_addc_co_u32_e32 v3, vcc, v12, v3, vcc
	global_load_dwordx2 v[6:7], v[2:3], off
	s_waitcnt vmcnt(1)
	v_subrev_co_u32_e32 v2, vcc, s2, v4
	v_subb_co_u32_e32 v3, vcc, v5, v14, vcc
	s_waitcnt vmcnt(0)
	v_add_co_u32_e32 v4, vcc, v6, v10
	v_addc_co_u32_e32 v5, vcc, v7, v11, vcc
	v_cmp_lt_i64_e32 vcc, v[4:5], v[2:3]
	s_and_saveexec_b64 s[4:5], vcc
	s_cbranch_execz .LBB184_16
; %bb.18:                               ;   in Loop: Header=BB184_17 Depth=1
	v_mov_b32_e32 v7, s15
	v_add_co_u32_e32 v6, vcc, s14, v0
	v_addc_co_u32_e32 v7, vcc, v7, v1, vcc
	global_load_sbyte v1, v[6:7], off
	s_mov_b64 s[6:7], 0
	s_waitcnt vmcnt(0)
	v_cvt_f32_i32_e32 v1, v1
	v_mul_f32_e32 v1, s16, v1
	s_branch .LBB184_20
.LBB184_19:                             ;   in Loop: Header=BB184_20 Depth=2
	s_or_b64 exec, exec, s[24:25]
	v_add_co_u32_e32 v4, vcc, 16, v4
	v_addc_co_u32_e32 v5, vcc, 0, v5, vcc
	v_cmp_ge_i64_e32 vcc, v[4:5], v[2:3]
	s_or_b64 s[6:7], vcc, s[6:7]
	s_andn2_b64 exec, exec, s[6:7]
	s_cbranch_execz .LBB184_16
.LBB184_20:                             ;   Parent Loop BB184_17 Depth=1
                                        ; =>  This Loop Header: Depth=2
                                        ;       Child Loop BB184_22 Depth 3
	v_lshlrev_b64 v[6:7], 2, v[4:5]
	v_mov_b32_e32 v8, s11
	v_add_co_u32_e32 v6, vcc, s10, v6
	v_addc_co_u32_e32 v7, vcc, v8, v7, vcc
	global_load_dword v6, v[6:7], off
	s_waitcnt vmcnt(0)
	v_subrev_u32_e32 v6, s2, v6
	v_cmp_ne_u32_e32 vcc, v6, v0
	s_and_saveexec_b64 s[24:25], vcc
	s_cbranch_execz .LBB184_19
; %bb.21:                               ;   in Loop: Header=BB184_20 Depth=2
	v_mov_b32_e32 v7, s13
	v_add_co_u32_e32 v8, vcc, s12, v4
	v_addc_co_u32_e32 v9, vcc, v7, v5, vcc
	global_load_sbyte v8, v[8:9], off
	v_ashrrev_i32_e32 v7, 31, v6
	v_lshlrev_b64 v[6:7], 2, v[6:7]
	v_mov_b32_e32 v9, s23
	v_add_co_u32_e32 v6, vcc, s22, v6
	v_addc_co_u32_e32 v7, vcc, v9, v7, vcc
	global_load_dword v9, v[6:7], off
	s_mov_b64 s[26:27], 0
	s_waitcnt vmcnt(1)
	v_cvt_f32_i32_e32 v8, v8
	v_mul_f32_e32 v15, v1, v8
.LBB184_22:                             ;   Parent Loop BB184_17 Depth=1
                                        ;     Parent Loop BB184_20 Depth=2
                                        ; =>    This Inner Loop Header: Depth=3
	s_waitcnt vmcnt(0)
	v_add_f32_e32 v8, v9, v15
	global_atomic_cmpswap v8, v[6:7], v[8:9], off glc
	s_waitcnt vmcnt(0)
	v_cmp_eq_u32_e32 vcc, v8, v9
	s_or_b64 s[26:27], vcc, s[26:27]
	v_mov_b32_e32 v9, v8
	s_andn2_b64 exec, exec, s[26:27]
	s_cbranch_execnz .LBB184_22
	s_branch .LBB184_19
.LBB184_23:
	s_endpgm
	.section	.rodata,"a",@progbits
	.p2align	6, 0x0
	.amdhsa_kernel _ZN9rocsparseL21csrmvt_general_kernelILj256ELj16EliaaffEEvbbT2_NS_24const_host_device_scalarIT6_EEPKT1_S7_PKS1_PKT3_PKT4_PT5_21rocsparse_index_base_b
		.amdhsa_group_segment_fixed_size 0
		.amdhsa_private_segment_fixed_size 0
		.amdhsa_kernarg_size 328
		.amdhsa_user_sgpr_count 6
		.amdhsa_user_sgpr_private_segment_buffer 1
		.amdhsa_user_sgpr_dispatch_ptr 0
		.amdhsa_user_sgpr_queue_ptr 0
		.amdhsa_user_sgpr_kernarg_segment_ptr 1
		.amdhsa_user_sgpr_dispatch_id 0
		.amdhsa_user_sgpr_flat_scratch_init 0
		.amdhsa_user_sgpr_kernarg_preload_length 0
		.amdhsa_user_sgpr_kernarg_preload_offset 0
		.amdhsa_user_sgpr_private_segment_size 0
		.amdhsa_uses_dynamic_stack 0
		.amdhsa_system_sgpr_private_segment_wavefront_offset 0
		.amdhsa_system_sgpr_workgroup_id_x 1
		.amdhsa_system_sgpr_workgroup_id_y 0
		.amdhsa_system_sgpr_workgroup_id_z 0
		.amdhsa_system_sgpr_workgroup_info 0
		.amdhsa_system_vgpr_workitem_id 0
		.amdhsa_next_free_vgpr 18
		.amdhsa_next_free_sgpr 30
		.amdhsa_accum_offset 20
		.amdhsa_reserve_vcc 1
		.amdhsa_reserve_flat_scratch 0
		.amdhsa_float_round_mode_32 0
		.amdhsa_float_round_mode_16_64 0
		.amdhsa_float_denorm_mode_32 3
		.amdhsa_float_denorm_mode_16_64 3
		.amdhsa_dx10_clamp 1
		.amdhsa_ieee_mode 1
		.amdhsa_fp16_overflow 0
		.amdhsa_tg_split 0
		.amdhsa_exception_fp_ieee_invalid_op 0
		.amdhsa_exception_fp_denorm_src 0
		.amdhsa_exception_fp_ieee_div_zero 0
		.amdhsa_exception_fp_ieee_overflow 0
		.amdhsa_exception_fp_ieee_underflow 0
		.amdhsa_exception_fp_ieee_inexact 0
		.amdhsa_exception_int_div_zero 0
	.end_amdhsa_kernel
	.section	.text._ZN9rocsparseL21csrmvt_general_kernelILj256ELj16EliaaffEEvbbT2_NS_24const_host_device_scalarIT6_EEPKT1_S7_PKS1_PKT3_PKT4_PT5_21rocsparse_index_base_b,"axG",@progbits,_ZN9rocsparseL21csrmvt_general_kernelILj256ELj16EliaaffEEvbbT2_NS_24const_host_device_scalarIT6_EEPKT1_S7_PKS1_PKT3_PKT4_PT5_21rocsparse_index_base_b,comdat
.Lfunc_end184:
	.size	_ZN9rocsparseL21csrmvt_general_kernelILj256ELj16EliaaffEEvbbT2_NS_24const_host_device_scalarIT6_EEPKT1_S7_PKS1_PKT3_PKT4_PT5_21rocsparse_index_base_b, .Lfunc_end184-_ZN9rocsparseL21csrmvt_general_kernelILj256ELj16EliaaffEEvbbT2_NS_24const_host_device_scalarIT6_EEPKT1_S7_PKS1_PKT3_PKT4_PT5_21rocsparse_index_base_b
                                        ; -- End function
	.section	.AMDGPU.csdata,"",@progbits
; Kernel info:
; codeLenInByte = 904
; NumSgprs: 34
; NumVgprs: 18
; NumAgprs: 0
; TotalNumVgprs: 18
; ScratchSize: 0
; MemoryBound: 0
; FloatMode: 240
; IeeeMode: 1
; LDSByteSize: 0 bytes/workgroup (compile time only)
; SGPRBlocks: 4
; VGPRBlocks: 2
; NumSGPRsForWavesPerEU: 34
; NumVGPRsForWavesPerEU: 18
; AccumOffset: 20
; Occupancy: 8
; WaveLimiterHint : 1
; COMPUTE_PGM_RSRC2:SCRATCH_EN: 0
; COMPUTE_PGM_RSRC2:USER_SGPR: 6
; COMPUTE_PGM_RSRC2:TRAP_HANDLER: 0
; COMPUTE_PGM_RSRC2:TGID_X_EN: 1
; COMPUTE_PGM_RSRC2:TGID_Y_EN: 0
; COMPUTE_PGM_RSRC2:TGID_Z_EN: 0
; COMPUTE_PGM_RSRC2:TIDIG_COMP_CNT: 0
; COMPUTE_PGM_RSRC3_GFX90A:ACCUM_OFFSET: 4
; COMPUTE_PGM_RSRC3_GFX90A:TG_SPLIT: 0
	.section	.text._ZN9rocsparseL21csrmvt_general_kernelILj256ELj32EliaaffEEvbbT2_NS_24const_host_device_scalarIT6_EEPKT1_S7_PKS1_PKT3_PKT4_PT5_21rocsparse_index_base_b,"axG",@progbits,_ZN9rocsparseL21csrmvt_general_kernelILj256ELj32EliaaffEEvbbT2_NS_24const_host_device_scalarIT6_EEPKT1_S7_PKS1_PKT3_PKT4_PT5_21rocsparse_index_base_b,comdat
	.globl	_ZN9rocsparseL21csrmvt_general_kernelILj256ELj32EliaaffEEvbbT2_NS_24const_host_device_scalarIT6_EEPKT1_S7_PKS1_PKT3_PKT4_PT5_21rocsparse_index_base_b ; -- Begin function _ZN9rocsparseL21csrmvt_general_kernelILj256ELj32EliaaffEEvbbT2_NS_24const_host_device_scalarIT6_EEPKT1_S7_PKS1_PKT3_PKT4_PT5_21rocsparse_index_base_b
	.p2align	8
	.type	_ZN9rocsparseL21csrmvt_general_kernelILj256ELj32EliaaffEEvbbT2_NS_24const_host_device_scalarIT6_EEPKT1_S7_PKS1_PKT3_PKT4_PT5_21rocsparse_index_base_b,@function
_ZN9rocsparseL21csrmvt_general_kernelILj256ELj32EliaaffEEvbbT2_NS_24const_host_device_scalarIT6_EEPKT1_S7_PKS1_PKT3_PKT4_PT5_21rocsparse_index_base_b: ; @_ZN9rocsparseL21csrmvt_general_kernelILj256ELj32EliaaffEEvbbT2_NS_24const_host_device_scalarIT6_EEPKT1_S7_PKS1_PKT3_PKT4_PT5_21rocsparse_index_base_b
; %bb.0:
	s_load_dwordx2 s[2:3], s[4:5], 0x40
	s_load_dwordx4 s[16:19], s[4:5], 0x8
	s_waitcnt lgkmcnt(0)
	s_bitcmp1_b32 s3, 0
	s_cselect_b64 s[0:1], -1, 0
	s_and_b64 vcc, exec, s[0:1]
	s_cbranch_vccnz .LBB185_2
; %bb.1:
	s_load_dword s16, s[16:17], 0x0
.LBB185_2:
	s_waitcnt lgkmcnt(0)
	v_cmp_eq_f32_e64 s[0:1], s16, 0
	s_and_b64 vcc, exec, s[0:1]
	s_cbranch_vccnz .LBB185_23
; %bb.3:
	s_load_dwordx2 s[20:21], s[4:5], 0x0
	s_load_dword s0, s[4:5], 0x48
	s_load_dwordx2 s[22:23], s[4:5], 0x38
	s_load_dwordx8 s[8:15], s[4:5], 0x18
	v_and_b32_e32 v1, 31, v0
	v_lshl_or_b32 v0, s6, 8, v0
	s_waitcnt lgkmcnt(0)
	s_and_b32 s1, s20, 1
	s_lshl_b32 s3, s0, 3
	v_lshrrev_b32_e32 v0, 5, v0
	s_cmp_eq_u32 s1, 0
	v_cmp_gt_i32_e64 s[0:1], s21, v0
	s_mov_b64 s[4:5], -1
	s_cbranch_scc0 .LBB185_13
; %bb.4:
	s_and_saveexec_b64 s[4:5], s[0:1]
	s_cbranch_execz .LBB185_12
; %bb.5:
	v_subrev_co_u32_e32 v12, vcc, s2, v1
	s_mov_b32 s17, 0
	v_subb_co_u32_e64 v13, s[6:7], 0, 0, vcc
	s_mov_b64 s[6:7], 0
	v_mov_b32_e32 v14, s19
	v_mov_b32_e32 v15, s9
	;; [unrolled: 1-line block ×4, first 2 shown]
	s_branch .LBB185_7
.LBB185_6:                              ;   in Loop: Header=BB185_7 Depth=1
	s_or_b64 exec, exec, s[24:25]
	v_add_u32_e32 v2, s3, v2
	v_cmp_le_i32_e32 vcc, s21, v2
	s_or_b64 s[6:7], vcc, s[6:7]
	s_andn2_b64 exec, exec, s[6:7]
	s_cbranch_execz .LBB185_12
.LBB185_7:                              ; =>This Loop Header: Depth=1
                                        ;     Child Loop BB185_9 Depth 2
                                        ;       Child Loop BB185_10 Depth 3
	v_ashrrev_i32_e32 v3, 31, v2
	v_lshlrev_b64 v[4:5], 3, v[2:3]
	v_add_co_u32_e32 v6, vcc, s8, v4
	v_addc_co_u32_e32 v7, vcc, v15, v5, vcc
	global_load_dwordx2 v[6:7], v[6:7], off
	v_add_co_u32_e32 v4, vcc, s18, v4
	v_addc_co_u32_e32 v5, vcc, v14, v5, vcc
	global_load_dwordx2 v[8:9], v[4:5], off
	s_waitcnt vmcnt(1)
	v_subrev_co_u32_e32 v4, vcc, s2, v6
	v_subb_co_u32_e32 v5, vcc, v7, v16, vcc
	s_waitcnt vmcnt(0)
	v_add_co_u32_e32 v6, vcc, v8, v12
	v_addc_co_u32_e32 v7, vcc, v9, v13, vcc
	v_cmp_lt_i64_e32 vcc, v[6:7], v[4:5]
	s_and_saveexec_b64 s[24:25], vcc
	s_cbranch_execz .LBB185_6
; %bb.8:                                ;   in Loop: Header=BB185_7 Depth=1
	v_mov_b32_e32 v9, s15
	v_add_co_u32_e32 v8, vcc, s14, v2
	v_addc_co_u32_e32 v9, vcc, v9, v3, vcc
	global_load_sbyte v3, v[8:9], off
	s_mov_b64 s[26:27], 0
	s_waitcnt vmcnt(0)
	v_cvt_f32_i32_e32 v3, v3
	v_mul_f32_e32 v3, s16, v3
.LBB185_9:                              ;   Parent Loop BB185_7 Depth=1
                                        ; =>  This Loop Header: Depth=2
                                        ;       Child Loop BB185_10 Depth 3
	v_lshlrev_b64 v[8:9], 2, v[6:7]
	v_mov_b32_e32 v10, s11
	v_add_co_u32_e32 v8, vcc, s10, v8
	v_addc_co_u32_e32 v9, vcc, v10, v9, vcc
	global_load_dword v10, v[8:9], off
	v_mov_b32_e32 v9, s13
	v_add_co_u32_e32 v8, vcc, s12, v6
	v_addc_co_u32_e32 v9, vcc, v9, v7, vcc
	global_load_sbyte v17, v[8:9], off
	v_mov_b32_e32 v11, s23
	s_mov_b64 s[28:29], 0
	s_waitcnt vmcnt(1)
	v_subrev_u32_e32 v8, s2, v10
	v_ashrrev_i32_e32 v9, 31, v8
	v_lshlrev_b64 v[8:9], 2, v[8:9]
	v_add_co_u32_e32 v8, vcc, s22, v8
	v_addc_co_u32_e32 v9, vcc, v11, v9, vcc
	global_load_dword v11, v[8:9], off
	s_waitcnt vmcnt(1)
	v_cvt_f32_i32_e32 v10, v17
	v_mul_f32_e32 v17, v3, v10
.LBB185_10:                             ;   Parent Loop BB185_7 Depth=1
                                        ;     Parent Loop BB185_9 Depth=2
                                        ; =>    This Inner Loop Header: Depth=3
	s_waitcnt vmcnt(0)
	v_add_f32_e32 v10, v11, v17
	global_atomic_cmpswap v10, v[8:9], v[10:11], off glc
	s_waitcnt vmcnt(0)
	v_cmp_eq_u32_e32 vcc, v10, v11
	s_or_b64 s[28:29], vcc, s[28:29]
	v_mov_b32_e32 v11, v10
	s_andn2_b64 exec, exec, s[28:29]
	s_cbranch_execnz .LBB185_10
; %bb.11:                               ;   in Loop: Header=BB185_9 Depth=2
	s_or_b64 exec, exec, s[28:29]
	v_add_co_u32_e32 v6, vcc, 32, v6
	v_addc_co_u32_e32 v7, vcc, 0, v7, vcc
	v_cmp_ge_i64_e32 vcc, v[6:7], v[4:5]
	s_or_b64 s[26:27], vcc, s[26:27]
	s_andn2_b64 exec, exec, s[26:27]
	s_cbranch_execnz .LBB185_9
	s_branch .LBB185_6
.LBB185_12:
	s_or_b64 exec, exec, s[4:5]
	s_mov_b64 s[4:5], 0
.LBB185_13:
	s_andn2_b64 vcc, exec, s[4:5]
	s_cbranch_vccnz .LBB185_23
; %bb.14:
	s_and_saveexec_b64 s[4:5], s[0:1]
	s_cbranch_execz .LBB185_23
; %bb.15:
	v_subrev_co_u32_e32 v10, vcc, s2, v1
	s_mov_b32 s4, 0
	v_subb_co_u32_e64 v11, s[0:1], 0, 0, vcc
	s_mov_b64 s[0:1], 0
	v_mov_b32_e32 v12, s19
	v_mov_b32_e32 v13, s9
	v_mov_b32_e32 v14, s4
	s_branch .LBB185_17
.LBB185_16:                             ;   in Loop: Header=BB185_17 Depth=1
	s_or_b64 exec, exec, s[4:5]
	v_add_u32_e32 v0, s3, v0
	v_cmp_le_i32_e32 vcc, s21, v0
	s_or_b64 s[0:1], vcc, s[0:1]
	s_andn2_b64 exec, exec, s[0:1]
	s_cbranch_execz .LBB185_23
.LBB185_17:                             ; =>This Loop Header: Depth=1
                                        ;     Child Loop BB185_20 Depth 2
                                        ;       Child Loop BB185_22 Depth 3
	v_ashrrev_i32_e32 v1, 31, v0
	v_lshlrev_b64 v[2:3], 3, v[0:1]
	v_add_co_u32_e32 v4, vcc, s8, v2
	v_addc_co_u32_e32 v5, vcc, v13, v3, vcc
	global_load_dwordx2 v[4:5], v[4:5], off
	v_add_co_u32_e32 v2, vcc, s18, v2
	v_addc_co_u32_e32 v3, vcc, v12, v3, vcc
	global_load_dwordx2 v[6:7], v[2:3], off
	s_waitcnt vmcnt(1)
	v_subrev_co_u32_e32 v2, vcc, s2, v4
	v_subb_co_u32_e32 v3, vcc, v5, v14, vcc
	s_waitcnt vmcnt(0)
	v_add_co_u32_e32 v4, vcc, v6, v10
	v_addc_co_u32_e32 v5, vcc, v7, v11, vcc
	v_cmp_lt_i64_e32 vcc, v[4:5], v[2:3]
	s_and_saveexec_b64 s[4:5], vcc
	s_cbranch_execz .LBB185_16
; %bb.18:                               ;   in Loop: Header=BB185_17 Depth=1
	v_mov_b32_e32 v7, s15
	v_add_co_u32_e32 v6, vcc, s14, v0
	v_addc_co_u32_e32 v7, vcc, v7, v1, vcc
	global_load_sbyte v1, v[6:7], off
	s_mov_b64 s[6:7], 0
	s_waitcnt vmcnt(0)
	v_cvt_f32_i32_e32 v1, v1
	v_mul_f32_e32 v1, s16, v1
	s_branch .LBB185_20
.LBB185_19:                             ;   in Loop: Header=BB185_20 Depth=2
	s_or_b64 exec, exec, s[24:25]
	v_add_co_u32_e32 v4, vcc, 32, v4
	v_addc_co_u32_e32 v5, vcc, 0, v5, vcc
	v_cmp_ge_i64_e32 vcc, v[4:5], v[2:3]
	s_or_b64 s[6:7], vcc, s[6:7]
	s_andn2_b64 exec, exec, s[6:7]
	s_cbranch_execz .LBB185_16
.LBB185_20:                             ;   Parent Loop BB185_17 Depth=1
                                        ; =>  This Loop Header: Depth=2
                                        ;       Child Loop BB185_22 Depth 3
	v_lshlrev_b64 v[6:7], 2, v[4:5]
	v_mov_b32_e32 v8, s11
	v_add_co_u32_e32 v6, vcc, s10, v6
	v_addc_co_u32_e32 v7, vcc, v8, v7, vcc
	global_load_dword v6, v[6:7], off
	s_waitcnt vmcnt(0)
	v_subrev_u32_e32 v6, s2, v6
	v_cmp_ne_u32_e32 vcc, v6, v0
	s_and_saveexec_b64 s[24:25], vcc
	s_cbranch_execz .LBB185_19
; %bb.21:                               ;   in Loop: Header=BB185_20 Depth=2
	v_mov_b32_e32 v7, s13
	v_add_co_u32_e32 v8, vcc, s12, v4
	v_addc_co_u32_e32 v9, vcc, v7, v5, vcc
	global_load_sbyte v8, v[8:9], off
	v_ashrrev_i32_e32 v7, 31, v6
	v_lshlrev_b64 v[6:7], 2, v[6:7]
	v_mov_b32_e32 v9, s23
	v_add_co_u32_e32 v6, vcc, s22, v6
	v_addc_co_u32_e32 v7, vcc, v9, v7, vcc
	global_load_dword v9, v[6:7], off
	s_mov_b64 s[26:27], 0
	s_waitcnt vmcnt(1)
	v_cvt_f32_i32_e32 v8, v8
	v_mul_f32_e32 v15, v1, v8
.LBB185_22:                             ;   Parent Loop BB185_17 Depth=1
                                        ;     Parent Loop BB185_20 Depth=2
                                        ; =>    This Inner Loop Header: Depth=3
	s_waitcnt vmcnt(0)
	v_add_f32_e32 v8, v9, v15
	global_atomic_cmpswap v8, v[6:7], v[8:9], off glc
	s_waitcnt vmcnt(0)
	v_cmp_eq_u32_e32 vcc, v8, v9
	s_or_b64 s[26:27], vcc, s[26:27]
	v_mov_b32_e32 v9, v8
	s_andn2_b64 exec, exec, s[26:27]
	s_cbranch_execnz .LBB185_22
	s_branch .LBB185_19
.LBB185_23:
	s_endpgm
	.section	.rodata,"a",@progbits
	.p2align	6, 0x0
	.amdhsa_kernel _ZN9rocsparseL21csrmvt_general_kernelILj256ELj32EliaaffEEvbbT2_NS_24const_host_device_scalarIT6_EEPKT1_S7_PKS1_PKT3_PKT4_PT5_21rocsparse_index_base_b
		.amdhsa_group_segment_fixed_size 0
		.amdhsa_private_segment_fixed_size 0
		.amdhsa_kernarg_size 328
		.amdhsa_user_sgpr_count 6
		.amdhsa_user_sgpr_private_segment_buffer 1
		.amdhsa_user_sgpr_dispatch_ptr 0
		.amdhsa_user_sgpr_queue_ptr 0
		.amdhsa_user_sgpr_kernarg_segment_ptr 1
		.amdhsa_user_sgpr_dispatch_id 0
		.amdhsa_user_sgpr_flat_scratch_init 0
		.amdhsa_user_sgpr_kernarg_preload_length 0
		.amdhsa_user_sgpr_kernarg_preload_offset 0
		.amdhsa_user_sgpr_private_segment_size 0
		.amdhsa_uses_dynamic_stack 0
		.amdhsa_system_sgpr_private_segment_wavefront_offset 0
		.amdhsa_system_sgpr_workgroup_id_x 1
		.amdhsa_system_sgpr_workgroup_id_y 0
		.amdhsa_system_sgpr_workgroup_id_z 0
		.amdhsa_system_sgpr_workgroup_info 0
		.amdhsa_system_vgpr_workitem_id 0
		.amdhsa_next_free_vgpr 18
		.amdhsa_next_free_sgpr 30
		.amdhsa_accum_offset 20
		.amdhsa_reserve_vcc 1
		.amdhsa_reserve_flat_scratch 0
		.amdhsa_float_round_mode_32 0
		.amdhsa_float_round_mode_16_64 0
		.amdhsa_float_denorm_mode_32 3
		.amdhsa_float_denorm_mode_16_64 3
		.amdhsa_dx10_clamp 1
		.amdhsa_ieee_mode 1
		.amdhsa_fp16_overflow 0
		.amdhsa_tg_split 0
		.amdhsa_exception_fp_ieee_invalid_op 0
		.amdhsa_exception_fp_denorm_src 0
		.amdhsa_exception_fp_ieee_div_zero 0
		.amdhsa_exception_fp_ieee_overflow 0
		.amdhsa_exception_fp_ieee_underflow 0
		.amdhsa_exception_fp_ieee_inexact 0
		.amdhsa_exception_int_div_zero 0
	.end_amdhsa_kernel
	.section	.text._ZN9rocsparseL21csrmvt_general_kernelILj256ELj32EliaaffEEvbbT2_NS_24const_host_device_scalarIT6_EEPKT1_S7_PKS1_PKT3_PKT4_PT5_21rocsparse_index_base_b,"axG",@progbits,_ZN9rocsparseL21csrmvt_general_kernelILj256ELj32EliaaffEEvbbT2_NS_24const_host_device_scalarIT6_EEPKT1_S7_PKS1_PKT3_PKT4_PT5_21rocsparse_index_base_b,comdat
.Lfunc_end185:
	.size	_ZN9rocsparseL21csrmvt_general_kernelILj256ELj32EliaaffEEvbbT2_NS_24const_host_device_scalarIT6_EEPKT1_S7_PKS1_PKT3_PKT4_PT5_21rocsparse_index_base_b, .Lfunc_end185-_ZN9rocsparseL21csrmvt_general_kernelILj256ELj32EliaaffEEvbbT2_NS_24const_host_device_scalarIT6_EEPKT1_S7_PKS1_PKT3_PKT4_PT5_21rocsparse_index_base_b
                                        ; -- End function
	.section	.AMDGPU.csdata,"",@progbits
; Kernel info:
; codeLenInByte = 904
; NumSgprs: 34
; NumVgprs: 18
; NumAgprs: 0
; TotalNumVgprs: 18
; ScratchSize: 0
; MemoryBound: 0
; FloatMode: 240
; IeeeMode: 1
; LDSByteSize: 0 bytes/workgroup (compile time only)
; SGPRBlocks: 4
; VGPRBlocks: 2
; NumSGPRsForWavesPerEU: 34
; NumVGPRsForWavesPerEU: 18
; AccumOffset: 20
; Occupancy: 8
; WaveLimiterHint : 1
; COMPUTE_PGM_RSRC2:SCRATCH_EN: 0
; COMPUTE_PGM_RSRC2:USER_SGPR: 6
; COMPUTE_PGM_RSRC2:TRAP_HANDLER: 0
; COMPUTE_PGM_RSRC2:TGID_X_EN: 1
; COMPUTE_PGM_RSRC2:TGID_Y_EN: 0
; COMPUTE_PGM_RSRC2:TGID_Z_EN: 0
; COMPUTE_PGM_RSRC2:TIDIG_COMP_CNT: 0
; COMPUTE_PGM_RSRC3_GFX90A:ACCUM_OFFSET: 4
; COMPUTE_PGM_RSRC3_GFX90A:TG_SPLIT: 0
	.section	.text._ZN9rocsparseL21csrmvt_general_kernelILj256ELj64EliaaffEEvbbT2_NS_24const_host_device_scalarIT6_EEPKT1_S7_PKS1_PKT3_PKT4_PT5_21rocsparse_index_base_b,"axG",@progbits,_ZN9rocsparseL21csrmvt_general_kernelILj256ELj64EliaaffEEvbbT2_NS_24const_host_device_scalarIT6_EEPKT1_S7_PKS1_PKT3_PKT4_PT5_21rocsparse_index_base_b,comdat
	.globl	_ZN9rocsparseL21csrmvt_general_kernelILj256ELj64EliaaffEEvbbT2_NS_24const_host_device_scalarIT6_EEPKT1_S7_PKS1_PKT3_PKT4_PT5_21rocsparse_index_base_b ; -- Begin function _ZN9rocsparseL21csrmvt_general_kernelILj256ELj64EliaaffEEvbbT2_NS_24const_host_device_scalarIT6_EEPKT1_S7_PKS1_PKT3_PKT4_PT5_21rocsparse_index_base_b
	.p2align	8
	.type	_ZN9rocsparseL21csrmvt_general_kernelILj256ELj64EliaaffEEvbbT2_NS_24const_host_device_scalarIT6_EEPKT1_S7_PKS1_PKT3_PKT4_PT5_21rocsparse_index_base_b,@function
_ZN9rocsparseL21csrmvt_general_kernelILj256ELj64EliaaffEEvbbT2_NS_24const_host_device_scalarIT6_EEPKT1_S7_PKS1_PKT3_PKT4_PT5_21rocsparse_index_base_b: ; @_ZN9rocsparseL21csrmvt_general_kernelILj256ELj64EliaaffEEvbbT2_NS_24const_host_device_scalarIT6_EEPKT1_S7_PKS1_PKT3_PKT4_PT5_21rocsparse_index_base_b
; %bb.0:
	s_load_dwordx2 s[2:3], s[4:5], 0x40
	s_load_dwordx4 s[16:19], s[4:5], 0x8
	s_waitcnt lgkmcnt(0)
	s_bitcmp1_b32 s3, 0
	s_cselect_b64 s[0:1], -1, 0
	s_and_b64 vcc, exec, s[0:1]
	s_cbranch_vccnz .LBB186_2
; %bb.1:
	s_load_dword s16, s[16:17], 0x0
.LBB186_2:
	s_waitcnt lgkmcnt(0)
	v_cmp_eq_f32_e64 s[0:1], s16, 0
	s_and_b64 vcc, exec, s[0:1]
	s_cbranch_vccnz .LBB186_23
; %bb.3:
	s_load_dwordx2 s[20:21], s[4:5], 0x0
	s_load_dword s0, s[4:5], 0x48
	s_load_dwordx2 s[22:23], s[4:5], 0x38
	s_load_dwordx8 s[8:15], s[4:5], 0x18
	v_and_b32_e32 v1, 63, v0
	v_lshl_or_b32 v0, s6, 8, v0
	s_waitcnt lgkmcnt(0)
	s_and_b32 s1, s20, 1
	s_lshl_b32 s3, s0, 2
	v_lshrrev_b32_e32 v0, 6, v0
	s_cmp_eq_u32 s1, 0
	v_cmp_gt_i32_e64 s[0:1], s21, v0
	s_mov_b64 s[4:5], -1
	s_cbranch_scc0 .LBB186_13
; %bb.4:
	s_and_saveexec_b64 s[4:5], s[0:1]
	s_cbranch_execz .LBB186_12
; %bb.5:
	v_subrev_co_u32_e32 v12, vcc, s2, v1
	s_mov_b32 s17, 0
	v_subb_co_u32_e64 v13, s[6:7], 0, 0, vcc
	s_mov_b64 s[6:7], 0
	v_mov_b32_e32 v14, s19
	v_mov_b32_e32 v15, s9
	;; [unrolled: 1-line block ×4, first 2 shown]
	s_branch .LBB186_7
.LBB186_6:                              ;   in Loop: Header=BB186_7 Depth=1
	s_or_b64 exec, exec, s[24:25]
	v_add_u32_e32 v2, s3, v2
	v_cmp_le_i32_e32 vcc, s21, v2
	s_or_b64 s[6:7], vcc, s[6:7]
	s_andn2_b64 exec, exec, s[6:7]
	s_cbranch_execz .LBB186_12
.LBB186_7:                              ; =>This Loop Header: Depth=1
                                        ;     Child Loop BB186_9 Depth 2
                                        ;       Child Loop BB186_10 Depth 3
	v_ashrrev_i32_e32 v3, 31, v2
	v_lshlrev_b64 v[4:5], 3, v[2:3]
	v_add_co_u32_e32 v6, vcc, s8, v4
	v_addc_co_u32_e32 v7, vcc, v15, v5, vcc
	global_load_dwordx2 v[6:7], v[6:7], off
	v_add_co_u32_e32 v4, vcc, s18, v4
	v_addc_co_u32_e32 v5, vcc, v14, v5, vcc
	global_load_dwordx2 v[8:9], v[4:5], off
	s_waitcnt vmcnt(1)
	v_subrev_co_u32_e32 v4, vcc, s2, v6
	v_subb_co_u32_e32 v5, vcc, v7, v16, vcc
	s_waitcnt vmcnt(0)
	v_add_co_u32_e32 v6, vcc, v8, v12
	v_addc_co_u32_e32 v7, vcc, v9, v13, vcc
	v_cmp_lt_i64_e32 vcc, v[6:7], v[4:5]
	s_and_saveexec_b64 s[24:25], vcc
	s_cbranch_execz .LBB186_6
; %bb.8:                                ;   in Loop: Header=BB186_7 Depth=1
	v_mov_b32_e32 v9, s15
	v_add_co_u32_e32 v8, vcc, s14, v2
	v_addc_co_u32_e32 v9, vcc, v9, v3, vcc
	global_load_sbyte v3, v[8:9], off
	s_mov_b64 s[26:27], 0
	s_waitcnt vmcnt(0)
	v_cvt_f32_i32_e32 v3, v3
	v_mul_f32_e32 v3, s16, v3
.LBB186_9:                              ;   Parent Loop BB186_7 Depth=1
                                        ; =>  This Loop Header: Depth=2
                                        ;       Child Loop BB186_10 Depth 3
	v_lshlrev_b64 v[8:9], 2, v[6:7]
	v_mov_b32_e32 v10, s11
	v_add_co_u32_e32 v8, vcc, s10, v8
	v_addc_co_u32_e32 v9, vcc, v10, v9, vcc
	global_load_dword v10, v[8:9], off
	v_mov_b32_e32 v9, s13
	v_add_co_u32_e32 v8, vcc, s12, v6
	v_addc_co_u32_e32 v9, vcc, v9, v7, vcc
	global_load_sbyte v17, v[8:9], off
	v_mov_b32_e32 v11, s23
	s_mov_b64 s[28:29], 0
	s_waitcnt vmcnt(1)
	v_subrev_u32_e32 v8, s2, v10
	v_ashrrev_i32_e32 v9, 31, v8
	v_lshlrev_b64 v[8:9], 2, v[8:9]
	v_add_co_u32_e32 v8, vcc, s22, v8
	v_addc_co_u32_e32 v9, vcc, v11, v9, vcc
	global_load_dword v11, v[8:9], off
	s_waitcnt vmcnt(1)
	v_cvt_f32_i32_e32 v10, v17
	v_mul_f32_e32 v17, v3, v10
.LBB186_10:                             ;   Parent Loop BB186_7 Depth=1
                                        ;     Parent Loop BB186_9 Depth=2
                                        ; =>    This Inner Loop Header: Depth=3
	s_waitcnt vmcnt(0)
	v_add_f32_e32 v10, v11, v17
	global_atomic_cmpswap v10, v[8:9], v[10:11], off glc
	s_waitcnt vmcnt(0)
	v_cmp_eq_u32_e32 vcc, v10, v11
	s_or_b64 s[28:29], vcc, s[28:29]
	v_mov_b32_e32 v11, v10
	s_andn2_b64 exec, exec, s[28:29]
	s_cbranch_execnz .LBB186_10
; %bb.11:                               ;   in Loop: Header=BB186_9 Depth=2
	s_or_b64 exec, exec, s[28:29]
	v_add_co_u32_e32 v6, vcc, 64, v6
	v_addc_co_u32_e32 v7, vcc, 0, v7, vcc
	v_cmp_ge_i64_e32 vcc, v[6:7], v[4:5]
	s_or_b64 s[26:27], vcc, s[26:27]
	s_andn2_b64 exec, exec, s[26:27]
	s_cbranch_execnz .LBB186_9
	s_branch .LBB186_6
.LBB186_12:
	s_or_b64 exec, exec, s[4:5]
	s_mov_b64 s[4:5], 0
.LBB186_13:
	s_andn2_b64 vcc, exec, s[4:5]
	s_cbranch_vccnz .LBB186_23
; %bb.14:
	s_and_saveexec_b64 s[4:5], s[0:1]
	s_cbranch_execz .LBB186_23
; %bb.15:
	v_subrev_co_u32_e32 v10, vcc, s2, v1
	s_mov_b32 s4, 0
	v_subb_co_u32_e64 v11, s[0:1], 0, 0, vcc
	s_mov_b64 s[0:1], 0
	v_mov_b32_e32 v12, s19
	v_mov_b32_e32 v13, s9
	;; [unrolled: 1-line block ×3, first 2 shown]
	s_branch .LBB186_17
.LBB186_16:                             ;   in Loop: Header=BB186_17 Depth=1
	s_or_b64 exec, exec, s[4:5]
	v_add_u32_e32 v0, s3, v0
	v_cmp_le_i32_e32 vcc, s21, v0
	s_or_b64 s[0:1], vcc, s[0:1]
	s_andn2_b64 exec, exec, s[0:1]
	s_cbranch_execz .LBB186_23
.LBB186_17:                             ; =>This Loop Header: Depth=1
                                        ;     Child Loop BB186_20 Depth 2
                                        ;       Child Loop BB186_22 Depth 3
	v_ashrrev_i32_e32 v1, 31, v0
	v_lshlrev_b64 v[2:3], 3, v[0:1]
	v_add_co_u32_e32 v4, vcc, s8, v2
	v_addc_co_u32_e32 v5, vcc, v13, v3, vcc
	global_load_dwordx2 v[4:5], v[4:5], off
	v_add_co_u32_e32 v2, vcc, s18, v2
	v_addc_co_u32_e32 v3, vcc, v12, v3, vcc
	global_load_dwordx2 v[6:7], v[2:3], off
	s_waitcnt vmcnt(1)
	v_subrev_co_u32_e32 v2, vcc, s2, v4
	v_subb_co_u32_e32 v3, vcc, v5, v14, vcc
	s_waitcnt vmcnt(0)
	v_add_co_u32_e32 v4, vcc, v6, v10
	v_addc_co_u32_e32 v5, vcc, v7, v11, vcc
	v_cmp_lt_i64_e32 vcc, v[4:5], v[2:3]
	s_and_saveexec_b64 s[4:5], vcc
	s_cbranch_execz .LBB186_16
; %bb.18:                               ;   in Loop: Header=BB186_17 Depth=1
	v_mov_b32_e32 v7, s15
	v_add_co_u32_e32 v6, vcc, s14, v0
	v_addc_co_u32_e32 v7, vcc, v7, v1, vcc
	global_load_sbyte v1, v[6:7], off
	s_mov_b64 s[6:7], 0
	s_waitcnt vmcnt(0)
	v_cvt_f32_i32_e32 v1, v1
	v_mul_f32_e32 v1, s16, v1
	s_branch .LBB186_20
.LBB186_19:                             ;   in Loop: Header=BB186_20 Depth=2
	s_or_b64 exec, exec, s[24:25]
	v_add_co_u32_e32 v4, vcc, 64, v4
	v_addc_co_u32_e32 v5, vcc, 0, v5, vcc
	v_cmp_ge_i64_e32 vcc, v[4:5], v[2:3]
	s_or_b64 s[6:7], vcc, s[6:7]
	s_andn2_b64 exec, exec, s[6:7]
	s_cbranch_execz .LBB186_16
.LBB186_20:                             ;   Parent Loop BB186_17 Depth=1
                                        ; =>  This Loop Header: Depth=2
                                        ;       Child Loop BB186_22 Depth 3
	v_lshlrev_b64 v[6:7], 2, v[4:5]
	v_mov_b32_e32 v8, s11
	v_add_co_u32_e32 v6, vcc, s10, v6
	v_addc_co_u32_e32 v7, vcc, v8, v7, vcc
	global_load_dword v6, v[6:7], off
	s_waitcnt vmcnt(0)
	v_subrev_u32_e32 v6, s2, v6
	v_cmp_ne_u32_e32 vcc, v6, v0
	s_and_saveexec_b64 s[24:25], vcc
	s_cbranch_execz .LBB186_19
; %bb.21:                               ;   in Loop: Header=BB186_20 Depth=2
	v_mov_b32_e32 v7, s13
	v_add_co_u32_e32 v8, vcc, s12, v4
	v_addc_co_u32_e32 v9, vcc, v7, v5, vcc
	global_load_sbyte v8, v[8:9], off
	v_ashrrev_i32_e32 v7, 31, v6
	v_lshlrev_b64 v[6:7], 2, v[6:7]
	v_mov_b32_e32 v9, s23
	v_add_co_u32_e32 v6, vcc, s22, v6
	v_addc_co_u32_e32 v7, vcc, v9, v7, vcc
	global_load_dword v9, v[6:7], off
	s_mov_b64 s[26:27], 0
	s_waitcnt vmcnt(1)
	v_cvt_f32_i32_e32 v8, v8
	v_mul_f32_e32 v15, v1, v8
.LBB186_22:                             ;   Parent Loop BB186_17 Depth=1
                                        ;     Parent Loop BB186_20 Depth=2
                                        ; =>    This Inner Loop Header: Depth=3
	s_waitcnt vmcnt(0)
	v_add_f32_e32 v8, v9, v15
	global_atomic_cmpswap v8, v[6:7], v[8:9], off glc
	s_waitcnt vmcnt(0)
	v_cmp_eq_u32_e32 vcc, v8, v9
	s_or_b64 s[26:27], vcc, s[26:27]
	v_mov_b32_e32 v9, v8
	s_andn2_b64 exec, exec, s[26:27]
	s_cbranch_execnz .LBB186_22
	s_branch .LBB186_19
.LBB186_23:
	s_endpgm
	.section	.rodata,"a",@progbits
	.p2align	6, 0x0
	.amdhsa_kernel _ZN9rocsparseL21csrmvt_general_kernelILj256ELj64EliaaffEEvbbT2_NS_24const_host_device_scalarIT6_EEPKT1_S7_PKS1_PKT3_PKT4_PT5_21rocsparse_index_base_b
		.amdhsa_group_segment_fixed_size 0
		.amdhsa_private_segment_fixed_size 0
		.amdhsa_kernarg_size 328
		.amdhsa_user_sgpr_count 6
		.amdhsa_user_sgpr_private_segment_buffer 1
		.amdhsa_user_sgpr_dispatch_ptr 0
		.amdhsa_user_sgpr_queue_ptr 0
		.amdhsa_user_sgpr_kernarg_segment_ptr 1
		.amdhsa_user_sgpr_dispatch_id 0
		.amdhsa_user_sgpr_flat_scratch_init 0
		.amdhsa_user_sgpr_kernarg_preload_length 0
		.amdhsa_user_sgpr_kernarg_preload_offset 0
		.amdhsa_user_sgpr_private_segment_size 0
		.amdhsa_uses_dynamic_stack 0
		.amdhsa_system_sgpr_private_segment_wavefront_offset 0
		.amdhsa_system_sgpr_workgroup_id_x 1
		.amdhsa_system_sgpr_workgroup_id_y 0
		.amdhsa_system_sgpr_workgroup_id_z 0
		.amdhsa_system_sgpr_workgroup_info 0
		.amdhsa_system_vgpr_workitem_id 0
		.amdhsa_next_free_vgpr 18
		.amdhsa_next_free_sgpr 30
		.amdhsa_accum_offset 20
		.amdhsa_reserve_vcc 1
		.amdhsa_reserve_flat_scratch 0
		.amdhsa_float_round_mode_32 0
		.amdhsa_float_round_mode_16_64 0
		.amdhsa_float_denorm_mode_32 3
		.amdhsa_float_denorm_mode_16_64 3
		.amdhsa_dx10_clamp 1
		.amdhsa_ieee_mode 1
		.amdhsa_fp16_overflow 0
		.amdhsa_tg_split 0
		.amdhsa_exception_fp_ieee_invalid_op 0
		.amdhsa_exception_fp_denorm_src 0
		.amdhsa_exception_fp_ieee_div_zero 0
		.amdhsa_exception_fp_ieee_overflow 0
		.amdhsa_exception_fp_ieee_underflow 0
		.amdhsa_exception_fp_ieee_inexact 0
		.amdhsa_exception_int_div_zero 0
	.end_amdhsa_kernel
	.section	.text._ZN9rocsparseL21csrmvt_general_kernelILj256ELj64EliaaffEEvbbT2_NS_24const_host_device_scalarIT6_EEPKT1_S7_PKS1_PKT3_PKT4_PT5_21rocsparse_index_base_b,"axG",@progbits,_ZN9rocsparseL21csrmvt_general_kernelILj256ELj64EliaaffEEvbbT2_NS_24const_host_device_scalarIT6_EEPKT1_S7_PKS1_PKT3_PKT4_PT5_21rocsparse_index_base_b,comdat
.Lfunc_end186:
	.size	_ZN9rocsparseL21csrmvt_general_kernelILj256ELj64EliaaffEEvbbT2_NS_24const_host_device_scalarIT6_EEPKT1_S7_PKS1_PKT3_PKT4_PT5_21rocsparse_index_base_b, .Lfunc_end186-_ZN9rocsparseL21csrmvt_general_kernelILj256ELj64EliaaffEEvbbT2_NS_24const_host_device_scalarIT6_EEPKT1_S7_PKS1_PKT3_PKT4_PT5_21rocsparse_index_base_b
                                        ; -- End function
	.section	.AMDGPU.csdata,"",@progbits
; Kernel info:
; codeLenInByte = 904
; NumSgprs: 34
; NumVgprs: 18
; NumAgprs: 0
; TotalNumVgprs: 18
; ScratchSize: 0
; MemoryBound: 0
; FloatMode: 240
; IeeeMode: 1
; LDSByteSize: 0 bytes/workgroup (compile time only)
; SGPRBlocks: 4
; VGPRBlocks: 2
; NumSGPRsForWavesPerEU: 34
; NumVGPRsForWavesPerEU: 18
; AccumOffset: 20
; Occupancy: 8
; WaveLimiterHint : 1
; COMPUTE_PGM_RSRC2:SCRATCH_EN: 0
; COMPUTE_PGM_RSRC2:USER_SGPR: 6
; COMPUTE_PGM_RSRC2:TRAP_HANDLER: 0
; COMPUTE_PGM_RSRC2:TGID_X_EN: 1
; COMPUTE_PGM_RSRC2:TGID_Y_EN: 0
; COMPUTE_PGM_RSRC2:TGID_Z_EN: 0
; COMPUTE_PGM_RSRC2:TIDIG_COMP_CNT: 0
; COMPUTE_PGM_RSRC3_GFX90A:ACCUM_OFFSET: 4
; COMPUTE_PGM_RSRC3_GFX90A:TG_SPLIT: 0
	.section	.text._ZN9rocsparseL21csrmvn_general_kernelILj256ELj2EllaaffEEvbT2_NS_24const_host_device_scalarIT6_EEPKT1_S7_PKS1_PKT3_PKT4_S4_PT5_21rocsparse_index_base_b,"axG",@progbits,_ZN9rocsparseL21csrmvn_general_kernelILj256ELj2EllaaffEEvbT2_NS_24const_host_device_scalarIT6_EEPKT1_S7_PKS1_PKT3_PKT4_S4_PT5_21rocsparse_index_base_b,comdat
	.globl	_ZN9rocsparseL21csrmvn_general_kernelILj256ELj2EllaaffEEvbT2_NS_24const_host_device_scalarIT6_EEPKT1_S7_PKS1_PKT3_PKT4_S4_PT5_21rocsparse_index_base_b ; -- Begin function _ZN9rocsparseL21csrmvn_general_kernelILj256ELj2EllaaffEEvbT2_NS_24const_host_device_scalarIT6_EEPKT1_S7_PKS1_PKT3_PKT4_S4_PT5_21rocsparse_index_base_b
	.p2align	8
	.type	_ZN9rocsparseL21csrmvn_general_kernelILj256ELj2EllaaffEEvbT2_NS_24const_host_device_scalarIT6_EEPKT1_S7_PKS1_PKT3_PKT4_S4_PT5_21rocsparse_index_base_b,@function
_ZN9rocsparseL21csrmvn_general_kernelILj256ELj2EllaaffEEvbT2_NS_24const_host_device_scalarIT6_EEPKT1_S7_PKS1_PKT3_PKT4_S4_PT5_21rocsparse_index_base_b: ; @_ZN9rocsparseL21csrmvn_general_kernelILj256ELj2EllaaffEEvbT2_NS_24const_host_device_scalarIT6_EEPKT1_S7_PKS1_PKT3_PKT4_S4_PT5_21rocsparse_index_base_b
; %bb.0:
	s_load_dwordx2 s[20:21], s[4:5], 0x50
	s_load_dwordx2 s[22:23], s[4:5], 0x40
	s_load_dwordx8 s[8:15], s[4:5], 0x8
	s_waitcnt lgkmcnt(0)
	s_bitcmp1_b32 s21, 0
	s_cselect_b64 s[2:3], -1, 0
	s_xor_b64 s[0:1], s[2:3], -1
	s_and_b64 vcc, exec, s[2:3]
	s_cbranch_vccnz .LBB187_2
; %bb.1:
	s_load_dword s10, s[10:11], 0x0
.LBB187_2:
	s_andn2_b64 vcc, exec, s[0:1]
	s_cbranch_vccnz .LBB187_4
; %bb.3:
	s_load_dword s22, s[22:23], 0x0
.LBB187_4:
	s_waitcnt lgkmcnt(0)
	v_cmp_neq_f32_e64 s[0:1], s10, 0
	v_cmp_neq_f32_e64 s[2:3], s22, 1.0
	s_or_b64 s[0:1], s[0:1], s[2:3]
	s_andn2_b64 vcc, exec, s[0:1]
	s_cbranch_vccnz .LBB187_16
; %bb.5:
	v_lshl_or_b32 v1, s6, 8, v0
	v_lshrrev_b32_e32 v2, 1, v1
	v_mov_b32_e32 v3, 0
	v_cmp_gt_i64_e32 vcc, s[8:9], v[2:3]
	s_and_saveexec_b64 s[0:1], vcc
	s_cbranch_execz .LBB187_16
; %bb.6:
	s_load_dword s2, s[4:5], 0x58
	s_load_dwordx2 s[6:7], s[4:5], 0x48
	s_load_dwordx4 s[16:19], s[4:5], 0x28
	s_load_dwordx2 s[0:1], s[4:5], 0x38
	v_and_b32_e32 v0, 1, v0
	v_subrev_co_u32_e32 v8, vcc, s20, v0
	s_waitcnt lgkmcnt(0)
	s_lshl_b32 s11, s2, 7
	v_subb_co_u32_e64 v9, s[2:3], 0, 0, vcc
	s_ashr_i32 s2, s20, 31
	s_sub_u32 s21, s0, s20
	s_subb_u32 s23, s1, s2
	v_cmp_neq_f32_e64 s[2:3], s22, 0
	s_mov_b32 s4, 0
	v_cmp_eq_u32_e64 s[0:1], 1, v0
	v_cndmask_b32_e64 v0, 0, 1, s[2:3]
	s_mov_b64 s[24:25], 0
	v_mov_b32_e32 v10, s13
	v_mov_b32_e32 v11, s15
	;; [unrolled: 1-line block ×3, first 2 shown]
	v_cmp_ne_u32_e64 s[2:3], 1, v0
	v_mov_b32_e32 v13, s4
	s_branch .LBB187_9
.LBB187_7:                              ;   in Loop: Header=BB187_9 Depth=1
	global_store_dword v[0:1], v4, off
.LBB187_8:                              ;   in Loop: Header=BB187_9 Depth=1
	s_or_b64 exec, exec, s[26:27]
	v_add_co_u32_e32 v2, vcc, s11, v2
	v_addc_co_u32_e32 v3, vcc, v3, v13, vcc
	v_cmp_le_i64_e32 vcc, s[8:9], v[2:3]
	s_or_b64 s[24:25], vcc, s[24:25]
	s_andn2_b64 exec, exec, s[24:25]
	s_cbranch_execz .LBB187_16
.LBB187_9:                              ; =>This Loop Header: Depth=1
                                        ;     Child Loop BB187_11 Depth 2
	v_lshlrev_b64 v[0:1], 3, v[2:3]
	v_add_co_u32_e32 v4, vcc, s14, v0
	v_addc_co_u32_e32 v5, vcc, v11, v1, vcc
	global_load_dwordx2 v[4:5], v[4:5], off
	v_add_co_u32_e32 v0, vcc, s12, v0
	v_addc_co_u32_e32 v1, vcc, v10, v1, vcc
	global_load_dwordx2 v[6:7], v[0:1], off
	v_mov_b32_e32 v14, 0
	s_waitcnt vmcnt(1)
	v_subrev_co_u32_e32 v0, vcc, s20, v4
	v_subb_co_u32_e32 v1, vcc, v5, v12, vcc
	s_waitcnt vmcnt(0)
	v_add_co_u32_e32 v4, vcc, v6, v8
	v_addc_co_u32_e32 v5, vcc, v7, v9, vcc
	v_cmp_lt_i64_e32 vcc, v[4:5], v[0:1]
	s_and_saveexec_b64 s[4:5], vcc
	s_cbranch_execz .LBB187_13
; %bb.10:                               ;   in Loop: Header=BB187_9 Depth=1
	v_lshlrev_b64 v[6:7], 3, v[4:5]
	v_mov_b32_e32 v14, s17
	v_add_co_u32_e32 v6, vcc, s16, v6
	v_addc_co_u32_e32 v7, vcc, v14, v7, vcc
	s_mov_b64 s[26:27], 0
	v_mov_b32_e32 v14, 0
.LBB187_11:                             ;   Parent Loop BB187_9 Depth=1
                                        ; =>  This Inner Loop Header: Depth=2
	global_load_dwordx2 v[16:17], v[6:7], off
	v_mov_b32_e32 v15, s19
	v_add_co_u32_e32 v18, vcc, s18, v4
	v_addc_co_u32_e32 v19, vcc, v15, v5, vcc
	v_mov_b32_e32 v20, s23
	global_load_sbyte v15, v[18:19], off
	s_waitcnt vmcnt(1)
	v_add_co_u32_e32 v16, vcc, s21, v16
	v_addc_co_u32_e32 v17, vcc, v20, v17, vcc
	global_load_sbyte v16, v[16:17], off
	v_add_co_u32_e32 v6, vcc, 16, v6
	s_waitcnt vmcnt(1)
	v_cvt_f32_i32_e32 v15, v15
	v_addc_co_u32_e32 v7, vcc, 0, v7, vcc
	v_add_co_u32_e32 v4, vcc, 2, v4
	v_addc_co_u32_e32 v5, vcc, 0, v5, vcc
	v_cmp_ge_i64_e32 vcc, v[4:5], v[0:1]
	v_mul_f32_e32 v15, s10, v15
	s_or_b64 s[26:27], vcc, s[26:27]
	s_waitcnt vmcnt(0)
	v_cvt_f32_i32_e32 v16, v16
	v_fmac_f32_e32 v14, v15, v16
	s_andn2_b64 exec, exec, s[26:27]
	s_cbranch_execnz .LBB187_11
; %bb.12:                               ;   in Loop: Header=BB187_9 Depth=1
	s_or_b64 exec, exec, s[26:27]
.LBB187_13:                             ;   in Loop: Header=BB187_9 Depth=1
	s_or_b64 exec, exec, s[4:5]
	v_mov_b32_dpp v0, v14 row_shr:1 row_mask:0xf bank_mask:0xf
	s_and_saveexec_b64 s[26:27], s[0:1]
	s_cbranch_execz .LBB187_8
; %bb.14:                               ;   in Loop: Header=BB187_9 Depth=1
	v_add_f32_e32 v4, v14, v0
	v_lshlrev_b64 v[0:1], 2, v[2:3]
	v_mov_b32_e32 v5, s7
	v_add_co_u32_e64 v0, s[4:5], s6, v0
	s_and_b64 vcc, exec, s[2:3]
	v_addc_co_u32_e64 v1, s[4:5], v5, v1, s[4:5]
	s_cbranch_vccnz .LBB187_7
; %bb.15:                               ;   in Loop: Header=BB187_9 Depth=1
	global_load_dword v5, v[0:1], off
	s_waitcnt vmcnt(0)
	v_fmac_f32_e32 v4, s22, v5
	s_branch .LBB187_7
.LBB187_16:
	s_endpgm
	.section	.rodata,"a",@progbits
	.p2align	6, 0x0
	.amdhsa_kernel _ZN9rocsparseL21csrmvn_general_kernelILj256ELj2EllaaffEEvbT2_NS_24const_host_device_scalarIT6_EEPKT1_S7_PKS1_PKT3_PKT4_S4_PT5_21rocsparse_index_base_b
		.amdhsa_group_segment_fixed_size 0
		.amdhsa_private_segment_fixed_size 0
		.amdhsa_kernarg_size 344
		.amdhsa_user_sgpr_count 6
		.amdhsa_user_sgpr_private_segment_buffer 1
		.amdhsa_user_sgpr_dispatch_ptr 0
		.amdhsa_user_sgpr_queue_ptr 0
		.amdhsa_user_sgpr_kernarg_segment_ptr 1
		.amdhsa_user_sgpr_dispatch_id 0
		.amdhsa_user_sgpr_flat_scratch_init 0
		.amdhsa_user_sgpr_kernarg_preload_length 0
		.amdhsa_user_sgpr_kernarg_preload_offset 0
		.amdhsa_user_sgpr_private_segment_size 0
		.amdhsa_uses_dynamic_stack 0
		.amdhsa_system_sgpr_private_segment_wavefront_offset 0
		.amdhsa_system_sgpr_workgroup_id_x 1
		.amdhsa_system_sgpr_workgroup_id_y 0
		.amdhsa_system_sgpr_workgroup_id_z 0
		.amdhsa_system_sgpr_workgroup_info 0
		.amdhsa_system_vgpr_workitem_id 0
		.amdhsa_next_free_vgpr 21
		.amdhsa_next_free_sgpr 28
		.amdhsa_accum_offset 24
		.amdhsa_reserve_vcc 1
		.amdhsa_reserve_flat_scratch 0
		.amdhsa_float_round_mode_32 0
		.amdhsa_float_round_mode_16_64 0
		.amdhsa_float_denorm_mode_32 3
		.amdhsa_float_denorm_mode_16_64 3
		.amdhsa_dx10_clamp 1
		.amdhsa_ieee_mode 1
		.amdhsa_fp16_overflow 0
		.amdhsa_tg_split 0
		.amdhsa_exception_fp_ieee_invalid_op 0
		.amdhsa_exception_fp_denorm_src 0
		.amdhsa_exception_fp_ieee_div_zero 0
		.amdhsa_exception_fp_ieee_overflow 0
		.amdhsa_exception_fp_ieee_underflow 0
		.amdhsa_exception_fp_ieee_inexact 0
		.amdhsa_exception_int_div_zero 0
	.end_amdhsa_kernel
	.section	.text._ZN9rocsparseL21csrmvn_general_kernelILj256ELj2EllaaffEEvbT2_NS_24const_host_device_scalarIT6_EEPKT1_S7_PKS1_PKT3_PKT4_S4_PT5_21rocsparse_index_base_b,"axG",@progbits,_ZN9rocsparseL21csrmvn_general_kernelILj256ELj2EllaaffEEvbT2_NS_24const_host_device_scalarIT6_EEPKT1_S7_PKS1_PKT3_PKT4_S4_PT5_21rocsparse_index_base_b,comdat
.Lfunc_end187:
	.size	_ZN9rocsparseL21csrmvn_general_kernelILj256ELj2EllaaffEEvbT2_NS_24const_host_device_scalarIT6_EEPKT1_S7_PKS1_PKT3_PKT4_S4_PT5_21rocsparse_index_base_b, .Lfunc_end187-_ZN9rocsparseL21csrmvn_general_kernelILj256ELj2EllaaffEEvbT2_NS_24const_host_device_scalarIT6_EEPKT1_S7_PKS1_PKT3_PKT4_S4_PT5_21rocsparse_index_base_b
                                        ; -- End function
	.section	.AMDGPU.csdata,"",@progbits
; Kernel info:
; codeLenInByte = 600
; NumSgprs: 32
; NumVgprs: 21
; NumAgprs: 0
; TotalNumVgprs: 21
; ScratchSize: 0
; MemoryBound: 0
; FloatMode: 240
; IeeeMode: 1
; LDSByteSize: 0 bytes/workgroup (compile time only)
; SGPRBlocks: 3
; VGPRBlocks: 2
; NumSGPRsForWavesPerEU: 32
; NumVGPRsForWavesPerEU: 21
; AccumOffset: 24
; Occupancy: 8
; WaveLimiterHint : 1
; COMPUTE_PGM_RSRC2:SCRATCH_EN: 0
; COMPUTE_PGM_RSRC2:USER_SGPR: 6
; COMPUTE_PGM_RSRC2:TRAP_HANDLER: 0
; COMPUTE_PGM_RSRC2:TGID_X_EN: 1
; COMPUTE_PGM_RSRC2:TGID_Y_EN: 0
; COMPUTE_PGM_RSRC2:TGID_Z_EN: 0
; COMPUTE_PGM_RSRC2:TIDIG_COMP_CNT: 0
; COMPUTE_PGM_RSRC3_GFX90A:ACCUM_OFFSET: 5
; COMPUTE_PGM_RSRC3_GFX90A:TG_SPLIT: 0
	.section	.text._ZN9rocsparseL21csrmvn_general_kernelILj256ELj4EllaaffEEvbT2_NS_24const_host_device_scalarIT6_EEPKT1_S7_PKS1_PKT3_PKT4_S4_PT5_21rocsparse_index_base_b,"axG",@progbits,_ZN9rocsparseL21csrmvn_general_kernelILj256ELj4EllaaffEEvbT2_NS_24const_host_device_scalarIT6_EEPKT1_S7_PKS1_PKT3_PKT4_S4_PT5_21rocsparse_index_base_b,comdat
	.globl	_ZN9rocsparseL21csrmvn_general_kernelILj256ELj4EllaaffEEvbT2_NS_24const_host_device_scalarIT6_EEPKT1_S7_PKS1_PKT3_PKT4_S4_PT5_21rocsparse_index_base_b ; -- Begin function _ZN9rocsparseL21csrmvn_general_kernelILj256ELj4EllaaffEEvbT2_NS_24const_host_device_scalarIT6_EEPKT1_S7_PKS1_PKT3_PKT4_S4_PT5_21rocsparse_index_base_b
	.p2align	8
	.type	_ZN9rocsparseL21csrmvn_general_kernelILj256ELj4EllaaffEEvbT2_NS_24const_host_device_scalarIT6_EEPKT1_S7_PKS1_PKT3_PKT4_S4_PT5_21rocsparse_index_base_b,@function
_ZN9rocsparseL21csrmvn_general_kernelILj256ELj4EllaaffEEvbT2_NS_24const_host_device_scalarIT6_EEPKT1_S7_PKS1_PKT3_PKT4_S4_PT5_21rocsparse_index_base_b: ; @_ZN9rocsparseL21csrmvn_general_kernelILj256ELj4EllaaffEEvbT2_NS_24const_host_device_scalarIT6_EEPKT1_S7_PKS1_PKT3_PKT4_S4_PT5_21rocsparse_index_base_b
; %bb.0:
	s_load_dwordx2 s[20:21], s[4:5], 0x50
	s_load_dwordx2 s[22:23], s[4:5], 0x40
	s_load_dwordx8 s[8:15], s[4:5], 0x8
	s_waitcnt lgkmcnt(0)
	s_bitcmp1_b32 s21, 0
	s_cselect_b64 s[2:3], -1, 0
	s_xor_b64 s[0:1], s[2:3], -1
	s_and_b64 vcc, exec, s[2:3]
	s_cbranch_vccnz .LBB188_2
; %bb.1:
	s_load_dword s10, s[10:11], 0x0
.LBB188_2:
	s_andn2_b64 vcc, exec, s[0:1]
	s_cbranch_vccnz .LBB188_4
; %bb.3:
	s_load_dword s22, s[22:23], 0x0
.LBB188_4:
	s_waitcnt lgkmcnt(0)
	v_cmp_neq_f32_e64 s[0:1], s10, 0
	v_cmp_neq_f32_e64 s[2:3], s22, 1.0
	s_or_b64 s[0:1], s[0:1], s[2:3]
	s_andn2_b64 vcc, exec, s[0:1]
	s_cbranch_vccnz .LBB188_16
; %bb.5:
	v_lshl_or_b32 v1, s6, 8, v0
	v_lshrrev_b32_e32 v2, 2, v1
	v_mov_b32_e32 v3, 0
	v_cmp_gt_i64_e32 vcc, s[8:9], v[2:3]
	s_and_saveexec_b64 s[0:1], vcc
	s_cbranch_execz .LBB188_16
; %bb.6:
	s_load_dword s2, s[4:5], 0x58
	s_load_dwordx2 s[6:7], s[4:5], 0x48
	s_load_dwordx4 s[16:19], s[4:5], 0x28
	s_load_dwordx2 s[0:1], s[4:5], 0x38
	v_and_b32_e32 v0, 3, v0
	v_subrev_co_u32_e32 v8, vcc, s20, v0
	s_waitcnt lgkmcnt(0)
	s_lshl_b32 s11, s2, 6
	v_subb_co_u32_e64 v9, s[2:3], 0, 0, vcc
	s_ashr_i32 s2, s20, 31
	s_sub_u32 s21, s0, s20
	s_subb_u32 s23, s1, s2
	v_cmp_neq_f32_e64 s[2:3], s22, 0
	s_mov_b32 s4, 0
	v_cmp_eq_u32_e64 s[0:1], 3, v0
	v_cndmask_b32_e64 v0, 0, 1, s[2:3]
	s_mov_b64 s[24:25], 0
	v_mov_b32_e32 v10, s13
	v_mov_b32_e32 v11, s15
	;; [unrolled: 1-line block ×3, first 2 shown]
	v_cmp_ne_u32_e64 s[2:3], 1, v0
	v_mov_b32_e32 v13, s4
	s_branch .LBB188_9
.LBB188_7:                              ;   in Loop: Header=BB188_9 Depth=1
	global_store_dword v[0:1], v4, off
.LBB188_8:                              ;   in Loop: Header=BB188_9 Depth=1
	s_or_b64 exec, exec, s[26:27]
	v_add_co_u32_e32 v2, vcc, s11, v2
	v_addc_co_u32_e32 v3, vcc, v3, v13, vcc
	v_cmp_le_i64_e32 vcc, s[8:9], v[2:3]
	s_or_b64 s[24:25], vcc, s[24:25]
	s_andn2_b64 exec, exec, s[24:25]
	s_cbranch_execz .LBB188_16
.LBB188_9:                              ; =>This Loop Header: Depth=1
                                        ;     Child Loop BB188_11 Depth 2
	v_lshlrev_b64 v[0:1], 3, v[2:3]
	v_add_co_u32_e32 v4, vcc, s14, v0
	v_addc_co_u32_e32 v5, vcc, v11, v1, vcc
	global_load_dwordx2 v[4:5], v[4:5], off
	v_add_co_u32_e32 v0, vcc, s12, v0
	v_addc_co_u32_e32 v1, vcc, v10, v1, vcc
	global_load_dwordx2 v[6:7], v[0:1], off
	v_mov_b32_e32 v14, 0
	s_waitcnt vmcnt(1)
	v_subrev_co_u32_e32 v0, vcc, s20, v4
	v_subb_co_u32_e32 v1, vcc, v5, v12, vcc
	s_waitcnt vmcnt(0)
	v_add_co_u32_e32 v4, vcc, v6, v8
	v_addc_co_u32_e32 v5, vcc, v7, v9, vcc
	v_cmp_lt_i64_e32 vcc, v[4:5], v[0:1]
	s_and_saveexec_b64 s[4:5], vcc
	s_cbranch_execz .LBB188_13
; %bb.10:                               ;   in Loop: Header=BB188_9 Depth=1
	v_lshlrev_b64 v[6:7], 3, v[4:5]
	v_mov_b32_e32 v14, s17
	v_add_co_u32_e32 v6, vcc, s16, v6
	v_addc_co_u32_e32 v7, vcc, v14, v7, vcc
	s_mov_b64 s[26:27], 0
	v_mov_b32_e32 v14, 0
.LBB188_11:                             ;   Parent Loop BB188_9 Depth=1
                                        ; =>  This Inner Loop Header: Depth=2
	global_load_dwordx2 v[16:17], v[6:7], off
	v_mov_b32_e32 v15, s19
	v_add_co_u32_e32 v18, vcc, s18, v4
	v_addc_co_u32_e32 v19, vcc, v15, v5, vcc
	v_mov_b32_e32 v20, s23
	global_load_sbyte v15, v[18:19], off
	s_waitcnt vmcnt(1)
	v_add_co_u32_e32 v16, vcc, s21, v16
	v_addc_co_u32_e32 v17, vcc, v20, v17, vcc
	global_load_sbyte v16, v[16:17], off
	v_add_co_u32_e32 v6, vcc, 32, v6
	s_waitcnt vmcnt(1)
	v_cvt_f32_i32_e32 v15, v15
	v_addc_co_u32_e32 v7, vcc, 0, v7, vcc
	v_add_co_u32_e32 v4, vcc, 4, v4
	v_addc_co_u32_e32 v5, vcc, 0, v5, vcc
	v_cmp_ge_i64_e32 vcc, v[4:5], v[0:1]
	v_mul_f32_e32 v15, s10, v15
	s_or_b64 s[26:27], vcc, s[26:27]
	s_waitcnt vmcnt(0)
	v_cvt_f32_i32_e32 v16, v16
	v_fmac_f32_e32 v14, v15, v16
	s_andn2_b64 exec, exec, s[26:27]
	s_cbranch_execnz .LBB188_11
; %bb.12:                               ;   in Loop: Header=BB188_9 Depth=1
	s_or_b64 exec, exec, s[26:27]
.LBB188_13:                             ;   in Loop: Header=BB188_9 Depth=1
	s_or_b64 exec, exec, s[4:5]
	v_mov_b32_dpp v0, v14 row_shr:1 row_mask:0xf bank_mask:0xf
	v_add_f32_e32 v0, v14, v0
	s_nop 1
	v_mov_b32_dpp v1, v0 row_shr:2 row_mask:0xf bank_mask:0xf
	s_and_saveexec_b64 s[26:27], s[0:1]
	s_cbranch_execz .LBB188_8
; %bb.14:                               ;   in Loop: Header=BB188_9 Depth=1
	v_add_f32_e32 v4, v0, v1
	v_lshlrev_b64 v[0:1], 2, v[2:3]
	v_mov_b32_e32 v5, s7
	v_add_co_u32_e64 v0, s[4:5], s6, v0
	s_and_b64 vcc, exec, s[2:3]
	v_addc_co_u32_e64 v1, s[4:5], v5, v1, s[4:5]
	s_cbranch_vccnz .LBB188_7
; %bb.15:                               ;   in Loop: Header=BB188_9 Depth=1
	global_load_dword v5, v[0:1], off
	s_waitcnt vmcnt(0)
	v_fmac_f32_e32 v4, s22, v5
	s_branch .LBB188_7
.LBB188_16:
	s_endpgm
	.section	.rodata,"a",@progbits
	.p2align	6, 0x0
	.amdhsa_kernel _ZN9rocsparseL21csrmvn_general_kernelILj256ELj4EllaaffEEvbT2_NS_24const_host_device_scalarIT6_EEPKT1_S7_PKS1_PKT3_PKT4_S4_PT5_21rocsparse_index_base_b
		.amdhsa_group_segment_fixed_size 0
		.amdhsa_private_segment_fixed_size 0
		.amdhsa_kernarg_size 344
		.amdhsa_user_sgpr_count 6
		.amdhsa_user_sgpr_private_segment_buffer 1
		.amdhsa_user_sgpr_dispatch_ptr 0
		.amdhsa_user_sgpr_queue_ptr 0
		.amdhsa_user_sgpr_kernarg_segment_ptr 1
		.amdhsa_user_sgpr_dispatch_id 0
		.amdhsa_user_sgpr_flat_scratch_init 0
		.amdhsa_user_sgpr_kernarg_preload_length 0
		.amdhsa_user_sgpr_kernarg_preload_offset 0
		.amdhsa_user_sgpr_private_segment_size 0
		.amdhsa_uses_dynamic_stack 0
		.amdhsa_system_sgpr_private_segment_wavefront_offset 0
		.amdhsa_system_sgpr_workgroup_id_x 1
		.amdhsa_system_sgpr_workgroup_id_y 0
		.amdhsa_system_sgpr_workgroup_id_z 0
		.amdhsa_system_sgpr_workgroup_info 0
		.amdhsa_system_vgpr_workitem_id 0
		.amdhsa_next_free_vgpr 21
		.amdhsa_next_free_sgpr 28
		.amdhsa_accum_offset 24
		.amdhsa_reserve_vcc 1
		.amdhsa_reserve_flat_scratch 0
		.amdhsa_float_round_mode_32 0
		.amdhsa_float_round_mode_16_64 0
		.amdhsa_float_denorm_mode_32 3
		.amdhsa_float_denorm_mode_16_64 3
		.amdhsa_dx10_clamp 1
		.amdhsa_ieee_mode 1
		.amdhsa_fp16_overflow 0
		.amdhsa_tg_split 0
		.amdhsa_exception_fp_ieee_invalid_op 0
		.amdhsa_exception_fp_denorm_src 0
		.amdhsa_exception_fp_ieee_div_zero 0
		.amdhsa_exception_fp_ieee_overflow 0
		.amdhsa_exception_fp_ieee_underflow 0
		.amdhsa_exception_fp_ieee_inexact 0
		.amdhsa_exception_int_div_zero 0
	.end_amdhsa_kernel
	.section	.text._ZN9rocsparseL21csrmvn_general_kernelILj256ELj4EllaaffEEvbT2_NS_24const_host_device_scalarIT6_EEPKT1_S7_PKS1_PKT3_PKT4_S4_PT5_21rocsparse_index_base_b,"axG",@progbits,_ZN9rocsparseL21csrmvn_general_kernelILj256ELj4EllaaffEEvbT2_NS_24const_host_device_scalarIT6_EEPKT1_S7_PKS1_PKT3_PKT4_S4_PT5_21rocsparse_index_base_b,comdat
.Lfunc_end188:
	.size	_ZN9rocsparseL21csrmvn_general_kernelILj256ELj4EllaaffEEvbT2_NS_24const_host_device_scalarIT6_EEPKT1_S7_PKS1_PKT3_PKT4_S4_PT5_21rocsparse_index_base_b, .Lfunc_end188-_ZN9rocsparseL21csrmvn_general_kernelILj256ELj4EllaaffEEvbT2_NS_24const_host_device_scalarIT6_EEPKT1_S7_PKS1_PKT3_PKT4_S4_PT5_21rocsparse_index_base_b
                                        ; -- End function
	.section	.AMDGPU.csdata,"",@progbits
; Kernel info:
; codeLenInByte = 616
; NumSgprs: 32
; NumVgprs: 21
; NumAgprs: 0
; TotalNumVgprs: 21
; ScratchSize: 0
; MemoryBound: 0
; FloatMode: 240
; IeeeMode: 1
; LDSByteSize: 0 bytes/workgroup (compile time only)
; SGPRBlocks: 3
; VGPRBlocks: 2
; NumSGPRsForWavesPerEU: 32
; NumVGPRsForWavesPerEU: 21
; AccumOffset: 24
; Occupancy: 8
; WaveLimiterHint : 1
; COMPUTE_PGM_RSRC2:SCRATCH_EN: 0
; COMPUTE_PGM_RSRC2:USER_SGPR: 6
; COMPUTE_PGM_RSRC2:TRAP_HANDLER: 0
; COMPUTE_PGM_RSRC2:TGID_X_EN: 1
; COMPUTE_PGM_RSRC2:TGID_Y_EN: 0
; COMPUTE_PGM_RSRC2:TGID_Z_EN: 0
; COMPUTE_PGM_RSRC2:TIDIG_COMP_CNT: 0
; COMPUTE_PGM_RSRC3_GFX90A:ACCUM_OFFSET: 5
; COMPUTE_PGM_RSRC3_GFX90A:TG_SPLIT: 0
	.section	.text._ZN9rocsparseL21csrmvn_general_kernelILj256ELj8EllaaffEEvbT2_NS_24const_host_device_scalarIT6_EEPKT1_S7_PKS1_PKT3_PKT4_S4_PT5_21rocsparse_index_base_b,"axG",@progbits,_ZN9rocsparseL21csrmvn_general_kernelILj256ELj8EllaaffEEvbT2_NS_24const_host_device_scalarIT6_EEPKT1_S7_PKS1_PKT3_PKT4_S4_PT5_21rocsparse_index_base_b,comdat
	.globl	_ZN9rocsparseL21csrmvn_general_kernelILj256ELj8EllaaffEEvbT2_NS_24const_host_device_scalarIT6_EEPKT1_S7_PKS1_PKT3_PKT4_S4_PT5_21rocsparse_index_base_b ; -- Begin function _ZN9rocsparseL21csrmvn_general_kernelILj256ELj8EllaaffEEvbT2_NS_24const_host_device_scalarIT6_EEPKT1_S7_PKS1_PKT3_PKT4_S4_PT5_21rocsparse_index_base_b
	.p2align	8
	.type	_ZN9rocsparseL21csrmvn_general_kernelILj256ELj8EllaaffEEvbT2_NS_24const_host_device_scalarIT6_EEPKT1_S7_PKS1_PKT3_PKT4_S4_PT5_21rocsparse_index_base_b,@function
_ZN9rocsparseL21csrmvn_general_kernelILj256ELj8EllaaffEEvbT2_NS_24const_host_device_scalarIT6_EEPKT1_S7_PKS1_PKT3_PKT4_S4_PT5_21rocsparse_index_base_b: ; @_ZN9rocsparseL21csrmvn_general_kernelILj256ELj8EllaaffEEvbT2_NS_24const_host_device_scalarIT6_EEPKT1_S7_PKS1_PKT3_PKT4_S4_PT5_21rocsparse_index_base_b
; %bb.0:
	s_load_dwordx2 s[20:21], s[4:5], 0x50
	s_load_dwordx2 s[22:23], s[4:5], 0x40
	s_load_dwordx8 s[8:15], s[4:5], 0x8
	s_waitcnt lgkmcnt(0)
	s_bitcmp1_b32 s21, 0
	s_cselect_b64 s[2:3], -1, 0
	s_xor_b64 s[0:1], s[2:3], -1
	s_and_b64 vcc, exec, s[2:3]
	s_cbranch_vccnz .LBB189_2
; %bb.1:
	s_load_dword s10, s[10:11], 0x0
.LBB189_2:
	s_andn2_b64 vcc, exec, s[0:1]
	s_cbranch_vccnz .LBB189_4
; %bb.3:
	s_load_dword s22, s[22:23], 0x0
.LBB189_4:
	s_waitcnt lgkmcnt(0)
	v_cmp_neq_f32_e64 s[0:1], s10, 0
	v_cmp_neq_f32_e64 s[2:3], s22, 1.0
	s_or_b64 s[0:1], s[0:1], s[2:3]
	s_andn2_b64 vcc, exec, s[0:1]
	s_cbranch_vccnz .LBB189_16
; %bb.5:
	v_lshl_or_b32 v1, s6, 8, v0
	v_lshrrev_b32_e32 v2, 3, v1
	v_mov_b32_e32 v3, 0
	v_cmp_gt_i64_e32 vcc, s[8:9], v[2:3]
	s_and_saveexec_b64 s[0:1], vcc
	s_cbranch_execz .LBB189_16
; %bb.6:
	s_load_dword s2, s[4:5], 0x58
	s_load_dwordx2 s[6:7], s[4:5], 0x48
	s_load_dwordx4 s[16:19], s[4:5], 0x28
	s_load_dwordx2 s[0:1], s[4:5], 0x38
	v_and_b32_e32 v0, 7, v0
	v_subrev_co_u32_e32 v8, vcc, s20, v0
	s_waitcnt lgkmcnt(0)
	s_lshl_b32 s11, s2, 5
	v_subb_co_u32_e64 v9, s[2:3], 0, 0, vcc
	s_ashr_i32 s2, s20, 31
	s_sub_u32 s21, s0, s20
	s_subb_u32 s23, s1, s2
	v_cmp_neq_f32_e64 s[2:3], s22, 0
	s_mov_b32 s4, 0
	v_cmp_eq_u32_e64 s[0:1], 7, v0
	v_cndmask_b32_e64 v0, 0, 1, s[2:3]
	s_mov_b64 s[24:25], 0
	v_mov_b32_e32 v10, s13
	v_mov_b32_e32 v11, s15
	;; [unrolled: 1-line block ×3, first 2 shown]
	v_cmp_ne_u32_e64 s[2:3], 1, v0
	v_mov_b32_e32 v13, s4
	s_branch .LBB189_9
.LBB189_7:                              ;   in Loop: Header=BB189_9 Depth=1
	global_store_dword v[0:1], v4, off
.LBB189_8:                              ;   in Loop: Header=BB189_9 Depth=1
	s_or_b64 exec, exec, s[26:27]
	v_add_co_u32_e32 v2, vcc, s11, v2
	v_addc_co_u32_e32 v3, vcc, v3, v13, vcc
	v_cmp_le_i64_e32 vcc, s[8:9], v[2:3]
	s_or_b64 s[24:25], vcc, s[24:25]
	s_andn2_b64 exec, exec, s[24:25]
	s_cbranch_execz .LBB189_16
.LBB189_9:                              ; =>This Loop Header: Depth=1
                                        ;     Child Loop BB189_11 Depth 2
	v_lshlrev_b64 v[0:1], 3, v[2:3]
	v_add_co_u32_e32 v4, vcc, s14, v0
	v_addc_co_u32_e32 v5, vcc, v11, v1, vcc
	global_load_dwordx2 v[4:5], v[4:5], off
	v_add_co_u32_e32 v0, vcc, s12, v0
	v_addc_co_u32_e32 v1, vcc, v10, v1, vcc
	global_load_dwordx2 v[6:7], v[0:1], off
	v_mov_b32_e32 v14, 0
	s_waitcnt vmcnt(1)
	v_subrev_co_u32_e32 v0, vcc, s20, v4
	v_subb_co_u32_e32 v1, vcc, v5, v12, vcc
	s_waitcnt vmcnt(0)
	v_add_co_u32_e32 v4, vcc, v6, v8
	v_addc_co_u32_e32 v5, vcc, v7, v9, vcc
	v_cmp_lt_i64_e32 vcc, v[4:5], v[0:1]
	s_and_saveexec_b64 s[4:5], vcc
	s_cbranch_execz .LBB189_13
; %bb.10:                               ;   in Loop: Header=BB189_9 Depth=1
	v_lshlrev_b64 v[6:7], 3, v[4:5]
	v_mov_b32_e32 v14, s17
	v_add_co_u32_e32 v6, vcc, s16, v6
	v_addc_co_u32_e32 v7, vcc, v14, v7, vcc
	s_mov_b64 s[26:27], 0
	v_mov_b32_e32 v14, 0
.LBB189_11:                             ;   Parent Loop BB189_9 Depth=1
                                        ; =>  This Inner Loop Header: Depth=2
	global_load_dwordx2 v[16:17], v[6:7], off
	v_mov_b32_e32 v15, s19
	v_add_co_u32_e32 v18, vcc, s18, v4
	v_addc_co_u32_e32 v19, vcc, v15, v5, vcc
	v_mov_b32_e32 v20, s23
	global_load_sbyte v15, v[18:19], off
	s_waitcnt vmcnt(1)
	v_add_co_u32_e32 v16, vcc, s21, v16
	v_addc_co_u32_e32 v17, vcc, v20, v17, vcc
	global_load_sbyte v16, v[16:17], off
	v_add_co_u32_e32 v6, vcc, 64, v6
	s_waitcnt vmcnt(1)
	v_cvt_f32_i32_e32 v15, v15
	v_addc_co_u32_e32 v7, vcc, 0, v7, vcc
	v_add_co_u32_e32 v4, vcc, 8, v4
	v_addc_co_u32_e32 v5, vcc, 0, v5, vcc
	v_cmp_ge_i64_e32 vcc, v[4:5], v[0:1]
	v_mul_f32_e32 v15, s10, v15
	s_or_b64 s[26:27], vcc, s[26:27]
	s_waitcnt vmcnt(0)
	v_cvt_f32_i32_e32 v16, v16
	v_fmac_f32_e32 v14, v15, v16
	s_andn2_b64 exec, exec, s[26:27]
	s_cbranch_execnz .LBB189_11
; %bb.12:                               ;   in Loop: Header=BB189_9 Depth=1
	s_or_b64 exec, exec, s[26:27]
.LBB189_13:                             ;   in Loop: Header=BB189_9 Depth=1
	s_or_b64 exec, exec, s[4:5]
	v_mov_b32_dpp v0, v14 row_shr:1 row_mask:0xf bank_mask:0xf
	v_add_f32_e32 v0, v14, v0
	s_nop 1
	v_mov_b32_dpp v1, v0 row_shr:2 row_mask:0xf bank_mask:0xf
	v_add_f32_e32 v0, v0, v1
	s_nop 1
	v_mov_b32_dpp v1, v0 row_shr:4 row_mask:0xf bank_mask:0xe
	s_and_saveexec_b64 s[26:27], s[0:1]
	s_cbranch_execz .LBB189_8
; %bb.14:                               ;   in Loop: Header=BB189_9 Depth=1
	v_add_f32_e32 v4, v0, v1
	v_lshlrev_b64 v[0:1], 2, v[2:3]
	v_mov_b32_e32 v5, s7
	v_add_co_u32_e64 v0, s[4:5], s6, v0
	s_and_b64 vcc, exec, s[2:3]
	v_addc_co_u32_e64 v1, s[4:5], v5, v1, s[4:5]
	s_cbranch_vccnz .LBB189_7
; %bb.15:                               ;   in Loop: Header=BB189_9 Depth=1
	global_load_dword v5, v[0:1], off
	s_waitcnt vmcnt(0)
	v_fmac_f32_e32 v4, s22, v5
	s_branch .LBB189_7
.LBB189_16:
	s_endpgm
	.section	.rodata,"a",@progbits
	.p2align	6, 0x0
	.amdhsa_kernel _ZN9rocsparseL21csrmvn_general_kernelILj256ELj8EllaaffEEvbT2_NS_24const_host_device_scalarIT6_EEPKT1_S7_PKS1_PKT3_PKT4_S4_PT5_21rocsparse_index_base_b
		.amdhsa_group_segment_fixed_size 0
		.amdhsa_private_segment_fixed_size 0
		.amdhsa_kernarg_size 344
		.amdhsa_user_sgpr_count 6
		.amdhsa_user_sgpr_private_segment_buffer 1
		.amdhsa_user_sgpr_dispatch_ptr 0
		.amdhsa_user_sgpr_queue_ptr 0
		.amdhsa_user_sgpr_kernarg_segment_ptr 1
		.amdhsa_user_sgpr_dispatch_id 0
		.amdhsa_user_sgpr_flat_scratch_init 0
		.amdhsa_user_sgpr_kernarg_preload_length 0
		.amdhsa_user_sgpr_kernarg_preload_offset 0
		.amdhsa_user_sgpr_private_segment_size 0
		.amdhsa_uses_dynamic_stack 0
		.amdhsa_system_sgpr_private_segment_wavefront_offset 0
		.amdhsa_system_sgpr_workgroup_id_x 1
		.amdhsa_system_sgpr_workgroup_id_y 0
		.amdhsa_system_sgpr_workgroup_id_z 0
		.amdhsa_system_sgpr_workgroup_info 0
		.amdhsa_system_vgpr_workitem_id 0
		.amdhsa_next_free_vgpr 21
		.amdhsa_next_free_sgpr 28
		.amdhsa_accum_offset 24
		.amdhsa_reserve_vcc 1
		.amdhsa_reserve_flat_scratch 0
		.amdhsa_float_round_mode_32 0
		.amdhsa_float_round_mode_16_64 0
		.amdhsa_float_denorm_mode_32 3
		.amdhsa_float_denorm_mode_16_64 3
		.amdhsa_dx10_clamp 1
		.amdhsa_ieee_mode 1
		.amdhsa_fp16_overflow 0
		.amdhsa_tg_split 0
		.amdhsa_exception_fp_ieee_invalid_op 0
		.amdhsa_exception_fp_denorm_src 0
		.amdhsa_exception_fp_ieee_div_zero 0
		.amdhsa_exception_fp_ieee_overflow 0
		.amdhsa_exception_fp_ieee_underflow 0
		.amdhsa_exception_fp_ieee_inexact 0
		.amdhsa_exception_int_div_zero 0
	.end_amdhsa_kernel
	.section	.text._ZN9rocsparseL21csrmvn_general_kernelILj256ELj8EllaaffEEvbT2_NS_24const_host_device_scalarIT6_EEPKT1_S7_PKS1_PKT3_PKT4_S4_PT5_21rocsparse_index_base_b,"axG",@progbits,_ZN9rocsparseL21csrmvn_general_kernelILj256ELj8EllaaffEEvbT2_NS_24const_host_device_scalarIT6_EEPKT1_S7_PKS1_PKT3_PKT4_S4_PT5_21rocsparse_index_base_b,comdat
.Lfunc_end189:
	.size	_ZN9rocsparseL21csrmvn_general_kernelILj256ELj8EllaaffEEvbT2_NS_24const_host_device_scalarIT6_EEPKT1_S7_PKS1_PKT3_PKT4_S4_PT5_21rocsparse_index_base_b, .Lfunc_end189-_ZN9rocsparseL21csrmvn_general_kernelILj256ELj8EllaaffEEvbT2_NS_24const_host_device_scalarIT6_EEPKT1_S7_PKS1_PKT3_PKT4_S4_PT5_21rocsparse_index_base_b
                                        ; -- End function
	.section	.AMDGPU.csdata,"",@progbits
; Kernel info:
; codeLenInByte = 632
; NumSgprs: 32
; NumVgprs: 21
; NumAgprs: 0
; TotalNumVgprs: 21
; ScratchSize: 0
; MemoryBound: 0
; FloatMode: 240
; IeeeMode: 1
; LDSByteSize: 0 bytes/workgroup (compile time only)
; SGPRBlocks: 3
; VGPRBlocks: 2
; NumSGPRsForWavesPerEU: 32
; NumVGPRsForWavesPerEU: 21
; AccumOffset: 24
; Occupancy: 8
; WaveLimiterHint : 1
; COMPUTE_PGM_RSRC2:SCRATCH_EN: 0
; COMPUTE_PGM_RSRC2:USER_SGPR: 6
; COMPUTE_PGM_RSRC2:TRAP_HANDLER: 0
; COMPUTE_PGM_RSRC2:TGID_X_EN: 1
; COMPUTE_PGM_RSRC2:TGID_Y_EN: 0
; COMPUTE_PGM_RSRC2:TGID_Z_EN: 0
; COMPUTE_PGM_RSRC2:TIDIG_COMP_CNT: 0
; COMPUTE_PGM_RSRC3_GFX90A:ACCUM_OFFSET: 5
; COMPUTE_PGM_RSRC3_GFX90A:TG_SPLIT: 0
	.section	.text._ZN9rocsparseL21csrmvn_general_kernelILj256ELj16EllaaffEEvbT2_NS_24const_host_device_scalarIT6_EEPKT1_S7_PKS1_PKT3_PKT4_S4_PT5_21rocsparse_index_base_b,"axG",@progbits,_ZN9rocsparseL21csrmvn_general_kernelILj256ELj16EllaaffEEvbT2_NS_24const_host_device_scalarIT6_EEPKT1_S7_PKS1_PKT3_PKT4_S4_PT5_21rocsparse_index_base_b,comdat
	.globl	_ZN9rocsparseL21csrmvn_general_kernelILj256ELj16EllaaffEEvbT2_NS_24const_host_device_scalarIT6_EEPKT1_S7_PKS1_PKT3_PKT4_S4_PT5_21rocsparse_index_base_b ; -- Begin function _ZN9rocsparseL21csrmvn_general_kernelILj256ELj16EllaaffEEvbT2_NS_24const_host_device_scalarIT6_EEPKT1_S7_PKS1_PKT3_PKT4_S4_PT5_21rocsparse_index_base_b
	.p2align	8
	.type	_ZN9rocsparseL21csrmvn_general_kernelILj256ELj16EllaaffEEvbT2_NS_24const_host_device_scalarIT6_EEPKT1_S7_PKS1_PKT3_PKT4_S4_PT5_21rocsparse_index_base_b,@function
_ZN9rocsparseL21csrmvn_general_kernelILj256ELj16EllaaffEEvbT2_NS_24const_host_device_scalarIT6_EEPKT1_S7_PKS1_PKT3_PKT4_S4_PT5_21rocsparse_index_base_b: ; @_ZN9rocsparseL21csrmvn_general_kernelILj256ELj16EllaaffEEvbT2_NS_24const_host_device_scalarIT6_EEPKT1_S7_PKS1_PKT3_PKT4_S4_PT5_21rocsparse_index_base_b
; %bb.0:
	s_load_dwordx2 s[20:21], s[4:5], 0x50
	s_load_dwordx2 s[22:23], s[4:5], 0x40
	s_load_dwordx8 s[8:15], s[4:5], 0x8
	s_waitcnt lgkmcnt(0)
	s_bitcmp1_b32 s21, 0
	s_cselect_b64 s[2:3], -1, 0
	s_xor_b64 s[0:1], s[2:3], -1
	s_and_b64 vcc, exec, s[2:3]
	s_cbranch_vccnz .LBB190_2
; %bb.1:
	s_load_dword s10, s[10:11], 0x0
.LBB190_2:
	s_andn2_b64 vcc, exec, s[0:1]
	s_cbranch_vccnz .LBB190_4
; %bb.3:
	s_load_dword s22, s[22:23], 0x0
.LBB190_4:
	s_waitcnt lgkmcnt(0)
	v_cmp_neq_f32_e64 s[0:1], s10, 0
	v_cmp_neq_f32_e64 s[2:3], s22, 1.0
	s_or_b64 s[0:1], s[0:1], s[2:3]
	s_andn2_b64 vcc, exec, s[0:1]
	s_cbranch_vccnz .LBB190_16
; %bb.5:
	v_lshl_or_b32 v1, s6, 8, v0
	v_lshrrev_b32_e32 v2, 4, v1
	v_mov_b32_e32 v3, 0
	v_cmp_gt_i64_e32 vcc, s[8:9], v[2:3]
	s_and_saveexec_b64 s[0:1], vcc
	s_cbranch_execz .LBB190_16
; %bb.6:
	s_load_dword s2, s[4:5], 0x58
	s_load_dwordx2 s[6:7], s[4:5], 0x48
	s_load_dwordx4 s[16:19], s[4:5], 0x28
	s_load_dwordx2 s[0:1], s[4:5], 0x38
	v_and_b32_e32 v0, 15, v0
	v_subrev_co_u32_e32 v8, vcc, s20, v0
	s_waitcnt lgkmcnt(0)
	s_lshl_b32 s11, s2, 4
	v_subb_co_u32_e64 v9, s[2:3], 0, 0, vcc
	s_ashr_i32 s2, s20, 31
	s_sub_u32 s21, s0, s20
	s_subb_u32 s23, s1, s2
	v_cmp_neq_f32_e64 s[2:3], s22, 0
	s_mov_b32 s4, 0
	v_cmp_eq_u32_e64 s[0:1], 15, v0
	v_cndmask_b32_e64 v0, 0, 1, s[2:3]
	s_mov_b64 s[24:25], 0
	v_mov_b32_e32 v10, s13
	v_mov_b32_e32 v11, s15
	;; [unrolled: 1-line block ×3, first 2 shown]
	v_cmp_ne_u32_e64 s[2:3], 1, v0
	v_mov_b32_e32 v13, s4
	s_branch .LBB190_9
.LBB190_7:                              ;   in Loop: Header=BB190_9 Depth=1
	global_store_dword v[0:1], v4, off
.LBB190_8:                              ;   in Loop: Header=BB190_9 Depth=1
	s_or_b64 exec, exec, s[26:27]
	v_add_co_u32_e32 v2, vcc, s11, v2
	v_addc_co_u32_e32 v3, vcc, v3, v13, vcc
	v_cmp_le_i64_e32 vcc, s[8:9], v[2:3]
	s_or_b64 s[24:25], vcc, s[24:25]
	s_andn2_b64 exec, exec, s[24:25]
	s_cbranch_execz .LBB190_16
.LBB190_9:                              ; =>This Loop Header: Depth=1
                                        ;     Child Loop BB190_11 Depth 2
	v_lshlrev_b64 v[0:1], 3, v[2:3]
	v_add_co_u32_e32 v4, vcc, s14, v0
	v_addc_co_u32_e32 v5, vcc, v11, v1, vcc
	global_load_dwordx2 v[4:5], v[4:5], off
	v_add_co_u32_e32 v0, vcc, s12, v0
	v_addc_co_u32_e32 v1, vcc, v10, v1, vcc
	global_load_dwordx2 v[6:7], v[0:1], off
	v_mov_b32_e32 v14, 0
	s_waitcnt vmcnt(1)
	v_subrev_co_u32_e32 v0, vcc, s20, v4
	v_subb_co_u32_e32 v1, vcc, v5, v12, vcc
	s_waitcnt vmcnt(0)
	v_add_co_u32_e32 v4, vcc, v6, v8
	v_addc_co_u32_e32 v5, vcc, v7, v9, vcc
	v_cmp_lt_i64_e32 vcc, v[4:5], v[0:1]
	s_and_saveexec_b64 s[26:27], vcc
	s_cbranch_execz .LBB190_13
; %bb.10:                               ;   in Loop: Header=BB190_9 Depth=1
	v_lshlrev_b64 v[6:7], 3, v[4:5]
	v_mov_b32_e32 v14, s17
	v_add_co_u32_e32 v6, vcc, s16, v6
	v_addc_co_u32_e32 v7, vcc, v14, v7, vcc
	s_mov_b64 s[28:29], 0
	v_mov_b32_e32 v14, 0
.LBB190_11:                             ;   Parent Loop BB190_9 Depth=1
                                        ; =>  This Inner Loop Header: Depth=2
	global_load_dwordx2 v[16:17], v[6:7], off
	v_mov_b32_e32 v15, s19
	v_add_co_u32_e32 v18, vcc, s18, v4
	v_addc_co_u32_e32 v19, vcc, v15, v5, vcc
	v_mov_b32_e32 v20, s23
	global_load_sbyte v15, v[18:19], off
	v_add_co_u32_e64 v4, s[4:5], 16, v4
	v_addc_co_u32_e64 v5, s[4:5], 0, v5, s[4:5]
	s_waitcnt vmcnt(1)
	v_add_co_u32_e32 v16, vcc, s21, v16
	v_addc_co_u32_e32 v17, vcc, v20, v17, vcc
	global_load_sbyte v16, v[16:17], off
	v_add_co_u32_e32 v6, vcc, 0x80, v6
	s_waitcnt vmcnt(1)
	v_cvt_f32_i32_e32 v15, v15
	v_addc_co_u32_e32 v7, vcc, 0, v7, vcc
	v_cmp_ge_i64_e32 vcc, v[4:5], v[0:1]
	v_mul_f32_e32 v15, s10, v15
	s_or_b64 s[28:29], vcc, s[28:29]
	s_waitcnt vmcnt(0)
	v_cvt_f32_i32_e32 v16, v16
	v_fmac_f32_e32 v14, v15, v16
	s_andn2_b64 exec, exec, s[28:29]
	s_cbranch_execnz .LBB190_11
; %bb.12:                               ;   in Loop: Header=BB190_9 Depth=1
	s_or_b64 exec, exec, s[28:29]
.LBB190_13:                             ;   in Loop: Header=BB190_9 Depth=1
	s_or_b64 exec, exec, s[26:27]
	v_mov_b32_dpp v0, v14 row_shr:1 row_mask:0xf bank_mask:0xf
	v_add_f32_e32 v0, v14, v0
	s_nop 1
	v_mov_b32_dpp v1, v0 row_shr:2 row_mask:0xf bank_mask:0xf
	v_add_f32_e32 v0, v0, v1
	s_nop 1
	;; [unrolled: 3-line block ×3, first 2 shown]
	v_mov_b32_dpp v1, v0 row_shr:8 row_mask:0xf bank_mask:0xc
	s_and_saveexec_b64 s[26:27], s[0:1]
	s_cbranch_execz .LBB190_8
; %bb.14:                               ;   in Loop: Header=BB190_9 Depth=1
	v_add_f32_e32 v4, v0, v1
	v_lshlrev_b64 v[0:1], 2, v[2:3]
	v_mov_b32_e32 v5, s7
	v_add_co_u32_e64 v0, s[4:5], s6, v0
	s_and_b64 vcc, exec, s[2:3]
	v_addc_co_u32_e64 v1, s[4:5], v5, v1, s[4:5]
	s_cbranch_vccnz .LBB190_7
; %bb.15:                               ;   in Loop: Header=BB190_9 Depth=1
	global_load_dword v5, v[0:1], off
	s_waitcnt vmcnt(0)
	v_fmac_f32_e32 v4, s22, v5
	s_branch .LBB190_7
.LBB190_16:
	s_endpgm
	.section	.rodata,"a",@progbits
	.p2align	6, 0x0
	.amdhsa_kernel _ZN9rocsparseL21csrmvn_general_kernelILj256ELj16EllaaffEEvbT2_NS_24const_host_device_scalarIT6_EEPKT1_S7_PKS1_PKT3_PKT4_S4_PT5_21rocsparse_index_base_b
		.amdhsa_group_segment_fixed_size 0
		.amdhsa_private_segment_fixed_size 0
		.amdhsa_kernarg_size 344
		.amdhsa_user_sgpr_count 6
		.amdhsa_user_sgpr_private_segment_buffer 1
		.amdhsa_user_sgpr_dispatch_ptr 0
		.amdhsa_user_sgpr_queue_ptr 0
		.amdhsa_user_sgpr_kernarg_segment_ptr 1
		.amdhsa_user_sgpr_dispatch_id 0
		.amdhsa_user_sgpr_flat_scratch_init 0
		.amdhsa_user_sgpr_kernarg_preload_length 0
		.amdhsa_user_sgpr_kernarg_preload_offset 0
		.amdhsa_user_sgpr_private_segment_size 0
		.amdhsa_uses_dynamic_stack 0
		.amdhsa_system_sgpr_private_segment_wavefront_offset 0
		.amdhsa_system_sgpr_workgroup_id_x 1
		.amdhsa_system_sgpr_workgroup_id_y 0
		.amdhsa_system_sgpr_workgroup_id_z 0
		.amdhsa_system_sgpr_workgroup_info 0
		.amdhsa_system_vgpr_workitem_id 0
		.amdhsa_next_free_vgpr 21
		.amdhsa_next_free_sgpr 30
		.amdhsa_accum_offset 24
		.amdhsa_reserve_vcc 1
		.amdhsa_reserve_flat_scratch 0
		.amdhsa_float_round_mode_32 0
		.amdhsa_float_round_mode_16_64 0
		.amdhsa_float_denorm_mode_32 3
		.amdhsa_float_denorm_mode_16_64 3
		.amdhsa_dx10_clamp 1
		.amdhsa_ieee_mode 1
		.amdhsa_fp16_overflow 0
		.amdhsa_tg_split 0
		.amdhsa_exception_fp_ieee_invalid_op 0
		.amdhsa_exception_fp_denorm_src 0
		.amdhsa_exception_fp_ieee_div_zero 0
		.amdhsa_exception_fp_ieee_overflow 0
		.amdhsa_exception_fp_ieee_underflow 0
		.amdhsa_exception_fp_ieee_inexact 0
		.amdhsa_exception_int_div_zero 0
	.end_amdhsa_kernel
	.section	.text._ZN9rocsparseL21csrmvn_general_kernelILj256ELj16EllaaffEEvbT2_NS_24const_host_device_scalarIT6_EEPKT1_S7_PKS1_PKT3_PKT4_S4_PT5_21rocsparse_index_base_b,"axG",@progbits,_ZN9rocsparseL21csrmvn_general_kernelILj256ELj16EllaaffEEvbT2_NS_24const_host_device_scalarIT6_EEPKT1_S7_PKS1_PKT3_PKT4_S4_PT5_21rocsparse_index_base_b,comdat
.Lfunc_end190:
	.size	_ZN9rocsparseL21csrmvn_general_kernelILj256ELj16EllaaffEEvbT2_NS_24const_host_device_scalarIT6_EEPKT1_S7_PKS1_PKT3_PKT4_S4_PT5_21rocsparse_index_base_b, .Lfunc_end190-_ZN9rocsparseL21csrmvn_general_kernelILj256ELj16EllaaffEEvbT2_NS_24const_host_device_scalarIT6_EEPKT1_S7_PKS1_PKT3_PKT4_S4_PT5_21rocsparse_index_base_b
                                        ; -- End function
	.section	.AMDGPU.csdata,"",@progbits
; Kernel info:
; codeLenInByte = 660
; NumSgprs: 34
; NumVgprs: 21
; NumAgprs: 0
; TotalNumVgprs: 21
; ScratchSize: 0
; MemoryBound: 0
; FloatMode: 240
; IeeeMode: 1
; LDSByteSize: 0 bytes/workgroup (compile time only)
; SGPRBlocks: 4
; VGPRBlocks: 2
; NumSGPRsForWavesPerEU: 34
; NumVGPRsForWavesPerEU: 21
; AccumOffset: 24
; Occupancy: 8
; WaveLimiterHint : 1
; COMPUTE_PGM_RSRC2:SCRATCH_EN: 0
; COMPUTE_PGM_RSRC2:USER_SGPR: 6
; COMPUTE_PGM_RSRC2:TRAP_HANDLER: 0
; COMPUTE_PGM_RSRC2:TGID_X_EN: 1
; COMPUTE_PGM_RSRC2:TGID_Y_EN: 0
; COMPUTE_PGM_RSRC2:TGID_Z_EN: 0
; COMPUTE_PGM_RSRC2:TIDIG_COMP_CNT: 0
; COMPUTE_PGM_RSRC3_GFX90A:ACCUM_OFFSET: 5
; COMPUTE_PGM_RSRC3_GFX90A:TG_SPLIT: 0
	.section	.text._ZN9rocsparseL21csrmvn_general_kernelILj256ELj32EllaaffEEvbT2_NS_24const_host_device_scalarIT6_EEPKT1_S7_PKS1_PKT3_PKT4_S4_PT5_21rocsparse_index_base_b,"axG",@progbits,_ZN9rocsparseL21csrmvn_general_kernelILj256ELj32EllaaffEEvbT2_NS_24const_host_device_scalarIT6_EEPKT1_S7_PKS1_PKT3_PKT4_S4_PT5_21rocsparse_index_base_b,comdat
	.globl	_ZN9rocsparseL21csrmvn_general_kernelILj256ELj32EllaaffEEvbT2_NS_24const_host_device_scalarIT6_EEPKT1_S7_PKS1_PKT3_PKT4_S4_PT5_21rocsparse_index_base_b ; -- Begin function _ZN9rocsparseL21csrmvn_general_kernelILj256ELj32EllaaffEEvbT2_NS_24const_host_device_scalarIT6_EEPKT1_S7_PKS1_PKT3_PKT4_S4_PT5_21rocsparse_index_base_b
	.p2align	8
	.type	_ZN9rocsparseL21csrmvn_general_kernelILj256ELj32EllaaffEEvbT2_NS_24const_host_device_scalarIT6_EEPKT1_S7_PKS1_PKT3_PKT4_S4_PT5_21rocsparse_index_base_b,@function
_ZN9rocsparseL21csrmvn_general_kernelILj256ELj32EllaaffEEvbT2_NS_24const_host_device_scalarIT6_EEPKT1_S7_PKS1_PKT3_PKT4_S4_PT5_21rocsparse_index_base_b: ; @_ZN9rocsparseL21csrmvn_general_kernelILj256ELj32EllaaffEEvbT2_NS_24const_host_device_scalarIT6_EEPKT1_S7_PKS1_PKT3_PKT4_S4_PT5_21rocsparse_index_base_b
; %bb.0:
	s_load_dwordx2 s[20:21], s[4:5], 0x50
	s_load_dwordx2 s[22:23], s[4:5], 0x40
	s_load_dwordx8 s[8:15], s[4:5], 0x8
	s_waitcnt lgkmcnt(0)
	s_bitcmp1_b32 s21, 0
	s_cselect_b64 s[2:3], -1, 0
	s_xor_b64 s[0:1], s[2:3], -1
	s_and_b64 vcc, exec, s[2:3]
	s_cbranch_vccnz .LBB191_2
; %bb.1:
	s_load_dword s10, s[10:11], 0x0
.LBB191_2:
	s_andn2_b64 vcc, exec, s[0:1]
	s_cbranch_vccnz .LBB191_4
; %bb.3:
	s_load_dword s22, s[22:23], 0x0
.LBB191_4:
	s_waitcnt lgkmcnt(0)
	v_cmp_neq_f32_e64 s[0:1], s10, 0
	v_cmp_neq_f32_e64 s[2:3], s22, 1.0
	s_or_b64 s[0:1], s[0:1], s[2:3]
	s_andn2_b64 vcc, exec, s[0:1]
	s_cbranch_vccnz .LBB191_16
; %bb.5:
	v_lshl_or_b32 v1, s6, 8, v0
	v_lshrrev_b32_e32 v2, 5, v1
	v_mov_b32_e32 v3, 0
	v_cmp_gt_i64_e32 vcc, s[8:9], v[2:3]
	s_and_saveexec_b64 s[0:1], vcc
	s_cbranch_execz .LBB191_16
; %bb.6:
	s_load_dword s2, s[4:5], 0x58
	s_load_dwordx2 s[6:7], s[4:5], 0x48
	s_load_dwordx4 s[16:19], s[4:5], 0x28
	s_load_dwordx2 s[0:1], s[4:5], 0x38
	v_and_b32_e32 v0, 31, v0
	v_subrev_co_u32_e32 v8, vcc, s20, v0
	s_waitcnt lgkmcnt(0)
	s_lshl_b32 s11, s2, 3
	v_subb_co_u32_e64 v9, s[2:3], 0, 0, vcc
	s_ashr_i32 s2, s20, 31
	s_sub_u32 s21, s0, s20
	s_subb_u32 s23, s1, s2
	v_cmp_neq_f32_e64 s[2:3], s22, 0
	s_mov_b32 s4, 0
	v_cmp_eq_u32_e64 s[0:1], 31, v0
	v_cndmask_b32_e64 v0, 0, 1, s[2:3]
	s_mov_b64 s[24:25], 0
	v_mov_b32_e32 v10, s13
	v_mov_b32_e32 v11, s15
	;; [unrolled: 1-line block ×3, first 2 shown]
	v_cmp_ne_u32_e64 s[2:3], 1, v0
	v_mov_b32_e32 v13, s4
	s_branch .LBB191_9
.LBB191_7:                              ;   in Loop: Header=BB191_9 Depth=1
	global_store_dword v[0:1], v4, off
.LBB191_8:                              ;   in Loop: Header=BB191_9 Depth=1
	s_or_b64 exec, exec, s[26:27]
	v_add_co_u32_e32 v2, vcc, s11, v2
	v_addc_co_u32_e32 v3, vcc, v3, v13, vcc
	v_cmp_le_i64_e32 vcc, s[8:9], v[2:3]
	s_or_b64 s[24:25], vcc, s[24:25]
	s_andn2_b64 exec, exec, s[24:25]
	s_cbranch_execz .LBB191_16
.LBB191_9:                              ; =>This Loop Header: Depth=1
                                        ;     Child Loop BB191_11 Depth 2
	v_lshlrev_b64 v[0:1], 3, v[2:3]
	v_add_co_u32_e32 v4, vcc, s14, v0
	v_addc_co_u32_e32 v5, vcc, v11, v1, vcc
	global_load_dwordx2 v[4:5], v[4:5], off
	v_add_co_u32_e32 v0, vcc, s12, v0
	v_addc_co_u32_e32 v1, vcc, v10, v1, vcc
	global_load_dwordx2 v[6:7], v[0:1], off
	v_mov_b32_e32 v14, 0
	s_waitcnt vmcnt(1)
	v_subrev_co_u32_e32 v0, vcc, s20, v4
	v_subb_co_u32_e32 v1, vcc, v5, v12, vcc
	s_waitcnt vmcnt(0)
	v_add_co_u32_e32 v4, vcc, v6, v8
	v_addc_co_u32_e32 v5, vcc, v7, v9, vcc
	v_cmp_lt_i64_e32 vcc, v[4:5], v[0:1]
	s_and_saveexec_b64 s[26:27], vcc
	s_cbranch_execz .LBB191_13
; %bb.10:                               ;   in Loop: Header=BB191_9 Depth=1
	v_lshlrev_b64 v[6:7], 3, v[4:5]
	v_mov_b32_e32 v14, s17
	v_add_co_u32_e32 v6, vcc, s16, v6
	v_addc_co_u32_e32 v7, vcc, v14, v7, vcc
	s_mov_b64 s[28:29], 0
	v_mov_b32_e32 v14, 0
.LBB191_11:                             ;   Parent Loop BB191_9 Depth=1
                                        ; =>  This Inner Loop Header: Depth=2
	global_load_dwordx2 v[16:17], v[6:7], off
	v_mov_b32_e32 v15, s19
	v_add_co_u32_e32 v18, vcc, s18, v4
	v_addc_co_u32_e32 v19, vcc, v15, v5, vcc
	v_mov_b32_e32 v20, s23
	global_load_sbyte v15, v[18:19], off
	v_add_co_u32_e64 v4, s[4:5], 32, v4
	v_addc_co_u32_e64 v5, s[4:5], 0, v5, s[4:5]
	s_waitcnt vmcnt(1)
	v_add_co_u32_e32 v16, vcc, s21, v16
	v_addc_co_u32_e32 v17, vcc, v20, v17, vcc
	global_load_sbyte v16, v[16:17], off
	v_add_co_u32_e32 v6, vcc, 0x100, v6
	s_waitcnt vmcnt(1)
	v_cvt_f32_i32_e32 v15, v15
	v_addc_co_u32_e32 v7, vcc, 0, v7, vcc
	v_cmp_ge_i64_e32 vcc, v[4:5], v[0:1]
	v_mul_f32_e32 v15, s10, v15
	s_or_b64 s[28:29], vcc, s[28:29]
	s_waitcnt vmcnt(0)
	v_cvt_f32_i32_e32 v16, v16
	v_fmac_f32_e32 v14, v15, v16
	s_andn2_b64 exec, exec, s[28:29]
	s_cbranch_execnz .LBB191_11
; %bb.12:                               ;   in Loop: Header=BB191_9 Depth=1
	s_or_b64 exec, exec, s[28:29]
.LBB191_13:                             ;   in Loop: Header=BB191_9 Depth=1
	s_or_b64 exec, exec, s[26:27]
	v_mov_b32_dpp v0, v14 row_shr:1 row_mask:0xf bank_mask:0xf
	v_add_f32_e32 v0, v14, v0
	s_nop 1
	v_mov_b32_dpp v1, v0 row_shr:2 row_mask:0xf bank_mask:0xf
	v_add_f32_e32 v0, v0, v1
	s_nop 1
	;; [unrolled: 3-line block ×4, first 2 shown]
	v_mov_b32_dpp v1, v0 row_bcast:15 row_mask:0xa bank_mask:0xf
	s_and_saveexec_b64 s[26:27], s[0:1]
	s_cbranch_execz .LBB191_8
; %bb.14:                               ;   in Loop: Header=BB191_9 Depth=1
	v_add_f32_e32 v4, v0, v1
	v_lshlrev_b64 v[0:1], 2, v[2:3]
	v_mov_b32_e32 v5, s7
	v_add_co_u32_e64 v0, s[4:5], s6, v0
	s_and_b64 vcc, exec, s[2:3]
	v_addc_co_u32_e64 v1, s[4:5], v5, v1, s[4:5]
	s_cbranch_vccnz .LBB191_7
; %bb.15:                               ;   in Loop: Header=BB191_9 Depth=1
	global_load_dword v5, v[0:1], off
	s_waitcnt vmcnt(0)
	v_fmac_f32_e32 v4, s22, v5
	s_branch .LBB191_7
.LBB191_16:
	s_endpgm
	.section	.rodata,"a",@progbits
	.p2align	6, 0x0
	.amdhsa_kernel _ZN9rocsparseL21csrmvn_general_kernelILj256ELj32EllaaffEEvbT2_NS_24const_host_device_scalarIT6_EEPKT1_S7_PKS1_PKT3_PKT4_S4_PT5_21rocsparse_index_base_b
		.amdhsa_group_segment_fixed_size 0
		.amdhsa_private_segment_fixed_size 0
		.amdhsa_kernarg_size 344
		.amdhsa_user_sgpr_count 6
		.amdhsa_user_sgpr_private_segment_buffer 1
		.amdhsa_user_sgpr_dispatch_ptr 0
		.amdhsa_user_sgpr_queue_ptr 0
		.amdhsa_user_sgpr_kernarg_segment_ptr 1
		.amdhsa_user_sgpr_dispatch_id 0
		.amdhsa_user_sgpr_flat_scratch_init 0
		.amdhsa_user_sgpr_kernarg_preload_length 0
		.amdhsa_user_sgpr_kernarg_preload_offset 0
		.amdhsa_user_sgpr_private_segment_size 0
		.amdhsa_uses_dynamic_stack 0
		.amdhsa_system_sgpr_private_segment_wavefront_offset 0
		.amdhsa_system_sgpr_workgroup_id_x 1
		.amdhsa_system_sgpr_workgroup_id_y 0
		.amdhsa_system_sgpr_workgroup_id_z 0
		.amdhsa_system_sgpr_workgroup_info 0
		.amdhsa_system_vgpr_workitem_id 0
		.amdhsa_next_free_vgpr 21
		.amdhsa_next_free_sgpr 30
		.amdhsa_accum_offset 24
		.amdhsa_reserve_vcc 1
		.amdhsa_reserve_flat_scratch 0
		.amdhsa_float_round_mode_32 0
		.amdhsa_float_round_mode_16_64 0
		.amdhsa_float_denorm_mode_32 3
		.amdhsa_float_denorm_mode_16_64 3
		.amdhsa_dx10_clamp 1
		.amdhsa_ieee_mode 1
		.amdhsa_fp16_overflow 0
		.amdhsa_tg_split 0
		.amdhsa_exception_fp_ieee_invalid_op 0
		.amdhsa_exception_fp_denorm_src 0
		.amdhsa_exception_fp_ieee_div_zero 0
		.amdhsa_exception_fp_ieee_overflow 0
		.amdhsa_exception_fp_ieee_underflow 0
		.amdhsa_exception_fp_ieee_inexact 0
		.amdhsa_exception_int_div_zero 0
	.end_amdhsa_kernel
	.section	.text._ZN9rocsparseL21csrmvn_general_kernelILj256ELj32EllaaffEEvbT2_NS_24const_host_device_scalarIT6_EEPKT1_S7_PKS1_PKT3_PKT4_S4_PT5_21rocsparse_index_base_b,"axG",@progbits,_ZN9rocsparseL21csrmvn_general_kernelILj256ELj32EllaaffEEvbT2_NS_24const_host_device_scalarIT6_EEPKT1_S7_PKS1_PKT3_PKT4_S4_PT5_21rocsparse_index_base_b,comdat
.Lfunc_end191:
	.size	_ZN9rocsparseL21csrmvn_general_kernelILj256ELj32EllaaffEEvbT2_NS_24const_host_device_scalarIT6_EEPKT1_S7_PKS1_PKT3_PKT4_S4_PT5_21rocsparse_index_base_b, .Lfunc_end191-_ZN9rocsparseL21csrmvn_general_kernelILj256ELj32EllaaffEEvbT2_NS_24const_host_device_scalarIT6_EEPKT1_S7_PKS1_PKT3_PKT4_S4_PT5_21rocsparse_index_base_b
                                        ; -- End function
	.section	.AMDGPU.csdata,"",@progbits
; Kernel info:
; codeLenInByte = 676
; NumSgprs: 34
; NumVgprs: 21
; NumAgprs: 0
; TotalNumVgprs: 21
; ScratchSize: 0
; MemoryBound: 0
; FloatMode: 240
; IeeeMode: 1
; LDSByteSize: 0 bytes/workgroup (compile time only)
; SGPRBlocks: 4
; VGPRBlocks: 2
; NumSGPRsForWavesPerEU: 34
; NumVGPRsForWavesPerEU: 21
; AccumOffset: 24
; Occupancy: 8
; WaveLimiterHint : 1
; COMPUTE_PGM_RSRC2:SCRATCH_EN: 0
; COMPUTE_PGM_RSRC2:USER_SGPR: 6
; COMPUTE_PGM_RSRC2:TRAP_HANDLER: 0
; COMPUTE_PGM_RSRC2:TGID_X_EN: 1
; COMPUTE_PGM_RSRC2:TGID_Y_EN: 0
; COMPUTE_PGM_RSRC2:TGID_Z_EN: 0
; COMPUTE_PGM_RSRC2:TIDIG_COMP_CNT: 0
; COMPUTE_PGM_RSRC3_GFX90A:ACCUM_OFFSET: 5
; COMPUTE_PGM_RSRC3_GFX90A:TG_SPLIT: 0
	.section	.text._ZN9rocsparseL21csrmvn_general_kernelILj256ELj64EllaaffEEvbT2_NS_24const_host_device_scalarIT6_EEPKT1_S7_PKS1_PKT3_PKT4_S4_PT5_21rocsparse_index_base_b,"axG",@progbits,_ZN9rocsparseL21csrmvn_general_kernelILj256ELj64EllaaffEEvbT2_NS_24const_host_device_scalarIT6_EEPKT1_S7_PKS1_PKT3_PKT4_S4_PT5_21rocsparse_index_base_b,comdat
	.globl	_ZN9rocsparseL21csrmvn_general_kernelILj256ELj64EllaaffEEvbT2_NS_24const_host_device_scalarIT6_EEPKT1_S7_PKS1_PKT3_PKT4_S4_PT5_21rocsparse_index_base_b ; -- Begin function _ZN9rocsparseL21csrmvn_general_kernelILj256ELj64EllaaffEEvbT2_NS_24const_host_device_scalarIT6_EEPKT1_S7_PKS1_PKT3_PKT4_S4_PT5_21rocsparse_index_base_b
	.p2align	8
	.type	_ZN9rocsparseL21csrmvn_general_kernelILj256ELj64EllaaffEEvbT2_NS_24const_host_device_scalarIT6_EEPKT1_S7_PKS1_PKT3_PKT4_S4_PT5_21rocsparse_index_base_b,@function
_ZN9rocsparseL21csrmvn_general_kernelILj256ELj64EllaaffEEvbT2_NS_24const_host_device_scalarIT6_EEPKT1_S7_PKS1_PKT3_PKT4_S4_PT5_21rocsparse_index_base_b: ; @_ZN9rocsparseL21csrmvn_general_kernelILj256ELj64EllaaffEEvbT2_NS_24const_host_device_scalarIT6_EEPKT1_S7_PKS1_PKT3_PKT4_S4_PT5_21rocsparse_index_base_b
; %bb.0:
	s_load_dwordx2 s[20:21], s[4:5], 0x50
	s_load_dwordx2 s[22:23], s[4:5], 0x40
	s_load_dwordx8 s[8:15], s[4:5], 0x8
	s_waitcnt lgkmcnt(0)
	s_bitcmp1_b32 s21, 0
	s_cselect_b64 s[2:3], -1, 0
	s_xor_b64 s[0:1], s[2:3], -1
	s_and_b64 vcc, exec, s[2:3]
	s_cbranch_vccnz .LBB192_2
; %bb.1:
	s_load_dword s10, s[10:11], 0x0
.LBB192_2:
	s_andn2_b64 vcc, exec, s[0:1]
	s_cbranch_vccnz .LBB192_4
; %bb.3:
	s_load_dword s22, s[22:23], 0x0
.LBB192_4:
	s_waitcnt lgkmcnt(0)
	v_cmp_neq_f32_e64 s[0:1], s10, 0
	v_cmp_neq_f32_e64 s[2:3], s22, 1.0
	s_or_b64 s[0:1], s[0:1], s[2:3]
	s_andn2_b64 vcc, exec, s[0:1]
	s_cbranch_vccnz .LBB192_16
; %bb.5:
	v_lshl_or_b32 v1, s6, 8, v0
	v_lshrrev_b32_e32 v2, 6, v1
	v_mov_b32_e32 v3, 0
	v_cmp_gt_i64_e32 vcc, s[8:9], v[2:3]
	s_and_saveexec_b64 s[0:1], vcc
	s_cbranch_execz .LBB192_16
; %bb.6:
	s_load_dword s2, s[4:5], 0x58
	s_load_dwordx2 s[6:7], s[4:5], 0x48
	s_load_dwordx4 s[16:19], s[4:5], 0x28
	s_load_dwordx2 s[0:1], s[4:5], 0x38
	v_and_b32_e32 v0, 63, v0
	v_subrev_co_u32_e32 v8, vcc, s20, v0
	s_waitcnt lgkmcnt(0)
	s_lshl_b32 s11, s2, 2
	v_subb_co_u32_e64 v9, s[2:3], 0, 0, vcc
	s_ashr_i32 s2, s20, 31
	s_sub_u32 s21, s0, s20
	s_subb_u32 s23, s1, s2
	v_cmp_neq_f32_e64 s[2:3], s22, 0
	s_mov_b32 s4, 0
	v_cmp_eq_u32_e64 s[0:1], 63, v0
	v_cndmask_b32_e64 v0, 0, 1, s[2:3]
	s_mov_b64 s[24:25], 0
	v_mov_b32_e32 v10, s13
	v_mov_b32_e32 v11, s15
	;; [unrolled: 1-line block ×3, first 2 shown]
	v_cmp_ne_u32_e64 s[2:3], 1, v0
	v_mov_b32_e32 v13, s4
	s_branch .LBB192_9
.LBB192_7:                              ;   in Loop: Header=BB192_9 Depth=1
	global_store_dword v[0:1], v4, off
.LBB192_8:                              ;   in Loop: Header=BB192_9 Depth=1
	s_or_b64 exec, exec, s[26:27]
	v_add_co_u32_e32 v2, vcc, s11, v2
	v_addc_co_u32_e32 v3, vcc, v3, v13, vcc
	v_cmp_le_i64_e32 vcc, s[8:9], v[2:3]
	s_or_b64 s[24:25], vcc, s[24:25]
	s_andn2_b64 exec, exec, s[24:25]
	s_cbranch_execz .LBB192_16
.LBB192_9:                              ; =>This Loop Header: Depth=1
                                        ;     Child Loop BB192_11 Depth 2
	v_lshlrev_b64 v[0:1], 3, v[2:3]
	v_add_co_u32_e32 v4, vcc, s14, v0
	v_addc_co_u32_e32 v5, vcc, v11, v1, vcc
	global_load_dwordx2 v[4:5], v[4:5], off
	v_add_co_u32_e32 v0, vcc, s12, v0
	v_addc_co_u32_e32 v1, vcc, v10, v1, vcc
	global_load_dwordx2 v[6:7], v[0:1], off
	v_mov_b32_e32 v14, 0
	s_waitcnt vmcnt(1)
	v_subrev_co_u32_e32 v0, vcc, s20, v4
	v_subb_co_u32_e32 v1, vcc, v5, v12, vcc
	s_waitcnt vmcnt(0)
	v_add_co_u32_e32 v4, vcc, v6, v8
	v_addc_co_u32_e32 v5, vcc, v7, v9, vcc
	v_cmp_lt_i64_e32 vcc, v[4:5], v[0:1]
	s_and_saveexec_b64 s[26:27], vcc
	s_cbranch_execz .LBB192_13
; %bb.10:                               ;   in Loop: Header=BB192_9 Depth=1
	v_lshlrev_b64 v[6:7], 3, v[4:5]
	v_mov_b32_e32 v14, s17
	v_add_co_u32_e32 v6, vcc, s16, v6
	v_addc_co_u32_e32 v7, vcc, v14, v7, vcc
	s_mov_b64 s[28:29], 0
	v_mov_b32_e32 v14, 0
.LBB192_11:                             ;   Parent Loop BB192_9 Depth=1
                                        ; =>  This Inner Loop Header: Depth=2
	global_load_dwordx2 v[16:17], v[6:7], off
	v_mov_b32_e32 v15, s19
	v_add_co_u32_e32 v18, vcc, s18, v4
	v_addc_co_u32_e32 v19, vcc, v15, v5, vcc
	v_mov_b32_e32 v20, s23
	global_load_sbyte v15, v[18:19], off
	v_add_co_u32_e64 v4, s[4:5], 64, v4
	v_addc_co_u32_e64 v5, s[4:5], 0, v5, s[4:5]
	s_waitcnt vmcnt(1)
	v_add_co_u32_e32 v16, vcc, s21, v16
	v_addc_co_u32_e32 v17, vcc, v20, v17, vcc
	global_load_sbyte v16, v[16:17], off
	v_add_co_u32_e32 v6, vcc, 0x200, v6
	s_waitcnt vmcnt(1)
	v_cvt_f32_i32_e32 v15, v15
	v_addc_co_u32_e32 v7, vcc, 0, v7, vcc
	v_cmp_ge_i64_e32 vcc, v[4:5], v[0:1]
	v_mul_f32_e32 v15, s10, v15
	s_or_b64 s[28:29], vcc, s[28:29]
	s_waitcnt vmcnt(0)
	v_cvt_f32_i32_e32 v16, v16
	v_fmac_f32_e32 v14, v15, v16
	s_andn2_b64 exec, exec, s[28:29]
	s_cbranch_execnz .LBB192_11
; %bb.12:                               ;   in Loop: Header=BB192_9 Depth=1
	s_or_b64 exec, exec, s[28:29]
.LBB192_13:                             ;   in Loop: Header=BB192_9 Depth=1
	s_or_b64 exec, exec, s[26:27]
	v_mov_b32_dpp v0, v14 row_shr:1 row_mask:0xf bank_mask:0xf
	v_add_f32_e32 v0, v14, v0
	s_nop 1
	v_mov_b32_dpp v1, v0 row_shr:2 row_mask:0xf bank_mask:0xf
	v_add_f32_e32 v0, v0, v1
	s_nop 1
	;; [unrolled: 3-line block ×4, first 2 shown]
	v_mov_b32_dpp v1, v0 row_bcast:15 row_mask:0xa bank_mask:0xf
	v_add_f32_e32 v0, v0, v1
	s_nop 1
	v_mov_b32_dpp v1, v0 row_bcast:31 row_mask:0xc bank_mask:0xf
	s_and_saveexec_b64 s[26:27], s[0:1]
	s_cbranch_execz .LBB192_8
; %bb.14:                               ;   in Loop: Header=BB192_9 Depth=1
	v_add_f32_e32 v4, v0, v1
	v_lshlrev_b64 v[0:1], 2, v[2:3]
	v_mov_b32_e32 v5, s7
	v_add_co_u32_e64 v0, s[4:5], s6, v0
	s_and_b64 vcc, exec, s[2:3]
	v_addc_co_u32_e64 v1, s[4:5], v5, v1, s[4:5]
	s_cbranch_vccnz .LBB192_7
; %bb.15:                               ;   in Loop: Header=BB192_9 Depth=1
	global_load_dword v5, v[0:1], off
	s_waitcnt vmcnt(0)
	v_fmac_f32_e32 v4, s22, v5
	s_branch .LBB192_7
.LBB192_16:
	s_endpgm
	.section	.rodata,"a",@progbits
	.p2align	6, 0x0
	.amdhsa_kernel _ZN9rocsparseL21csrmvn_general_kernelILj256ELj64EllaaffEEvbT2_NS_24const_host_device_scalarIT6_EEPKT1_S7_PKS1_PKT3_PKT4_S4_PT5_21rocsparse_index_base_b
		.amdhsa_group_segment_fixed_size 0
		.amdhsa_private_segment_fixed_size 0
		.amdhsa_kernarg_size 344
		.amdhsa_user_sgpr_count 6
		.amdhsa_user_sgpr_private_segment_buffer 1
		.amdhsa_user_sgpr_dispatch_ptr 0
		.amdhsa_user_sgpr_queue_ptr 0
		.amdhsa_user_sgpr_kernarg_segment_ptr 1
		.amdhsa_user_sgpr_dispatch_id 0
		.amdhsa_user_sgpr_flat_scratch_init 0
		.amdhsa_user_sgpr_kernarg_preload_length 0
		.amdhsa_user_sgpr_kernarg_preload_offset 0
		.amdhsa_user_sgpr_private_segment_size 0
		.amdhsa_uses_dynamic_stack 0
		.amdhsa_system_sgpr_private_segment_wavefront_offset 0
		.amdhsa_system_sgpr_workgroup_id_x 1
		.amdhsa_system_sgpr_workgroup_id_y 0
		.amdhsa_system_sgpr_workgroup_id_z 0
		.amdhsa_system_sgpr_workgroup_info 0
		.amdhsa_system_vgpr_workitem_id 0
		.amdhsa_next_free_vgpr 21
		.amdhsa_next_free_sgpr 30
		.amdhsa_accum_offset 24
		.amdhsa_reserve_vcc 1
		.amdhsa_reserve_flat_scratch 0
		.amdhsa_float_round_mode_32 0
		.amdhsa_float_round_mode_16_64 0
		.amdhsa_float_denorm_mode_32 3
		.amdhsa_float_denorm_mode_16_64 3
		.amdhsa_dx10_clamp 1
		.amdhsa_ieee_mode 1
		.amdhsa_fp16_overflow 0
		.amdhsa_tg_split 0
		.amdhsa_exception_fp_ieee_invalid_op 0
		.amdhsa_exception_fp_denorm_src 0
		.amdhsa_exception_fp_ieee_div_zero 0
		.amdhsa_exception_fp_ieee_overflow 0
		.amdhsa_exception_fp_ieee_underflow 0
		.amdhsa_exception_fp_ieee_inexact 0
		.amdhsa_exception_int_div_zero 0
	.end_amdhsa_kernel
	.section	.text._ZN9rocsparseL21csrmvn_general_kernelILj256ELj64EllaaffEEvbT2_NS_24const_host_device_scalarIT6_EEPKT1_S7_PKS1_PKT3_PKT4_S4_PT5_21rocsparse_index_base_b,"axG",@progbits,_ZN9rocsparseL21csrmvn_general_kernelILj256ELj64EllaaffEEvbT2_NS_24const_host_device_scalarIT6_EEPKT1_S7_PKS1_PKT3_PKT4_S4_PT5_21rocsparse_index_base_b,comdat
.Lfunc_end192:
	.size	_ZN9rocsparseL21csrmvn_general_kernelILj256ELj64EllaaffEEvbT2_NS_24const_host_device_scalarIT6_EEPKT1_S7_PKS1_PKT3_PKT4_S4_PT5_21rocsparse_index_base_b, .Lfunc_end192-_ZN9rocsparseL21csrmvn_general_kernelILj256ELj64EllaaffEEvbT2_NS_24const_host_device_scalarIT6_EEPKT1_S7_PKS1_PKT3_PKT4_S4_PT5_21rocsparse_index_base_b
                                        ; -- End function
	.section	.AMDGPU.csdata,"",@progbits
; Kernel info:
; codeLenInByte = 692
; NumSgprs: 34
; NumVgprs: 21
; NumAgprs: 0
; TotalNumVgprs: 21
; ScratchSize: 0
; MemoryBound: 0
; FloatMode: 240
; IeeeMode: 1
; LDSByteSize: 0 bytes/workgroup (compile time only)
; SGPRBlocks: 4
; VGPRBlocks: 2
; NumSGPRsForWavesPerEU: 34
; NumVGPRsForWavesPerEU: 21
; AccumOffset: 24
; Occupancy: 8
; WaveLimiterHint : 1
; COMPUTE_PGM_RSRC2:SCRATCH_EN: 0
; COMPUTE_PGM_RSRC2:USER_SGPR: 6
; COMPUTE_PGM_RSRC2:TRAP_HANDLER: 0
; COMPUTE_PGM_RSRC2:TGID_X_EN: 1
; COMPUTE_PGM_RSRC2:TGID_Y_EN: 0
; COMPUTE_PGM_RSRC2:TGID_Z_EN: 0
; COMPUTE_PGM_RSRC2:TIDIG_COMP_CNT: 0
; COMPUTE_PGM_RSRC3_GFX90A:ACCUM_OFFSET: 5
; COMPUTE_PGM_RSRC3_GFX90A:TG_SPLIT: 0
	.section	.text._ZN9rocsparseL21csrmvt_general_kernelILj256ELj4EllaaffEEvbbT2_NS_24const_host_device_scalarIT6_EEPKT1_S7_PKS1_PKT3_PKT4_PT5_21rocsparse_index_base_b,"axG",@progbits,_ZN9rocsparseL21csrmvt_general_kernelILj256ELj4EllaaffEEvbbT2_NS_24const_host_device_scalarIT6_EEPKT1_S7_PKS1_PKT3_PKT4_PT5_21rocsparse_index_base_b,comdat
	.globl	_ZN9rocsparseL21csrmvt_general_kernelILj256ELj4EllaaffEEvbbT2_NS_24const_host_device_scalarIT6_EEPKT1_S7_PKS1_PKT3_PKT4_PT5_21rocsparse_index_base_b ; -- Begin function _ZN9rocsparseL21csrmvt_general_kernelILj256ELj4EllaaffEEvbbT2_NS_24const_host_device_scalarIT6_EEPKT1_S7_PKS1_PKT3_PKT4_PT5_21rocsparse_index_base_b
	.p2align	8
	.type	_ZN9rocsparseL21csrmvt_general_kernelILj256ELj4EllaaffEEvbbT2_NS_24const_host_device_scalarIT6_EEPKT1_S7_PKS1_PKT3_PKT4_PT5_21rocsparse_index_base_b,@function
_ZN9rocsparseL21csrmvt_general_kernelILj256ELj4EllaaffEEvbbT2_NS_24const_host_device_scalarIT6_EEPKT1_S7_PKS1_PKT3_PKT4_PT5_21rocsparse_index_base_b: ; @_ZN9rocsparseL21csrmvt_general_kernelILj256ELj4EllaaffEEvbbT2_NS_24const_host_device_scalarIT6_EEPKT1_S7_PKS1_PKT3_PKT4_PT5_21rocsparse_index_base_b
; %bb.0:
	s_load_dwordx2 s[2:3], s[4:5], 0x48
	s_load_dwordx8 s[8:15], s[4:5], 0x8
	s_waitcnt lgkmcnt(0)
	s_bitcmp1_b32 s3, 0
	s_cselect_b64 s[0:1], -1, 0
	s_and_b64 vcc, exec, s[0:1]
	s_cbranch_vccnz .LBB193_2
; %bb.1:
	s_load_dword s10, s[10:11], 0x0
.LBB193_2:
	s_waitcnt lgkmcnt(0)
	v_cmp_eq_f32_e64 s[0:1], s10, 0
	s_and_b64 vcc, exec, s[0:1]
	s_cbranch_vccnz .LBB193_23
; %bb.3:
	s_load_dword s0, s[4:5], 0x0
	s_load_dword s1, s[4:5], 0x50
	s_load_dwordx8 s[16:23], s[4:5], 0x28
	v_and_b32_e32 v12, 3, v0
	v_lshl_or_b32 v0, s6, 8, v0
	s_waitcnt lgkmcnt(0)
	s_and_b32 s0, s0, 1
	s_lshl_b32 s3, s1, 6
	v_lshrrev_b32_e32 v0, 2, v0
	v_mov_b32_e32 v1, 0
	s_cmp_eq_u32 s0, 0
	v_cmp_gt_i64_e64 s[0:1], s[8:9], v[0:1]
	s_mov_b64 s[4:5], -1
	s_cbranch_scc0 .LBB193_13
; %bb.4:
	s_and_saveexec_b64 s[4:5], s[0:1]
	s_cbranch_execz .LBB193_12
; %bb.5:
	v_subrev_co_u32_e32 v13, vcc, s2, v12
	s_mov_b32 s11, 0
	v_subb_co_u32_e64 v14, s[6:7], 0, 0, vcc
	s_mov_b64 s[6:7], 0
	v_mov_b32_e32 v15, s13
	v_mov_b32_e32 v16, s15
	;; [unrolled: 1-line block ×3, first 2 shown]
	v_pk_mov_b32 v[2:3], v[0:1], v[0:1] op_sel:[0,1]
	s_branch .LBB193_7
.LBB193_6:                              ;   in Loop: Header=BB193_7 Depth=1
	s_or_b64 exec, exec, s[24:25]
	v_add_co_u32_e32 v2, vcc, s3, v2
	v_addc_co_u32_e32 v3, vcc, 0, v3, vcc
	v_cmp_le_i64_e32 vcc, s[8:9], v[2:3]
	s_or_b64 s[6:7], vcc, s[6:7]
	s_andn2_b64 exec, exec, s[6:7]
	s_cbranch_execz .LBB193_12
.LBB193_7:                              ; =>This Loop Header: Depth=1
                                        ;     Child Loop BB193_9 Depth 2
                                        ;       Child Loop BB193_10 Depth 3
	v_lshlrev_b64 v[4:5], 3, v[2:3]
	v_add_co_u32_e32 v6, vcc, s14, v4
	v_addc_co_u32_e32 v7, vcc, v16, v5, vcc
	global_load_dwordx2 v[6:7], v[6:7], off
	v_add_co_u32_e32 v4, vcc, s12, v4
	v_addc_co_u32_e32 v5, vcc, v15, v5, vcc
	global_load_dwordx2 v[8:9], v[4:5], off
	s_waitcnt vmcnt(1)
	v_subrev_co_u32_e32 v4, vcc, s2, v6
	v_subb_co_u32_e32 v5, vcc, v7, v17, vcc
	s_waitcnt vmcnt(0)
	v_add_co_u32_e32 v6, vcc, v8, v13
	v_addc_co_u32_e32 v7, vcc, v9, v14, vcc
	v_cmp_lt_i64_e32 vcc, v[6:7], v[4:5]
	s_and_saveexec_b64 s[24:25], vcc
	s_cbranch_execz .LBB193_6
; %bb.8:                                ;   in Loop: Header=BB193_7 Depth=1
	v_mov_b32_e32 v9, s21
	v_add_co_u32_e32 v8, vcc, s20, v2
	v_addc_co_u32_e32 v9, vcc, v9, v3, vcc
	global_load_sbyte v8, v[8:9], off
	s_mov_b64 s[26:27], 0
	s_waitcnt vmcnt(0)
	v_cvt_f32_i32_e32 v8, v8
	v_mul_f32_e32 v18, s10, v8
.LBB193_9:                              ;   Parent Loop BB193_7 Depth=1
                                        ; =>  This Loop Header: Depth=2
                                        ;       Child Loop BB193_10 Depth 3
	v_lshlrev_b64 v[8:9], 3, v[6:7]
	v_mov_b32_e32 v10, s17
	v_add_co_u32_e32 v8, vcc, s16, v8
	v_addc_co_u32_e32 v9, vcc, v10, v9, vcc
	global_load_dwordx2 v[8:9], v[8:9], off
	v_mov_b32_e32 v11, s19
	v_add_co_u32_e32 v10, vcc, s18, v6
	v_addc_co_u32_e32 v11, vcc, v11, v7, vcc
	global_load_sbyte v10, v[10:11], off
	v_mov_b32_e32 v19, s23
	s_mov_b64 s[28:29], 0
	s_waitcnt vmcnt(1)
	v_subrev_co_u32_e32 v8, vcc, s2, v8
	v_subb_co_u32_e32 v9, vcc, v9, v17, vcc
	v_lshlrev_b64 v[8:9], 2, v[8:9]
	v_add_co_u32_e32 v8, vcc, s22, v8
	v_addc_co_u32_e32 v9, vcc, v19, v9, vcc
	global_load_dword v11, v[8:9], off
	s_waitcnt vmcnt(1)
	v_cvt_f32_i32_e32 v10, v10
	v_mul_f32_e32 v19, v18, v10
.LBB193_10:                             ;   Parent Loop BB193_7 Depth=1
                                        ;     Parent Loop BB193_9 Depth=2
                                        ; =>    This Inner Loop Header: Depth=3
	s_waitcnt vmcnt(0)
	v_add_f32_e32 v10, v11, v19
	global_atomic_cmpswap v10, v[8:9], v[10:11], off glc
	s_waitcnt vmcnt(0)
	v_cmp_eq_u32_e32 vcc, v10, v11
	s_or_b64 s[28:29], vcc, s[28:29]
	v_mov_b32_e32 v11, v10
	s_andn2_b64 exec, exec, s[28:29]
	s_cbranch_execnz .LBB193_10
; %bb.11:                               ;   in Loop: Header=BB193_9 Depth=2
	s_or_b64 exec, exec, s[28:29]
	v_add_co_u32_e32 v6, vcc, 4, v6
	v_addc_co_u32_e32 v7, vcc, 0, v7, vcc
	v_cmp_ge_i64_e32 vcc, v[6:7], v[4:5]
	s_or_b64 s[26:27], vcc, s[26:27]
	s_andn2_b64 exec, exec, s[26:27]
	s_cbranch_execnz .LBB193_9
	s_branch .LBB193_6
.LBB193_12:
	s_or_b64 exec, exec, s[4:5]
	s_mov_b64 s[4:5], 0
.LBB193_13:
	s_andn2_b64 vcc, exec, s[4:5]
	s_cbranch_vccnz .LBB193_23
; %bb.14:
	s_and_saveexec_b64 s[4:5], s[0:1]
	s_cbranch_execz .LBB193_23
; %bb.15:
	v_subrev_co_u32_e32 v10, vcc, s2, v12
	s_mov_b32 s4, 0
	v_subb_co_u32_e64 v11, s[0:1], 0, 0, vcc
	s_mov_b64 s[0:1], 0
	v_mov_b32_e32 v12, s13
	v_mov_b32_e32 v13, s15
	;; [unrolled: 1-line block ×3, first 2 shown]
	s_branch .LBB193_17
.LBB193_16:                             ;   in Loop: Header=BB193_17 Depth=1
	s_or_b64 exec, exec, s[4:5]
	v_add_co_u32_e32 v0, vcc, s3, v0
	v_addc_co_u32_e32 v1, vcc, 0, v1, vcc
	v_cmp_le_i64_e32 vcc, s[8:9], v[0:1]
	s_or_b64 s[0:1], vcc, s[0:1]
	s_andn2_b64 exec, exec, s[0:1]
	s_cbranch_execz .LBB193_23
.LBB193_17:                             ; =>This Loop Header: Depth=1
                                        ;     Child Loop BB193_20 Depth 2
                                        ;       Child Loop BB193_22 Depth 3
	v_lshlrev_b64 v[2:3], 3, v[0:1]
	v_add_co_u32_e32 v4, vcc, s14, v2
	v_addc_co_u32_e32 v5, vcc, v13, v3, vcc
	global_load_dwordx2 v[4:5], v[4:5], off
	v_add_co_u32_e32 v2, vcc, s12, v2
	v_addc_co_u32_e32 v3, vcc, v12, v3, vcc
	global_load_dwordx2 v[6:7], v[2:3], off
	s_waitcnt vmcnt(1)
	v_subrev_co_u32_e32 v2, vcc, s2, v4
	v_subb_co_u32_e32 v3, vcc, v5, v14, vcc
	s_waitcnt vmcnt(0)
	v_add_co_u32_e32 v4, vcc, v6, v10
	v_addc_co_u32_e32 v5, vcc, v7, v11, vcc
	v_cmp_lt_i64_e32 vcc, v[4:5], v[2:3]
	s_and_saveexec_b64 s[4:5], vcc
	s_cbranch_execz .LBB193_16
; %bb.18:                               ;   in Loop: Header=BB193_17 Depth=1
	v_mov_b32_e32 v7, s21
	v_add_co_u32_e32 v6, vcc, s20, v0
	v_addc_co_u32_e32 v7, vcc, v7, v1, vcc
	global_load_sbyte v6, v[6:7], off
	s_mov_b64 s[6:7], 0
	s_waitcnt vmcnt(0)
	v_cvt_f32_i32_e32 v6, v6
	v_mul_f32_e32 v15, s10, v6
	s_branch .LBB193_20
.LBB193_19:                             ;   in Loop: Header=BB193_20 Depth=2
	s_or_b64 exec, exec, s[24:25]
	v_add_co_u32_e32 v4, vcc, 4, v4
	v_addc_co_u32_e32 v5, vcc, 0, v5, vcc
	v_cmp_ge_i64_e32 vcc, v[4:5], v[2:3]
	s_or_b64 s[6:7], vcc, s[6:7]
	s_andn2_b64 exec, exec, s[6:7]
	s_cbranch_execz .LBB193_16
.LBB193_20:                             ;   Parent Loop BB193_17 Depth=1
                                        ; =>  This Loop Header: Depth=2
                                        ;       Child Loop BB193_22 Depth 3
	v_lshlrev_b64 v[6:7], 3, v[4:5]
	v_mov_b32_e32 v8, s17
	v_add_co_u32_e32 v6, vcc, s16, v6
	v_addc_co_u32_e32 v7, vcc, v8, v7, vcc
	global_load_dwordx2 v[6:7], v[6:7], off
	s_waitcnt vmcnt(0)
	v_subrev_co_u32_e32 v6, vcc, s2, v6
	v_subb_co_u32_e32 v7, vcc, v7, v14, vcc
	v_cmp_ne_u64_e32 vcc, v[6:7], v[0:1]
	s_and_saveexec_b64 s[24:25], vcc
	s_cbranch_execz .LBB193_19
; %bb.21:                               ;   in Loop: Header=BB193_20 Depth=2
	v_mov_b32_e32 v9, s19
	v_add_co_u32_e32 v8, vcc, s18, v4
	v_addc_co_u32_e32 v9, vcc, v9, v5, vcc
	global_load_sbyte v8, v[8:9], off
	v_lshlrev_b64 v[6:7], 2, v[6:7]
	v_mov_b32_e32 v9, s23
	v_add_co_u32_e32 v6, vcc, s22, v6
	v_addc_co_u32_e32 v7, vcc, v9, v7, vcc
	global_load_dword v9, v[6:7], off
	s_mov_b64 s[26:27], 0
	s_waitcnt vmcnt(1)
	v_cvt_f32_i32_e32 v8, v8
	v_mul_f32_e32 v16, v15, v8
.LBB193_22:                             ;   Parent Loop BB193_17 Depth=1
                                        ;     Parent Loop BB193_20 Depth=2
                                        ; =>    This Inner Loop Header: Depth=3
	s_waitcnt vmcnt(0)
	v_add_f32_e32 v8, v9, v16
	global_atomic_cmpswap v8, v[6:7], v[8:9], off glc
	s_waitcnt vmcnt(0)
	v_cmp_eq_u32_e32 vcc, v8, v9
	s_or_b64 s[26:27], vcc, s[26:27]
	v_mov_b32_e32 v9, v8
	s_andn2_b64 exec, exec, s[26:27]
	s_cbranch_execnz .LBB193_22
	s_branch .LBB193_19
.LBB193_23:
	s_endpgm
	.section	.rodata,"a",@progbits
	.p2align	6, 0x0
	.amdhsa_kernel _ZN9rocsparseL21csrmvt_general_kernelILj256ELj4EllaaffEEvbbT2_NS_24const_host_device_scalarIT6_EEPKT1_S7_PKS1_PKT3_PKT4_PT5_21rocsparse_index_base_b
		.amdhsa_group_segment_fixed_size 0
		.amdhsa_private_segment_fixed_size 0
		.amdhsa_kernarg_size 336
		.amdhsa_user_sgpr_count 6
		.amdhsa_user_sgpr_private_segment_buffer 1
		.amdhsa_user_sgpr_dispatch_ptr 0
		.amdhsa_user_sgpr_queue_ptr 0
		.amdhsa_user_sgpr_kernarg_segment_ptr 1
		.amdhsa_user_sgpr_dispatch_id 0
		.amdhsa_user_sgpr_flat_scratch_init 0
		.amdhsa_user_sgpr_kernarg_preload_length 0
		.amdhsa_user_sgpr_kernarg_preload_offset 0
		.amdhsa_user_sgpr_private_segment_size 0
		.amdhsa_uses_dynamic_stack 0
		.amdhsa_system_sgpr_private_segment_wavefront_offset 0
		.amdhsa_system_sgpr_workgroup_id_x 1
		.amdhsa_system_sgpr_workgroup_id_y 0
		.amdhsa_system_sgpr_workgroup_id_z 0
		.amdhsa_system_sgpr_workgroup_info 0
		.amdhsa_system_vgpr_workitem_id 0
		.amdhsa_next_free_vgpr 20
		.amdhsa_next_free_sgpr 30
		.amdhsa_accum_offset 20
		.amdhsa_reserve_vcc 1
		.amdhsa_reserve_flat_scratch 0
		.amdhsa_float_round_mode_32 0
		.amdhsa_float_round_mode_16_64 0
		.amdhsa_float_denorm_mode_32 3
		.amdhsa_float_denorm_mode_16_64 3
		.amdhsa_dx10_clamp 1
		.amdhsa_ieee_mode 1
		.amdhsa_fp16_overflow 0
		.amdhsa_tg_split 0
		.amdhsa_exception_fp_ieee_invalid_op 0
		.amdhsa_exception_fp_denorm_src 0
		.amdhsa_exception_fp_ieee_div_zero 0
		.amdhsa_exception_fp_ieee_overflow 0
		.amdhsa_exception_fp_ieee_underflow 0
		.amdhsa_exception_fp_ieee_inexact 0
		.amdhsa_exception_int_div_zero 0
	.end_amdhsa_kernel
	.section	.text._ZN9rocsparseL21csrmvt_general_kernelILj256ELj4EllaaffEEvbbT2_NS_24const_host_device_scalarIT6_EEPKT1_S7_PKS1_PKT3_PKT4_PT5_21rocsparse_index_base_b,"axG",@progbits,_ZN9rocsparseL21csrmvt_general_kernelILj256ELj4EllaaffEEvbbT2_NS_24const_host_device_scalarIT6_EEPKT1_S7_PKS1_PKT3_PKT4_PT5_21rocsparse_index_base_b,comdat
.Lfunc_end193:
	.size	_ZN9rocsparseL21csrmvt_general_kernelILj256ELj4EllaaffEEvbbT2_NS_24const_host_device_scalarIT6_EEPKT1_S7_PKS1_PKT3_PKT4_PT5_21rocsparse_index_base_b, .Lfunc_end193-_ZN9rocsparseL21csrmvt_general_kernelILj256ELj4EllaaffEEvbbT2_NS_24const_host_device_scalarIT6_EEPKT1_S7_PKS1_PKT3_PKT4_PT5_21rocsparse_index_base_b
                                        ; -- End function
	.section	.AMDGPU.csdata,"",@progbits
; Kernel info:
; codeLenInByte = 904
; NumSgprs: 34
; NumVgprs: 20
; NumAgprs: 0
; TotalNumVgprs: 20
; ScratchSize: 0
; MemoryBound: 0
; FloatMode: 240
; IeeeMode: 1
; LDSByteSize: 0 bytes/workgroup (compile time only)
; SGPRBlocks: 4
; VGPRBlocks: 2
; NumSGPRsForWavesPerEU: 34
; NumVGPRsForWavesPerEU: 20
; AccumOffset: 20
; Occupancy: 8
; WaveLimiterHint : 1
; COMPUTE_PGM_RSRC2:SCRATCH_EN: 0
; COMPUTE_PGM_RSRC2:USER_SGPR: 6
; COMPUTE_PGM_RSRC2:TRAP_HANDLER: 0
; COMPUTE_PGM_RSRC2:TGID_X_EN: 1
; COMPUTE_PGM_RSRC2:TGID_Y_EN: 0
; COMPUTE_PGM_RSRC2:TGID_Z_EN: 0
; COMPUTE_PGM_RSRC2:TIDIG_COMP_CNT: 0
; COMPUTE_PGM_RSRC3_GFX90A:ACCUM_OFFSET: 4
; COMPUTE_PGM_RSRC3_GFX90A:TG_SPLIT: 0
	.section	.text._ZN9rocsparseL21csrmvt_general_kernelILj256ELj8EllaaffEEvbbT2_NS_24const_host_device_scalarIT6_EEPKT1_S7_PKS1_PKT3_PKT4_PT5_21rocsparse_index_base_b,"axG",@progbits,_ZN9rocsparseL21csrmvt_general_kernelILj256ELj8EllaaffEEvbbT2_NS_24const_host_device_scalarIT6_EEPKT1_S7_PKS1_PKT3_PKT4_PT5_21rocsparse_index_base_b,comdat
	.globl	_ZN9rocsparseL21csrmvt_general_kernelILj256ELj8EllaaffEEvbbT2_NS_24const_host_device_scalarIT6_EEPKT1_S7_PKS1_PKT3_PKT4_PT5_21rocsparse_index_base_b ; -- Begin function _ZN9rocsparseL21csrmvt_general_kernelILj256ELj8EllaaffEEvbbT2_NS_24const_host_device_scalarIT6_EEPKT1_S7_PKS1_PKT3_PKT4_PT5_21rocsparse_index_base_b
	.p2align	8
	.type	_ZN9rocsparseL21csrmvt_general_kernelILj256ELj8EllaaffEEvbbT2_NS_24const_host_device_scalarIT6_EEPKT1_S7_PKS1_PKT3_PKT4_PT5_21rocsparse_index_base_b,@function
_ZN9rocsparseL21csrmvt_general_kernelILj256ELj8EllaaffEEvbbT2_NS_24const_host_device_scalarIT6_EEPKT1_S7_PKS1_PKT3_PKT4_PT5_21rocsparse_index_base_b: ; @_ZN9rocsparseL21csrmvt_general_kernelILj256ELj8EllaaffEEvbbT2_NS_24const_host_device_scalarIT6_EEPKT1_S7_PKS1_PKT3_PKT4_PT5_21rocsparse_index_base_b
; %bb.0:
	s_load_dwordx2 s[2:3], s[4:5], 0x48
	s_load_dwordx8 s[8:15], s[4:5], 0x8
	s_waitcnt lgkmcnt(0)
	s_bitcmp1_b32 s3, 0
	s_cselect_b64 s[0:1], -1, 0
	s_and_b64 vcc, exec, s[0:1]
	s_cbranch_vccnz .LBB194_2
; %bb.1:
	s_load_dword s10, s[10:11], 0x0
.LBB194_2:
	s_waitcnt lgkmcnt(0)
	v_cmp_eq_f32_e64 s[0:1], s10, 0
	s_and_b64 vcc, exec, s[0:1]
	s_cbranch_vccnz .LBB194_23
; %bb.3:
	s_load_dword s0, s[4:5], 0x0
	s_load_dword s1, s[4:5], 0x50
	s_load_dwordx8 s[16:23], s[4:5], 0x28
	v_and_b32_e32 v12, 7, v0
	v_lshl_or_b32 v0, s6, 8, v0
	s_waitcnt lgkmcnt(0)
	s_and_b32 s0, s0, 1
	s_lshl_b32 s3, s1, 5
	v_lshrrev_b32_e32 v0, 3, v0
	v_mov_b32_e32 v1, 0
	s_cmp_eq_u32 s0, 0
	v_cmp_gt_i64_e64 s[0:1], s[8:9], v[0:1]
	s_mov_b64 s[4:5], -1
	s_cbranch_scc0 .LBB194_13
; %bb.4:
	s_and_saveexec_b64 s[4:5], s[0:1]
	s_cbranch_execz .LBB194_12
; %bb.5:
	v_subrev_co_u32_e32 v13, vcc, s2, v12
	s_mov_b32 s11, 0
	v_subb_co_u32_e64 v14, s[6:7], 0, 0, vcc
	s_mov_b64 s[6:7], 0
	v_mov_b32_e32 v15, s13
	v_mov_b32_e32 v16, s15
	;; [unrolled: 1-line block ×3, first 2 shown]
	v_pk_mov_b32 v[2:3], v[0:1], v[0:1] op_sel:[0,1]
	s_branch .LBB194_7
.LBB194_6:                              ;   in Loop: Header=BB194_7 Depth=1
	s_or_b64 exec, exec, s[24:25]
	v_add_co_u32_e32 v2, vcc, s3, v2
	v_addc_co_u32_e32 v3, vcc, 0, v3, vcc
	v_cmp_le_i64_e32 vcc, s[8:9], v[2:3]
	s_or_b64 s[6:7], vcc, s[6:7]
	s_andn2_b64 exec, exec, s[6:7]
	s_cbranch_execz .LBB194_12
.LBB194_7:                              ; =>This Loop Header: Depth=1
                                        ;     Child Loop BB194_9 Depth 2
                                        ;       Child Loop BB194_10 Depth 3
	v_lshlrev_b64 v[4:5], 3, v[2:3]
	v_add_co_u32_e32 v6, vcc, s14, v4
	v_addc_co_u32_e32 v7, vcc, v16, v5, vcc
	global_load_dwordx2 v[6:7], v[6:7], off
	v_add_co_u32_e32 v4, vcc, s12, v4
	v_addc_co_u32_e32 v5, vcc, v15, v5, vcc
	global_load_dwordx2 v[8:9], v[4:5], off
	s_waitcnt vmcnt(1)
	v_subrev_co_u32_e32 v4, vcc, s2, v6
	v_subb_co_u32_e32 v5, vcc, v7, v17, vcc
	s_waitcnt vmcnt(0)
	v_add_co_u32_e32 v6, vcc, v8, v13
	v_addc_co_u32_e32 v7, vcc, v9, v14, vcc
	v_cmp_lt_i64_e32 vcc, v[6:7], v[4:5]
	s_and_saveexec_b64 s[24:25], vcc
	s_cbranch_execz .LBB194_6
; %bb.8:                                ;   in Loop: Header=BB194_7 Depth=1
	v_mov_b32_e32 v9, s21
	v_add_co_u32_e32 v8, vcc, s20, v2
	v_addc_co_u32_e32 v9, vcc, v9, v3, vcc
	global_load_sbyte v8, v[8:9], off
	s_mov_b64 s[26:27], 0
	s_waitcnt vmcnt(0)
	v_cvt_f32_i32_e32 v8, v8
	v_mul_f32_e32 v18, s10, v8
.LBB194_9:                              ;   Parent Loop BB194_7 Depth=1
                                        ; =>  This Loop Header: Depth=2
                                        ;       Child Loop BB194_10 Depth 3
	v_lshlrev_b64 v[8:9], 3, v[6:7]
	v_mov_b32_e32 v10, s17
	v_add_co_u32_e32 v8, vcc, s16, v8
	v_addc_co_u32_e32 v9, vcc, v10, v9, vcc
	global_load_dwordx2 v[8:9], v[8:9], off
	v_mov_b32_e32 v11, s19
	v_add_co_u32_e32 v10, vcc, s18, v6
	v_addc_co_u32_e32 v11, vcc, v11, v7, vcc
	global_load_sbyte v10, v[10:11], off
	v_mov_b32_e32 v19, s23
	s_mov_b64 s[28:29], 0
	s_waitcnt vmcnt(1)
	v_subrev_co_u32_e32 v8, vcc, s2, v8
	v_subb_co_u32_e32 v9, vcc, v9, v17, vcc
	v_lshlrev_b64 v[8:9], 2, v[8:9]
	v_add_co_u32_e32 v8, vcc, s22, v8
	v_addc_co_u32_e32 v9, vcc, v19, v9, vcc
	global_load_dword v11, v[8:9], off
	s_waitcnt vmcnt(1)
	v_cvt_f32_i32_e32 v10, v10
	v_mul_f32_e32 v19, v18, v10
.LBB194_10:                             ;   Parent Loop BB194_7 Depth=1
                                        ;     Parent Loop BB194_9 Depth=2
                                        ; =>    This Inner Loop Header: Depth=3
	s_waitcnt vmcnt(0)
	v_add_f32_e32 v10, v11, v19
	global_atomic_cmpswap v10, v[8:9], v[10:11], off glc
	s_waitcnt vmcnt(0)
	v_cmp_eq_u32_e32 vcc, v10, v11
	s_or_b64 s[28:29], vcc, s[28:29]
	v_mov_b32_e32 v11, v10
	s_andn2_b64 exec, exec, s[28:29]
	s_cbranch_execnz .LBB194_10
; %bb.11:                               ;   in Loop: Header=BB194_9 Depth=2
	s_or_b64 exec, exec, s[28:29]
	v_add_co_u32_e32 v6, vcc, 8, v6
	v_addc_co_u32_e32 v7, vcc, 0, v7, vcc
	v_cmp_ge_i64_e32 vcc, v[6:7], v[4:5]
	s_or_b64 s[26:27], vcc, s[26:27]
	s_andn2_b64 exec, exec, s[26:27]
	s_cbranch_execnz .LBB194_9
	s_branch .LBB194_6
.LBB194_12:
	s_or_b64 exec, exec, s[4:5]
	s_mov_b64 s[4:5], 0
.LBB194_13:
	s_andn2_b64 vcc, exec, s[4:5]
	s_cbranch_vccnz .LBB194_23
; %bb.14:
	s_and_saveexec_b64 s[4:5], s[0:1]
	s_cbranch_execz .LBB194_23
; %bb.15:
	v_subrev_co_u32_e32 v10, vcc, s2, v12
	s_mov_b32 s4, 0
	v_subb_co_u32_e64 v11, s[0:1], 0, 0, vcc
	s_mov_b64 s[0:1], 0
	v_mov_b32_e32 v12, s13
	v_mov_b32_e32 v13, s15
	;; [unrolled: 1-line block ×3, first 2 shown]
	s_branch .LBB194_17
.LBB194_16:                             ;   in Loop: Header=BB194_17 Depth=1
	s_or_b64 exec, exec, s[4:5]
	v_add_co_u32_e32 v0, vcc, s3, v0
	v_addc_co_u32_e32 v1, vcc, 0, v1, vcc
	v_cmp_le_i64_e32 vcc, s[8:9], v[0:1]
	s_or_b64 s[0:1], vcc, s[0:1]
	s_andn2_b64 exec, exec, s[0:1]
	s_cbranch_execz .LBB194_23
.LBB194_17:                             ; =>This Loop Header: Depth=1
                                        ;     Child Loop BB194_20 Depth 2
                                        ;       Child Loop BB194_22 Depth 3
	v_lshlrev_b64 v[2:3], 3, v[0:1]
	v_add_co_u32_e32 v4, vcc, s14, v2
	v_addc_co_u32_e32 v5, vcc, v13, v3, vcc
	global_load_dwordx2 v[4:5], v[4:5], off
	v_add_co_u32_e32 v2, vcc, s12, v2
	v_addc_co_u32_e32 v3, vcc, v12, v3, vcc
	global_load_dwordx2 v[6:7], v[2:3], off
	s_waitcnt vmcnt(1)
	v_subrev_co_u32_e32 v2, vcc, s2, v4
	v_subb_co_u32_e32 v3, vcc, v5, v14, vcc
	s_waitcnt vmcnt(0)
	v_add_co_u32_e32 v4, vcc, v6, v10
	v_addc_co_u32_e32 v5, vcc, v7, v11, vcc
	v_cmp_lt_i64_e32 vcc, v[4:5], v[2:3]
	s_and_saveexec_b64 s[4:5], vcc
	s_cbranch_execz .LBB194_16
; %bb.18:                               ;   in Loop: Header=BB194_17 Depth=1
	v_mov_b32_e32 v7, s21
	v_add_co_u32_e32 v6, vcc, s20, v0
	v_addc_co_u32_e32 v7, vcc, v7, v1, vcc
	global_load_sbyte v6, v[6:7], off
	s_mov_b64 s[6:7], 0
	s_waitcnt vmcnt(0)
	v_cvt_f32_i32_e32 v6, v6
	v_mul_f32_e32 v15, s10, v6
	s_branch .LBB194_20
.LBB194_19:                             ;   in Loop: Header=BB194_20 Depth=2
	s_or_b64 exec, exec, s[24:25]
	v_add_co_u32_e32 v4, vcc, 8, v4
	v_addc_co_u32_e32 v5, vcc, 0, v5, vcc
	v_cmp_ge_i64_e32 vcc, v[4:5], v[2:3]
	s_or_b64 s[6:7], vcc, s[6:7]
	s_andn2_b64 exec, exec, s[6:7]
	s_cbranch_execz .LBB194_16
.LBB194_20:                             ;   Parent Loop BB194_17 Depth=1
                                        ; =>  This Loop Header: Depth=2
                                        ;       Child Loop BB194_22 Depth 3
	v_lshlrev_b64 v[6:7], 3, v[4:5]
	v_mov_b32_e32 v8, s17
	v_add_co_u32_e32 v6, vcc, s16, v6
	v_addc_co_u32_e32 v7, vcc, v8, v7, vcc
	global_load_dwordx2 v[6:7], v[6:7], off
	s_waitcnt vmcnt(0)
	v_subrev_co_u32_e32 v6, vcc, s2, v6
	v_subb_co_u32_e32 v7, vcc, v7, v14, vcc
	v_cmp_ne_u64_e32 vcc, v[6:7], v[0:1]
	s_and_saveexec_b64 s[24:25], vcc
	s_cbranch_execz .LBB194_19
; %bb.21:                               ;   in Loop: Header=BB194_20 Depth=2
	v_mov_b32_e32 v9, s19
	v_add_co_u32_e32 v8, vcc, s18, v4
	v_addc_co_u32_e32 v9, vcc, v9, v5, vcc
	global_load_sbyte v8, v[8:9], off
	v_lshlrev_b64 v[6:7], 2, v[6:7]
	v_mov_b32_e32 v9, s23
	v_add_co_u32_e32 v6, vcc, s22, v6
	v_addc_co_u32_e32 v7, vcc, v9, v7, vcc
	global_load_dword v9, v[6:7], off
	s_mov_b64 s[26:27], 0
	s_waitcnt vmcnt(1)
	v_cvt_f32_i32_e32 v8, v8
	v_mul_f32_e32 v16, v15, v8
.LBB194_22:                             ;   Parent Loop BB194_17 Depth=1
                                        ;     Parent Loop BB194_20 Depth=2
                                        ; =>    This Inner Loop Header: Depth=3
	s_waitcnt vmcnt(0)
	v_add_f32_e32 v8, v9, v16
	global_atomic_cmpswap v8, v[6:7], v[8:9], off glc
	s_waitcnt vmcnt(0)
	v_cmp_eq_u32_e32 vcc, v8, v9
	s_or_b64 s[26:27], vcc, s[26:27]
	v_mov_b32_e32 v9, v8
	s_andn2_b64 exec, exec, s[26:27]
	s_cbranch_execnz .LBB194_22
	s_branch .LBB194_19
.LBB194_23:
	s_endpgm
	.section	.rodata,"a",@progbits
	.p2align	6, 0x0
	.amdhsa_kernel _ZN9rocsparseL21csrmvt_general_kernelILj256ELj8EllaaffEEvbbT2_NS_24const_host_device_scalarIT6_EEPKT1_S7_PKS1_PKT3_PKT4_PT5_21rocsparse_index_base_b
		.amdhsa_group_segment_fixed_size 0
		.amdhsa_private_segment_fixed_size 0
		.amdhsa_kernarg_size 336
		.amdhsa_user_sgpr_count 6
		.amdhsa_user_sgpr_private_segment_buffer 1
		.amdhsa_user_sgpr_dispatch_ptr 0
		.amdhsa_user_sgpr_queue_ptr 0
		.amdhsa_user_sgpr_kernarg_segment_ptr 1
		.amdhsa_user_sgpr_dispatch_id 0
		.amdhsa_user_sgpr_flat_scratch_init 0
		.amdhsa_user_sgpr_kernarg_preload_length 0
		.amdhsa_user_sgpr_kernarg_preload_offset 0
		.amdhsa_user_sgpr_private_segment_size 0
		.amdhsa_uses_dynamic_stack 0
		.amdhsa_system_sgpr_private_segment_wavefront_offset 0
		.amdhsa_system_sgpr_workgroup_id_x 1
		.amdhsa_system_sgpr_workgroup_id_y 0
		.amdhsa_system_sgpr_workgroup_id_z 0
		.amdhsa_system_sgpr_workgroup_info 0
		.amdhsa_system_vgpr_workitem_id 0
		.amdhsa_next_free_vgpr 20
		.amdhsa_next_free_sgpr 30
		.amdhsa_accum_offset 20
		.amdhsa_reserve_vcc 1
		.amdhsa_reserve_flat_scratch 0
		.amdhsa_float_round_mode_32 0
		.amdhsa_float_round_mode_16_64 0
		.amdhsa_float_denorm_mode_32 3
		.amdhsa_float_denorm_mode_16_64 3
		.amdhsa_dx10_clamp 1
		.amdhsa_ieee_mode 1
		.amdhsa_fp16_overflow 0
		.amdhsa_tg_split 0
		.amdhsa_exception_fp_ieee_invalid_op 0
		.amdhsa_exception_fp_denorm_src 0
		.amdhsa_exception_fp_ieee_div_zero 0
		.amdhsa_exception_fp_ieee_overflow 0
		.amdhsa_exception_fp_ieee_underflow 0
		.amdhsa_exception_fp_ieee_inexact 0
		.amdhsa_exception_int_div_zero 0
	.end_amdhsa_kernel
	.section	.text._ZN9rocsparseL21csrmvt_general_kernelILj256ELj8EllaaffEEvbbT2_NS_24const_host_device_scalarIT6_EEPKT1_S7_PKS1_PKT3_PKT4_PT5_21rocsparse_index_base_b,"axG",@progbits,_ZN9rocsparseL21csrmvt_general_kernelILj256ELj8EllaaffEEvbbT2_NS_24const_host_device_scalarIT6_EEPKT1_S7_PKS1_PKT3_PKT4_PT5_21rocsparse_index_base_b,comdat
.Lfunc_end194:
	.size	_ZN9rocsparseL21csrmvt_general_kernelILj256ELj8EllaaffEEvbbT2_NS_24const_host_device_scalarIT6_EEPKT1_S7_PKS1_PKT3_PKT4_PT5_21rocsparse_index_base_b, .Lfunc_end194-_ZN9rocsparseL21csrmvt_general_kernelILj256ELj8EllaaffEEvbbT2_NS_24const_host_device_scalarIT6_EEPKT1_S7_PKS1_PKT3_PKT4_PT5_21rocsparse_index_base_b
                                        ; -- End function
	.section	.AMDGPU.csdata,"",@progbits
; Kernel info:
; codeLenInByte = 904
; NumSgprs: 34
; NumVgprs: 20
; NumAgprs: 0
; TotalNumVgprs: 20
; ScratchSize: 0
; MemoryBound: 0
; FloatMode: 240
; IeeeMode: 1
; LDSByteSize: 0 bytes/workgroup (compile time only)
; SGPRBlocks: 4
; VGPRBlocks: 2
; NumSGPRsForWavesPerEU: 34
; NumVGPRsForWavesPerEU: 20
; AccumOffset: 20
; Occupancy: 8
; WaveLimiterHint : 1
; COMPUTE_PGM_RSRC2:SCRATCH_EN: 0
; COMPUTE_PGM_RSRC2:USER_SGPR: 6
; COMPUTE_PGM_RSRC2:TRAP_HANDLER: 0
; COMPUTE_PGM_RSRC2:TGID_X_EN: 1
; COMPUTE_PGM_RSRC2:TGID_Y_EN: 0
; COMPUTE_PGM_RSRC2:TGID_Z_EN: 0
; COMPUTE_PGM_RSRC2:TIDIG_COMP_CNT: 0
; COMPUTE_PGM_RSRC3_GFX90A:ACCUM_OFFSET: 4
; COMPUTE_PGM_RSRC3_GFX90A:TG_SPLIT: 0
	.section	.text._ZN9rocsparseL21csrmvt_general_kernelILj256ELj16EllaaffEEvbbT2_NS_24const_host_device_scalarIT6_EEPKT1_S7_PKS1_PKT3_PKT4_PT5_21rocsparse_index_base_b,"axG",@progbits,_ZN9rocsparseL21csrmvt_general_kernelILj256ELj16EllaaffEEvbbT2_NS_24const_host_device_scalarIT6_EEPKT1_S7_PKS1_PKT3_PKT4_PT5_21rocsparse_index_base_b,comdat
	.globl	_ZN9rocsparseL21csrmvt_general_kernelILj256ELj16EllaaffEEvbbT2_NS_24const_host_device_scalarIT6_EEPKT1_S7_PKS1_PKT3_PKT4_PT5_21rocsparse_index_base_b ; -- Begin function _ZN9rocsparseL21csrmvt_general_kernelILj256ELj16EllaaffEEvbbT2_NS_24const_host_device_scalarIT6_EEPKT1_S7_PKS1_PKT3_PKT4_PT5_21rocsparse_index_base_b
	.p2align	8
	.type	_ZN9rocsparseL21csrmvt_general_kernelILj256ELj16EllaaffEEvbbT2_NS_24const_host_device_scalarIT6_EEPKT1_S7_PKS1_PKT3_PKT4_PT5_21rocsparse_index_base_b,@function
_ZN9rocsparseL21csrmvt_general_kernelILj256ELj16EllaaffEEvbbT2_NS_24const_host_device_scalarIT6_EEPKT1_S7_PKS1_PKT3_PKT4_PT5_21rocsparse_index_base_b: ; @_ZN9rocsparseL21csrmvt_general_kernelILj256ELj16EllaaffEEvbbT2_NS_24const_host_device_scalarIT6_EEPKT1_S7_PKS1_PKT3_PKT4_PT5_21rocsparse_index_base_b
; %bb.0:
	s_load_dwordx2 s[2:3], s[4:5], 0x48
	s_load_dwordx8 s[8:15], s[4:5], 0x8
	s_waitcnt lgkmcnt(0)
	s_bitcmp1_b32 s3, 0
	s_cselect_b64 s[0:1], -1, 0
	s_and_b64 vcc, exec, s[0:1]
	s_cbranch_vccnz .LBB195_2
; %bb.1:
	s_load_dword s10, s[10:11], 0x0
.LBB195_2:
	s_waitcnt lgkmcnt(0)
	v_cmp_eq_f32_e64 s[0:1], s10, 0
	s_and_b64 vcc, exec, s[0:1]
	s_cbranch_vccnz .LBB195_23
; %bb.3:
	s_load_dword s0, s[4:5], 0x0
	s_load_dword s1, s[4:5], 0x50
	s_load_dwordx8 s[16:23], s[4:5], 0x28
	v_and_b32_e32 v12, 15, v0
	v_lshl_or_b32 v0, s6, 8, v0
	s_waitcnt lgkmcnt(0)
	s_and_b32 s0, s0, 1
	s_lshl_b32 s3, s1, 4
	v_lshrrev_b32_e32 v0, 4, v0
	v_mov_b32_e32 v1, 0
	s_cmp_eq_u32 s0, 0
	v_cmp_gt_i64_e64 s[0:1], s[8:9], v[0:1]
	s_mov_b64 s[4:5], -1
	s_cbranch_scc0 .LBB195_13
; %bb.4:
	s_and_saveexec_b64 s[4:5], s[0:1]
	s_cbranch_execz .LBB195_12
; %bb.5:
	v_subrev_co_u32_e32 v13, vcc, s2, v12
	s_mov_b32 s11, 0
	v_subb_co_u32_e64 v14, s[6:7], 0, 0, vcc
	s_mov_b64 s[6:7], 0
	v_mov_b32_e32 v15, s13
	v_mov_b32_e32 v16, s15
	;; [unrolled: 1-line block ×3, first 2 shown]
	v_pk_mov_b32 v[2:3], v[0:1], v[0:1] op_sel:[0,1]
	s_branch .LBB195_7
.LBB195_6:                              ;   in Loop: Header=BB195_7 Depth=1
	s_or_b64 exec, exec, s[24:25]
	v_add_co_u32_e32 v2, vcc, s3, v2
	v_addc_co_u32_e32 v3, vcc, 0, v3, vcc
	v_cmp_le_i64_e32 vcc, s[8:9], v[2:3]
	s_or_b64 s[6:7], vcc, s[6:7]
	s_andn2_b64 exec, exec, s[6:7]
	s_cbranch_execz .LBB195_12
.LBB195_7:                              ; =>This Loop Header: Depth=1
                                        ;     Child Loop BB195_9 Depth 2
                                        ;       Child Loop BB195_10 Depth 3
	v_lshlrev_b64 v[4:5], 3, v[2:3]
	v_add_co_u32_e32 v6, vcc, s14, v4
	v_addc_co_u32_e32 v7, vcc, v16, v5, vcc
	global_load_dwordx2 v[6:7], v[6:7], off
	v_add_co_u32_e32 v4, vcc, s12, v4
	v_addc_co_u32_e32 v5, vcc, v15, v5, vcc
	global_load_dwordx2 v[8:9], v[4:5], off
	s_waitcnt vmcnt(1)
	v_subrev_co_u32_e32 v4, vcc, s2, v6
	v_subb_co_u32_e32 v5, vcc, v7, v17, vcc
	s_waitcnt vmcnt(0)
	v_add_co_u32_e32 v6, vcc, v8, v13
	v_addc_co_u32_e32 v7, vcc, v9, v14, vcc
	v_cmp_lt_i64_e32 vcc, v[6:7], v[4:5]
	s_and_saveexec_b64 s[24:25], vcc
	s_cbranch_execz .LBB195_6
; %bb.8:                                ;   in Loop: Header=BB195_7 Depth=1
	v_mov_b32_e32 v9, s21
	v_add_co_u32_e32 v8, vcc, s20, v2
	v_addc_co_u32_e32 v9, vcc, v9, v3, vcc
	global_load_sbyte v8, v[8:9], off
	s_mov_b64 s[26:27], 0
	s_waitcnt vmcnt(0)
	v_cvt_f32_i32_e32 v8, v8
	v_mul_f32_e32 v18, s10, v8
.LBB195_9:                              ;   Parent Loop BB195_7 Depth=1
                                        ; =>  This Loop Header: Depth=2
                                        ;       Child Loop BB195_10 Depth 3
	v_lshlrev_b64 v[8:9], 3, v[6:7]
	v_mov_b32_e32 v10, s17
	v_add_co_u32_e32 v8, vcc, s16, v8
	v_addc_co_u32_e32 v9, vcc, v10, v9, vcc
	global_load_dwordx2 v[8:9], v[8:9], off
	v_mov_b32_e32 v11, s19
	v_add_co_u32_e32 v10, vcc, s18, v6
	v_addc_co_u32_e32 v11, vcc, v11, v7, vcc
	global_load_sbyte v10, v[10:11], off
	v_mov_b32_e32 v19, s23
	s_mov_b64 s[28:29], 0
	s_waitcnt vmcnt(1)
	v_subrev_co_u32_e32 v8, vcc, s2, v8
	v_subb_co_u32_e32 v9, vcc, v9, v17, vcc
	v_lshlrev_b64 v[8:9], 2, v[8:9]
	v_add_co_u32_e32 v8, vcc, s22, v8
	v_addc_co_u32_e32 v9, vcc, v19, v9, vcc
	global_load_dword v11, v[8:9], off
	s_waitcnt vmcnt(1)
	v_cvt_f32_i32_e32 v10, v10
	v_mul_f32_e32 v19, v18, v10
.LBB195_10:                             ;   Parent Loop BB195_7 Depth=1
                                        ;     Parent Loop BB195_9 Depth=2
                                        ; =>    This Inner Loop Header: Depth=3
	s_waitcnt vmcnt(0)
	v_add_f32_e32 v10, v11, v19
	global_atomic_cmpswap v10, v[8:9], v[10:11], off glc
	s_waitcnt vmcnt(0)
	v_cmp_eq_u32_e32 vcc, v10, v11
	s_or_b64 s[28:29], vcc, s[28:29]
	v_mov_b32_e32 v11, v10
	s_andn2_b64 exec, exec, s[28:29]
	s_cbranch_execnz .LBB195_10
; %bb.11:                               ;   in Loop: Header=BB195_9 Depth=2
	s_or_b64 exec, exec, s[28:29]
	v_add_co_u32_e32 v6, vcc, 16, v6
	v_addc_co_u32_e32 v7, vcc, 0, v7, vcc
	v_cmp_ge_i64_e32 vcc, v[6:7], v[4:5]
	s_or_b64 s[26:27], vcc, s[26:27]
	s_andn2_b64 exec, exec, s[26:27]
	s_cbranch_execnz .LBB195_9
	s_branch .LBB195_6
.LBB195_12:
	s_or_b64 exec, exec, s[4:5]
	s_mov_b64 s[4:5], 0
.LBB195_13:
	s_andn2_b64 vcc, exec, s[4:5]
	s_cbranch_vccnz .LBB195_23
; %bb.14:
	s_and_saveexec_b64 s[4:5], s[0:1]
	s_cbranch_execz .LBB195_23
; %bb.15:
	v_subrev_co_u32_e32 v10, vcc, s2, v12
	s_mov_b32 s4, 0
	v_subb_co_u32_e64 v11, s[0:1], 0, 0, vcc
	s_mov_b64 s[0:1], 0
	v_mov_b32_e32 v12, s13
	v_mov_b32_e32 v13, s15
	;; [unrolled: 1-line block ×3, first 2 shown]
	s_branch .LBB195_17
.LBB195_16:                             ;   in Loop: Header=BB195_17 Depth=1
	s_or_b64 exec, exec, s[4:5]
	v_add_co_u32_e32 v0, vcc, s3, v0
	v_addc_co_u32_e32 v1, vcc, 0, v1, vcc
	v_cmp_le_i64_e32 vcc, s[8:9], v[0:1]
	s_or_b64 s[0:1], vcc, s[0:1]
	s_andn2_b64 exec, exec, s[0:1]
	s_cbranch_execz .LBB195_23
.LBB195_17:                             ; =>This Loop Header: Depth=1
                                        ;     Child Loop BB195_20 Depth 2
                                        ;       Child Loop BB195_22 Depth 3
	v_lshlrev_b64 v[2:3], 3, v[0:1]
	v_add_co_u32_e32 v4, vcc, s14, v2
	v_addc_co_u32_e32 v5, vcc, v13, v3, vcc
	global_load_dwordx2 v[4:5], v[4:5], off
	v_add_co_u32_e32 v2, vcc, s12, v2
	v_addc_co_u32_e32 v3, vcc, v12, v3, vcc
	global_load_dwordx2 v[6:7], v[2:3], off
	s_waitcnt vmcnt(1)
	v_subrev_co_u32_e32 v2, vcc, s2, v4
	v_subb_co_u32_e32 v3, vcc, v5, v14, vcc
	s_waitcnt vmcnt(0)
	v_add_co_u32_e32 v4, vcc, v6, v10
	v_addc_co_u32_e32 v5, vcc, v7, v11, vcc
	v_cmp_lt_i64_e32 vcc, v[4:5], v[2:3]
	s_and_saveexec_b64 s[4:5], vcc
	s_cbranch_execz .LBB195_16
; %bb.18:                               ;   in Loop: Header=BB195_17 Depth=1
	v_mov_b32_e32 v7, s21
	v_add_co_u32_e32 v6, vcc, s20, v0
	v_addc_co_u32_e32 v7, vcc, v7, v1, vcc
	global_load_sbyte v6, v[6:7], off
	s_mov_b64 s[6:7], 0
	s_waitcnt vmcnt(0)
	v_cvt_f32_i32_e32 v6, v6
	v_mul_f32_e32 v15, s10, v6
	s_branch .LBB195_20
.LBB195_19:                             ;   in Loop: Header=BB195_20 Depth=2
	s_or_b64 exec, exec, s[24:25]
	v_add_co_u32_e32 v4, vcc, 16, v4
	v_addc_co_u32_e32 v5, vcc, 0, v5, vcc
	v_cmp_ge_i64_e32 vcc, v[4:5], v[2:3]
	s_or_b64 s[6:7], vcc, s[6:7]
	s_andn2_b64 exec, exec, s[6:7]
	s_cbranch_execz .LBB195_16
.LBB195_20:                             ;   Parent Loop BB195_17 Depth=1
                                        ; =>  This Loop Header: Depth=2
                                        ;       Child Loop BB195_22 Depth 3
	v_lshlrev_b64 v[6:7], 3, v[4:5]
	v_mov_b32_e32 v8, s17
	v_add_co_u32_e32 v6, vcc, s16, v6
	v_addc_co_u32_e32 v7, vcc, v8, v7, vcc
	global_load_dwordx2 v[6:7], v[6:7], off
	s_waitcnt vmcnt(0)
	v_subrev_co_u32_e32 v6, vcc, s2, v6
	v_subb_co_u32_e32 v7, vcc, v7, v14, vcc
	v_cmp_ne_u64_e32 vcc, v[6:7], v[0:1]
	s_and_saveexec_b64 s[24:25], vcc
	s_cbranch_execz .LBB195_19
; %bb.21:                               ;   in Loop: Header=BB195_20 Depth=2
	v_mov_b32_e32 v9, s19
	v_add_co_u32_e32 v8, vcc, s18, v4
	v_addc_co_u32_e32 v9, vcc, v9, v5, vcc
	global_load_sbyte v8, v[8:9], off
	v_lshlrev_b64 v[6:7], 2, v[6:7]
	v_mov_b32_e32 v9, s23
	v_add_co_u32_e32 v6, vcc, s22, v6
	v_addc_co_u32_e32 v7, vcc, v9, v7, vcc
	global_load_dword v9, v[6:7], off
	s_mov_b64 s[26:27], 0
	s_waitcnt vmcnt(1)
	v_cvt_f32_i32_e32 v8, v8
	v_mul_f32_e32 v16, v15, v8
.LBB195_22:                             ;   Parent Loop BB195_17 Depth=1
                                        ;     Parent Loop BB195_20 Depth=2
                                        ; =>    This Inner Loop Header: Depth=3
	s_waitcnt vmcnt(0)
	v_add_f32_e32 v8, v9, v16
	global_atomic_cmpswap v8, v[6:7], v[8:9], off glc
	s_waitcnt vmcnt(0)
	v_cmp_eq_u32_e32 vcc, v8, v9
	s_or_b64 s[26:27], vcc, s[26:27]
	v_mov_b32_e32 v9, v8
	s_andn2_b64 exec, exec, s[26:27]
	s_cbranch_execnz .LBB195_22
	s_branch .LBB195_19
.LBB195_23:
	s_endpgm
	.section	.rodata,"a",@progbits
	.p2align	6, 0x0
	.amdhsa_kernel _ZN9rocsparseL21csrmvt_general_kernelILj256ELj16EllaaffEEvbbT2_NS_24const_host_device_scalarIT6_EEPKT1_S7_PKS1_PKT3_PKT4_PT5_21rocsparse_index_base_b
		.amdhsa_group_segment_fixed_size 0
		.amdhsa_private_segment_fixed_size 0
		.amdhsa_kernarg_size 336
		.amdhsa_user_sgpr_count 6
		.amdhsa_user_sgpr_private_segment_buffer 1
		.amdhsa_user_sgpr_dispatch_ptr 0
		.amdhsa_user_sgpr_queue_ptr 0
		.amdhsa_user_sgpr_kernarg_segment_ptr 1
		.amdhsa_user_sgpr_dispatch_id 0
		.amdhsa_user_sgpr_flat_scratch_init 0
		.amdhsa_user_sgpr_kernarg_preload_length 0
		.amdhsa_user_sgpr_kernarg_preload_offset 0
		.amdhsa_user_sgpr_private_segment_size 0
		.amdhsa_uses_dynamic_stack 0
		.amdhsa_system_sgpr_private_segment_wavefront_offset 0
		.amdhsa_system_sgpr_workgroup_id_x 1
		.amdhsa_system_sgpr_workgroup_id_y 0
		.amdhsa_system_sgpr_workgroup_id_z 0
		.amdhsa_system_sgpr_workgroup_info 0
		.amdhsa_system_vgpr_workitem_id 0
		.amdhsa_next_free_vgpr 20
		.amdhsa_next_free_sgpr 30
		.amdhsa_accum_offset 20
		.amdhsa_reserve_vcc 1
		.amdhsa_reserve_flat_scratch 0
		.amdhsa_float_round_mode_32 0
		.amdhsa_float_round_mode_16_64 0
		.amdhsa_float_denorm_mode_32 3
		.amdhsa_float_denorm_mode_16_64 3
		.amdhsa_dx10_clamp 1
		.amdhsa_ieee_mode 1
		.amdhsa_fp16_overflow 0
		.amdhsa_tg_split 0
		.amdhsa_exception_fp_ieee_invalid_op 0
		.amdhsa_exception_fp_denorm_src 0
		.amdhsa_exception_fp_ieee_div_zero 0
		.amdhsa_exception_fp_ieee_overflow 0
		.amdhsa_exception_fp_ieee_underflow 0
		.amdhsa_exception_fp_ieee_inexact 0
		.amdhsa_exception_int_div_zero 0
	.end_amdhsa_kernel
	.section	.text._ZN9rocsparseL21csrmvt_general_kernelILj256ELj16EllaaffEEvbbT2_NS_24const_host_device_scalarIT6_EEPKT1_S7_PKS1_PKT3_PKT4_PT5_21rocsparse_index_base_b,"axG",@progbits,_ZN9rocsparseL21csrmvt_general_kernelILj256ELj16EllaaffEEvbbT2_NS_24const_host_device_scalarIT6_EEPKT1_S7_PKS1_PKT3_PKT4_PT5_21rocsparse_index_base_b,comdat
.Lfunc_end195:
	.size	_ZN9rocsparseL21csrmvt_general_kernelILj256ELj16EllaaffEEvbbT2_NS_24const_host_device_scalarIT6_EEPKT1_S7_PKS1_PKT3_PKT4_PT5_21rocsparse_index_base_b, .Lfunc_end195-_ZN9rocsparseL21csrmvt_general_kernelILj256ELj16EllaaffEEvbbT2_NS_24const_host_device_scalarIT6_EEPKT1_S7_PKS1_PKT3_PKT4_PT5_21rocsparse_index_base_b
                                        ; -- End function
	.section	.AMDGPU.csdata,"",@progbits
; Kernel info:
; codeLenInByte = 904
; NumSgprs: 34
; NumVgprs: 20
; NumAgprs: 0
; TotalNumVgprs: 20
; ScratchSize: 0
; MemoryBound: 0
; FloatMode: 240
; IeeeMode: 1
; LDSByteSize: 0 bytes/workgroup (compile time only)
; SGPRBlocks: 4
; VGPRBlocks: 2
; NumSGPRsForWavesPerEU: 34
; NumVGPRsForWavesPerEU: 20
; AccumOffset: 20
; Occupancy: 8
; WaveLimiterHint : 1
; COMPUTE_PGM_RSRC2:SCRATCH_EN: 0
; COMPUTE_PGM_RSRC2:USER_SGPR: 6
; COMPUTE_PGM_RSRC2:TRAP_HANDLER: 0
; COMPUTE_PGM_RSRC2:TGID_X_EN: 1
; COMPUTE_PGM_RSRC2:TGID_Y_EN: 0
; COMPUTE_PGM_RSRC2:TGID_Z_EN: 0
; COMPUTE_PGM_RSRC2:TIDIG_COMP_CNT: 0
; COMPUTE_PGM_RSRC3_GFX90A:ACCUM_OFFSET: 4
; COMPUTE_PGM_RSRC3_GFX90A:TG_SPLIT: 0
	.section	.text._ZN9rocsparseL21csrmvt_general_kernelILj256ELj32EllaaffEEvbbT2_NS_24const_host_device_scalarIT6_EEPKT1_S7_PKS1_PKT3_PKT4_PT5_21rocsparse_index_base_b,"axG",@progbits,_ZN9rocsparseL21csrmvt_general_kernelILj256ELj32EllaaffEEvbbT2_NS_24const_host_device_scalarIT6_EEPKT1_S7_PKS1_PKT3_PKT4_PT5_21rocsparse_index_base_b,comdat
	.globl	_ZN9rocsparseL21csrmvt_general_kernelILj256ELj32EllaaffEEvbbT2_NS_24const_host_device_scalarIT6_EEPKT1_S7_PKS1_PKT3_PKT4_PT5_21rocsparse_index_base_b ; -- Begin function _ZN9rocsparseL21csrmvt_general_kernelILj256ELj32EllaaffEEvbbT2_NS_24const_host_device_scalarIT6_EEPKT1_S7_PKS1_PKT3_PKT4_PT5_21rocsparse_index_base_b
	.p2align	8
	.type	_ZN9rocsparseL21csrmvt_general_kernelILj256ELj32EllaaffEEvbbT2_NS_24const_host_device_scalarIT6_EEPKT1_S7_PKS1_PKT3_PKT4_PT5_21rocsparse_index_base_b,@function
_ZN9rocsparseL21csrmvt_general_kernelILj256ELj32EllaaffEEvbbT2_NS_24const_host_device_scalarIT6_EEPKT1_S7_PKS1_PKT3_PKT4_PT5_21rocsparse_index_base_b: ; @_ZN9rocsparseL21csrmvt_general_kernelILj256ELj32EllaaffEEvbbT2_NS_24const_host_device_scalarIT6_EEPKT1_S7_PKS1_PKT3_PKT4_PT5_21rocsparse_index_base_b
; %bb.0:
	s_load_dwordx2 s[2:3], s[4:5], 0x48
	s_load_dwordx8 s[8:15], s[4:5], 0x8
	s_waitcnt lgkmcnt(0)
	s_bitcmp1_b32 s3, 0
	s_cselect_b64 s[0:1], -1, 0
	s_and_b64 vcc, exec, s[0:1]
	s_cbranch_vccnz .LBB196_2
; %bb.1:
	s_load_dword s10, s[10:11], 0x0
.LBB196_2:
	s_waitcnt lgkmcnt(0)
	v_cmp_eq_f32_e64 s[0:1], s10, 0
	s_and_b64 vcc, exec, s[0:1]
	s_cbranch_vccnz .LBB196_23
; %bb.3:
	s_load_dword s0, s[4:5], 0x0
	s_load_dword s1, s[4:5], 0x50
	s_load_dwordx8 s[16:23], s[4:5], 0x28
	v_and_b32_e32 v12, 31, v0
	v_lshl_or_b32 v0, s6, 8, v0
	s_waitcnt lgkmcnt(0)
	s_and_b32 s0, s0, 1
	s_lshl_b32 s3, s1, 3
	v_lshrrev_b32_e32 v0, 5, v0
	v_mov_b32_e32 v1, 0
	s_cmp_eq_u32 s0, 0
	v_cmp_gt_i64_e64 s[0:1], s[8:9], v[0:1]
	s_mov_b64 s[4:5], -1
	s_cbranch_scc0 .LBB196_13
; %bb.4:
	s_and_saveexec_b64 s[4:5], s[0:1]
	s_cbranch_execz .LBB196_12
; %bb.5:
	v_subrev_co_u32_e32 v13, vcc, s2, v12
	s_mov_b32 s11, 0
	v_subb_co_u32_e64 v14, s[6:7], 0, 0, vcc
	s_mov_b64 s[6:7], 0
	v_mov_b32_e32 v15, s13
	v_mov_b32_e32 v16, s15
	;; [unrolled: 1-line block ×3, first 2 shown]
	v_pk_mov_b32 v[2:3], v[0:1], v[0:1] op_sel:[0,1]
	s_branch .LBB196_7
.LBB196_6:                              ;   in Loop: Header=BB196_7 Depth=1
	s_or_b64 exec, exec, s[24:25]
	v_add_co_u32_e32 v2, vcc, s3, v2
	v_addc_co_u32_e32 v3, vcc, 0, v3, vcc
	v_cmp_le_i64_e32 vcc, s[8:9], v[2:3]
	s_or_b64 s[6:7], vcc, s[6:7]
	s_andn2_b64 exec, exec, s[6:7]
	s_cbranch_execz .LBB196_12
.LBB196_7:                              ; =>This Loop Header: Depth=1
                                        ;     Child Loop BB196_9 Depth 2
                                        ;       Child Loop BB196_10 Depth 3
	v_lshlrev_b64 v[4:5], 3, v[2:3]
	v_add_co_u32_e32 v6, vcc, s14, v4
	v_addc_co_u32_e32 v7, vcc, v16, v5, vcc
	global_load_dwordx2 v[6:7], v[6:7], off
	v_add_co_u32_e32 v4, vcc, s12, v4
	v_addc_co_u32_e32 v5, vcc, v15, v5, vcc
	global_load_dwordx2 v[8:9], v[4:5], off
	s_waitcnt vmcnt(1)
	v_subrev_co_u32_e32 v4, vcc, s2, v6
	v_subb_co_u32_e32 v5, vcc, v7, v17, vcc
	s_waitcnt vmcnt(0)
	v_add_co_u32_e32 v6, vcc, v8, v13
	v_addc_co_u32_e32 v7, vcc, v9, v14, vcc
	v_cmp_lt_i64_e32 vcc, v[6:7], v[4:5]
	s_and_saveexec_b64 s[24:25], vcc
	s_cbranch_execz .LBB196_6
; %bb.8:                                ;   in Loop: Header=BB196_7 Depth=1
	v_mov_b32_e32 v9, s21
	v_add_co_u32_e32 v8, vcc, s20, v2
	v_addc_co_u32_e32 v9, vcc, v9, v3, vcc
	global_load_sbyte v8, v[8:9], off
	s_mov_b64 s[26:27], 0
	s_waitcnt vmcnt(0)
	v_cvt_f32_i32_e32 v8, v8
	v_mul_f32_e32 v18, s10, v8
.LBB196_9:                              ;   Parent Loop BB196_7 Depth=1
                                        ; =>  This Loop Header: Depth=2
                                        ;       Child Loop BB196_10 Depth 3
	v_lshlrev_b64 v[8:9], 3, v[6:7]
	v_mov_b32_e32 v10, s17
	v_add_co_u32_e32 v8, vcc, s16, v8
	v_addc_co_u32_e32 v9, vcc, v10, v9, vcc
	global_load_dwordx2 v[8:9], v[8:9], off
	v_mov_b32_e32 v11, s19
	v_add_co_u32_e32 v10, vcc, s18, v6
	v_addc_co_u32_e32 v11, vcc, v11, v7, vcc
	global_load_sbyte v10, v[10:11], off
	v_mov_b32_e32 v19, s23
	s_mov_b64 s[28:29], 0
	s_waitcnt vmcnt(1)
	v_subrev_co_u32_e32 v8, vcc, s2, v8
	v_subb_co_u32_e32 v9, vcc, v9, v17, vcc
	v_lshlrev_b64 v[8:9], 2, v[8:9]
	v_add_co_u32_e32 v8, vcc, s22, v8
	v_addc_co_u32_e32 v9, vcc, v19, v9, vcc
	global_load_dword v11, v[8:9], off
	s_waitcnt vmcnt(1)
	v_cvt_f32_i32_e32 v10, v10
	v_mul_f32_e32 v19, v18, v10
.LBB196_10:                             ;   Parent Loop BB196_7 Depth=1
                                        ;     Parent Loop BB196_9 Depth=2
                                        ; =>    This Inner Loop Header: Depth=3
	s_waitcnt vmcnt(0)
	v_add_f32_e32 v10, v11, v19
	global_atomic_cmpswap v10, v[8:9], v[10:11], off glc
	s_waitcnt vmcnt(0)
	v_cmp_eq_u32_e32 vcc, v10, v11
	s_or_b64 s[28:29], vcc, s[28:29]
	v_mov_b32_e32 v11, v10
	s_andn2_b64 exec, exec, s[28:29]
	s_cbranch_execnz .LBB196_10
; %bb.11:                               ;   in Loop: Header=BB196_9 Depth=2
	s_or_b64 exec, exec, s[28:29]
	v_add_co_u32_e32 v6, vcc, 32, v6
	v_addc_co_u32_e32 v7, vcc, 0, v7, vcc
	v_cmp_ge_i64_e32 vcc, v[6:7], v[4:5]
	s_or_b64 s[26:27], vcc, s[26:27]
	s_andn2_b64 exec, exec, s[26:27]
	s_cbranch_execnz .LBB196_9
	s_branch .LBB196_6
.LBB196_12:
	s_or_b64 exec, exec, s[4:5]
	s_mov_b64 s[4:5], 0
.LBB196_13:
	s_andn2_b64 vcc, exec, s[4:5]
	s_cbranch_vccnz .LBB196_23
; %bb.14:
	s_and_saveexec_b64 s[4:5], s[0:1]
	s_cbranch_execz .LBB196_23
; %bb.15:
	v_subrev_co_u32_e32 v10, vcc, s2, v12
	s_mov_b32 s4, 0
	v_subb_co_u32_e64 v11, s[0:1], 0, 0, vcc
	s_mov_b64 s[0:1], 0
	v_mov_b32_e32 v12, s13
	v_mov_b32_e32 v13, s15
	;; [unrolled: 1-line block ×3, first 2 shown]
	s_branch .LBB196_17
.LBB196_16:                             ;   in Loop: Header=BB196_17 Depth=1
	s_or_b64 exec, exec, s[4:5]
	v_add_co_u32_e32 v0, vcc, s3, v0
	v_addc_co_u32_e32 v1, vcc, 0, v1, vcc
	v_cmp_le_i64_e32 vcc, s[8:9], v[0:1]
	s_or_b64 s[0:1], vcc, s[0:1]
	s_andn2_b64 exec, exec, s[0:1]
	s_cbranch_execz .LBB196_23
.LBB196_17:                             ; =>This Loop Header: Depth=1
                                        ;     Child Loop BB196_20 Depth 2
                                        ;       Child Loop BB196_22 Depth 3
	v_lshlrev_b64 v[2:3], 3, v[0:1]
	v_add_co_u32_e32 v4, vcc, s14, v2
	v_addc_co_u32_e32 v5, vcc, v13, v3, vcc
	global_load_dwordx2 v[4:5], v[4:5], off
	v_add_co_u32_e32 v2, vcc, s12, v2
	v_addc_co_u32_e32 v3, vcc, v12, v3, vcc
	global_load_dwordx2 v[6:7], v[2:3], off
	s_waitcnt vmcnt(1)
	v_subrev_co_u32_e32 v2, vcc, s2, v4
	v_subb_co_u32_e32 v3, vcc, v5, v14, vcc
	s_waitcnt vmcnt(0)
	v_add_co_u32_e32 v4, vcc, v6, v10
	v_addc_co_u32_e32 v5, vcc, v7, v11, vcc
	v_cmp_lt_i64_e32 vcc, v[4:5], v[2:3]
	s_and_saveexec_b64 s[4:5], vcc
	s_cbranch_execz .LBB196_16
; %bb.18:                               ;   in Loop: Header=BB196_17 Depth=1
	v_mov_b32_e32 v7, s21
	v_add_co_u32_e32 v6, vcc, s20, v0
	v_addc_co_u32_e32 v7, vcc, v7, v1, vcc
	global_load_sbyte v6, v[6:7], off
	s_mov_b64 s[6:7], 0
	s_waitcnt vmcnt(0)
	v_cvt_f32_i32_e32 v6, v6
	v_mul_f32_e32 v15, s10, v6
	s_branch .LBB196_20
.LBB196_19:                             ;   in Loop: Header=BB196_20 Depth=2
	s_or_b64 exec, exec, s[24:25]
	v_add_co_u32_e32 v4, vcc, 32, v4
	v_addc_co_u32_e32 v5, vcc, 0, v5, vcc
	v_cmp_ge_i64_e32 vcc, v[4:5], v[2:3]
	s_or_b64 s[6:7], vcc, s[6:7]
	s_andn2_b64 exec, exec, s[6:7]
	s_cbranch_execz .LBB196_16
.LBB196_20:                             ;   Parent Loop BB196_17 Depth=1
                                        ; =>  This Loop Header: Depth=2
                                        ;       Child Loop BB196_22 Depth 3
	v_lshlrev_b64 v[6:7], 3, v[4:5]
	v_mov_b32_e32 v8, s17
	v_add_co_u32_e32 v6, vcc, s16, v6
	v_addc_co_u32_e32 v7, vcc, v8, v7, vcc
	global_load_dwordx2 v[6:7], v[6:7], off
	s_waitcnt vmcnt(0)
	v_subrev_co_u32_e32 v6, vcc, s2, v6
	v_subb_co_u32_e32 v7, vcc, v7, v14, vcc
	v_cmp_ne_u64_e32 vcc, v[6:7], v[0:1]
	s_and_saveexec_b64 s[24:25], vcc
	s_cbranch_execz .LBB196_19
; %bb.21:                               ;   in Loop: Header=BB196_20 Depth=2
	v_mov_b32_e32 v9, s19
	v_add_co_u32_e32 v8, vcc, s18, v4
	v_addc_co_u32_e32 v9, vcc, v9, v5, vcc
	global_load_sbyte v8, v[8:9], off
	v_lshlrev_b64 v[6:7], 2, v[6:7]
	v_mov_b32_e32 v9, s23
	v_add_co_u32_e32 v6, vcc, s22, v6
	v_addc_co_u32_e32 v7, vcc, v9, v7, vcc
	global_load_dword v9, v[6:7], off
	s_mov_b64 s[26:27], 0
	s_waitcnt vmcnt(1)
	v_cvt_f32_i32_e32 v8, v8
	v_mul_f32_e32 v16, v15, v8
.LBB196_22:                             ;   Parent Loop BB196_17 Depth=1
                                        ;     Parent Loop BB196_20 Depth=2
                                        ; =>    This Inner Loop Header: Depth=3
	s_waitcnt vmcnt(0)
	v_add_f32_e32 v8, v9, v16
	global_atomic_cmpswap v8, v[6:7], v[8:9], off glc
	s_waitcnt vmcnt(0)
	v_cmp_eq_u32_e32 vcc, v8, v9
	s_or_b64 s[26:27], vcc, s[26:27]
	v_mov_b32_e32 v9, v8
	s_andn2_b64 exec, exec, s[26:27]
	s_cbranch_execnz .LBB196_22
	s_branch .LBB196_19
.LBB196_23:
	s_endpgm
	.section	.rodata,"a",@progbits
	.p2align	6, 0x0
	.amdhsa_kernel _ZN9rocsparseL21csrmvt_general_kernelILj256ELj32EllaaffEEvbbT2_NS_24const_host_device_scalarIT6_EEPKT1_S7_PKS1_PKT3_PKT4_PT5_21rocsparse_index_base_b
		.amdhsa_group_segment_fixed_size 0
		.amdhsa_private_segment_fixed_size 0
		.amdhsa_kernarg_size 336
		.amdhsa_user_sgpr_count 6
		.amdhsa_user_sgpr_private_segment_buffer 1
		.amdhsa_user_sgpr_dispatch_ptr 0
		.amdhsa_user_sgpr_queue_ptr 0
		.amdhsa_user_sgpr_kernarg_segment_ptr 1
		.amdhsa_user_sgpr_dispatch_id 0
		.amdhsa_user_sgpr_flat_scratch_init 0
		.amdhsa_user_sgpr_kernarg_preload_length 0
		.amdhsa_user_sgpr_kernarg_preload_offset 0
		.amdhsa_user_sgpr_private_segment_size 0
		.amdhsa_uses_dynamic_stack 0
		.amdhsa_system_sgpr_private_segment_wavefront_offset 0
		.amdhsa_system_sgpr_workgroup_id_x 1
		.amdhsa_system_sgpr_workgroup_id_y 0
		.amdhsa_system_sgpr_workgroup_id_z 0
		.amdhsa_system_sgpr_workgroup_info 0
		.amdhsa_system_vgpr_workitem_id 0
		.amdhsa_next_free_vgpr 20
		.amdhsa_next_free_sgpr 30
		.amdhsa_accum_offset 20
		.amdhsa_reserve_vcc 1
		.amdhsa_reserve_flat_scratch 0
		.amdhsa_float_round_mode_32 0
		.amdhsa_float_round_mode_16_64 0
		.amdhsa_float_denorm_mode_32 3
		.amdhsa_float_denorm_mode_16_64 3
		.amdhsa_dx10_clamp 1
		.amdhsa_ieee_mode 1
		.amdhsa_fp16_overflow 0
		.amdhsa_tg_split 0
		.amdhsa_exception_fp_ieee_invalid_op 0
		.amdhsa_exception_fp_denorm_src 0
		.amdhsa_exception_fp_ieee_div_zero 0
		.amdhsa_exception_fp_ieee_overflow 0
		.amdhsa_exception_fp_ieee_underflow 0
		.amdhsa_exception_fp_ieee_inexact 0
		.amdhsa_exception_int_div_zero 0
	.end_amdhsa_kernel
	.section	.text._ZN9rocsparseL21csrmvt_general_kernelILj256ELj32EllaaffEEvbbT2_NS_24const_host_device_scalarIT6_EEPKT1_S7_PKS1_PKT3_PKT4_PT5_21rocsparse_index_base_b,"axG",@progbits,_ZN9rocsparseL21csrmvt_general_kernelILj256ELj32EllaaffEEvbbT2_NS_24const_host_device_scalarIT6_EEPKT1_S7_PKS1_PKT3_PKT4_PT5_21rocsparse_index_base_b,comdat
.Lfunc_end196:
	.size	_ZN9rocsparseL21csrmvt_general_kernelILj256ELj32EllaaffEEvbbT2_NS_24const_host_device_scalarIT6_EEPKT1_S7_PKS1_PKT3_PKT4_PT5_21rocsparse_index_base_b, .Lfunc_end196-_ZN9rocsparseL21csrmvt_general_kernelILj256ELj32EllaaffEEvbbT2_NS_24const_host_device_scalarIT6_EEPKT1_S7_PKS1_PKT3_PKT4_PT5_21rocsparse_index_base_b
                                        ; -- End function
	.section	.AMDGPU.csdata,"",@progbits
; Kernel info:
; codeLenInByte = 904
; NumSgprs: 34
; NumVgprs: 20
; NumAgprs: 0
; TotalNumVgprs: 20
; ScratchSize: 0
; MemoryBound: 0
; FloatMode: 240
; IeeeMode: 1
; LDSByteSize: 0 bytes/workgroup (compile time only)
; SGPRBlocks: 4
; VGPRBlocks: 2
; NumSGPRsForWavesPerEU: 34
; NumVGPRsForWavesPerEU: 20
; AccumOffset: 20
; Occupancy: 8
; WaveLimiterHint : 1
; COMPUTE_PGM_RSRC2:SCRATCH_EN: 0
; COMPUTE_PGM_RSRC2:USER_SGPR: 6
; COMPUTE_PGM_RSRC2:TRAP_HANDLER: 0
; COMPUTE_PGM_RSRC2:TGID_X_EN: 1
; COMPUTE_PGM_RSRC2:TGID_Y_EN: 0
; COMPUTE_PGM_RSRC2:TGID_Z_EN: 0
; COMPUTE_PGM_RSRC2:TIDIG_COMP_CNT: 0
; COMPUTE_PGM_RSRC3_GFX90A:ACCUM_OFFSET: 4
; COMPUTE_PGM_RSRC3_GFX90A:TG_SPLIT: 0
	.section	.text._ZN9rocsparseL21csrmvt_general_kernelILj256ELj64EllaaffEEvbbT2_NS_24const_host_device_scalarIT6_EEPKT1_S7_PKS1_PKT3_PKT4_PT5_21rocsparse_index_base_b,"axG",@progbits,_ZN9rocsparseL21csrmvt_general_kernelILj256ELj64EllaaffEEvbbT2_NS_24const_host_device_scalarIT6_EEPKT1_S7_PKS1_PKT3_PKT4_PT5_21rocsparse_index_base_b,comdat
	.globl	_ZN9rocsparseL21csrmvt_general_kernelILj256ELj64EllaaffEEvbbT2_NS_24const_host_device_scalarIT6_EEPKT1_S7_PKS1_PKT3_PKT4_PT5_21rocsparse_index_base_b ; -- Begin function _ZN9rocsparseL21csrmvt_general_kernelILj256ELj64EllaaffEEvbbT2_NS_24const_host_device_scalarIT6_EEPKT1_S7_PKS1_PKT3_PKT4_PT5_21rocsparse_index_base_b
	.p2align	8
	.type	_ZN9rocsparseL21csrmvt_general_kernelILj256ELj64EllaaffEEvbbT2_NS_24const_host_device_scalarIT6_EEPKT1_S7_PKS1_PKT3_PKT4_PT5_21rocsparse_index_base_b,@function
_ZN9rocsparseL21csrmvt_general_kernelILj256ELj64EllaaffEEvbbT2_NS_24const_host_device_scalarIT6_EEPKT1_S7_PKS1_PKT3_PKT4_PT5_21rocsparse_index_base_b: ; @_ZN9rocsparseL21csrmvt_general_kernelILj256ELj64EllaaffEEvbbT2_NS_24const_host_device_scalarIT6_EEPKT1_S7_PKS1_PKT3_PKT4_PT5_21rocsparse_index_base_b
; %bb.0:
	s_load_dwordx2 s[2:3], s[4:5], 0x48
	s_load_dwordx8 s[8:15], s[4:5], 0x8
	s_waitcnt lgkmcnt(0)
	s_bitcmp1_b32 s3, 0
	s_cselect_b64 s[0:1], -1, 0
	s_and_b64 vcc, exec, s[0:1]
	s_cbranch_vccnz .LBB197_2
; %bb.1:
	s_load_dword s10, s[10:11], 0x0
.LBB197_2:
	s_waitcnt lgkmcnt(0)
	v_cmp_eq_f32_e64 s[0:1], s10, 0
	s_and_b64 vcc, exec, s[0:1]
	s_cbranch_vccnz .LBB197_23
; %bb.3:
	s_load_dword s0, s[4:5], 0x0
	s_load_dword s1, s[4:5], 0x50
	s_load_dwordx8 s[16:23], s[4:5], 0x28
	v_and_b32_e32 v12, 63, v0
	v_lshl_or_b32 v0, s6, 8, v0
	s_waitcnt lgkmcnt(0)
	s_and_b32 s0, s0, 1
	s_lshl_b32 s3, s1, 2
	v_lshrrev_b32_e32 v0, 6, v0
	v_mov_b32_e32 v1, 0
	s_cmp_eq_u32 s0, 0
	v_cmp_gt_i64_e64 s[0:1], s[8:9], v[0:1]
	s_mov_b64 s[4:5], -1
	s_cbranch_scc0 .LBB197_13
; %bb.4:
	s_and_saveexec_b64 s[4:5], s[0:1]
	s_cbranch_execz .LBB197_12
; %bb.5:
	v_subrev_co_u32_e32 v13, vcc, s2, v12
	s_mov_b32 s11, 0
	v_subb_co_u32_e64 v14, s[6:7], 0, 0, vcc
	s_mov_b64 s[6:7], 0
	v_mov_b32_e32 v15, s13
	v_mov_b32_e32 v16, s15
	;; [unrolled: 1-line block ×3, first 2 shown]
	v_pk_mov_b32 v[2:3], v[0:1], v[0:1] op_sel:[0,1]
	s_branch .LBB197_7
.LBB197_6:                              ;   in Loop: Header=BB197_7 Depth=1
	s_or_b64 exec, exec, s[24:25]
	v_add_co_u32_e32 v2, vcc, s3, v2
	v_addc_co_u32_e32 v3, vcc, 0, v3, vcc
	v_cmp_le_i64_e32 vcc, s[8:9], v[2:3]
	s_or_b64 s[6:7], vcc, s[6:7]
	s_andn2_b64 exec, exec, s[6:7]
	s_cbranch_execz .LBB197_12
.LBB197_7:                              ; =>This Loop Header: Depth=1
                                        ;     Child Loop BB197_9 Depth 2
                                        ;       Child Loop BB197_10 Depth 3
	v_lshlrev_b64 v[4:5], 3, v[2:3]
	v_add_co_u32_e32 v6, vcc, s14, v4
	v_addc_co_u32_e32 v7, vcc, v16, v5, vcc
	global_load_dwordx2 v[6:7], v[6:7], off
	v_add_co_u32_e32 v4, vcc, s12, v4
	v_addc_co_u32_e32 v5, vcc, v15, v5, vcc
	global_load_dwordx2 v[8:9], v[4:5], off
	s_waitcnt vmcnt(1)
	v_subrev_co_u32_e32 v4, vcc, s2, v6
	v_subb_co_u32_e32 v5, vcc, v7, v17, vcc
	s_waitcnt vmcnt(0)
	v_add_co_u32_e32 v6, vcc, v8, v13
	v_addc_co_u32_e32 v7, vcc, v9, v14, vcc
	v_cmp_lt_i64_e32 vcc, v[6:7], v[4:5]
	s_and_saveexec_b64 s[24:25], vcc
	s_cbranch_execz .LBB197_6
; %bb.8:                                ;   in Loop: Header=BB197_7 Depth=1
	v_mov_b32_e32 v9, s21
	v_add_co_u32_e32 v8, vcc, s20, v2
	v_addc_co_u32_e32 v9, vcc, v9, v3, vcc
	global_load_sbyte v8, v[8:9], off
	s_mov_b64 s[26:27], 0
	s_waitcnt vmcnt(0)
	v_cvt_f32_i32_e32 v8, v8
	v_mul_f32_e32 v18, s10, v8
.LBB197_9:                              ;   Parent Loop BB197_7 Depth=1
                                        ; =>  This Loop Header: Depth=2
                                        ;       Child Loop BB197_10 Depth 3
	v_lshlrev_b64 v[8:9], 3, v[6:7]
	v_mov_b32_e32 v10, s17
	v_add_co_u32_e32 v8, vcc, s16, v8
	v_addc_co_u32_e32 v9, vcc, v10, v9, vcc
	global_load_dwordx2 v[8:9], v[8:9], off
	v_mov_b32_e32 v11, s19
	v_add_co_u32_e32 v10, vcc, s18, v6
	v_addc_co_u32_e32 v11, vcc, v11, v7, vcc
	global_load_sbyte v10, v[10:11], off
	v_mov_b32_e32 v19, s23
	s_mov_b64 s[28:29], 0
	s_waitcnt vmcnt(1)
	v_subrev_co_u32_e32 v8, vcc, s2, v8
	v_subb_co_u32_e32 v9, vcc, v9, v17, vcc
	v_lshlrev_b64 v[8:9], 2, v[8:9]
	v_add_co_u32_e32 v8, vcc, s22, v8
	v_addc_co_u32_e32 v9, vcc, v19, v9, vcc
	global_load_dword v11, v[8:9], off
	s_waitcnt vmcnt(1)
	v_cvt_f32_i32_e32 v10, v10
	v_mul_f32_e32 v19, v18, v10
.LBB197_10:                             ;   Parent Loop BB197_7 Depth=1
                                        ;     Parent Loop BB197_9 Depth=2
                                        ; =>    This Inner Loop Header: Depth=3
	s_waitcnt vmcnt(0)
	v_add_f32_e32 v10, v11, v19
	global_atomic_cmpswap v10, v[8:9], v[10:11], off glc
	s_waitcnt vmcnt(0)
	v_cmp_eq_u32_e32 vcc, v10, v11
	s_or_b64 s[28:29], vcc, s[28:29]
	v_mov_b32_e32 v11, v10
	s_andn2_b64 exec, exec, s[28:29]
	s_cbranch_execnz .LBB197_10
; %bb.11:                               ;   in Loop: Header=BB197_9 Depth=2
	s_or_b64 exec, exec, s[28:29]
	v_add_co_u32_e32 v6, vcc, 64, v6
	v_addc_co_u32_e32 v7, vcc, 0, v7, vcc
	v_cmp_ge_i64_e32 vcc, v[6:7], v[4:5]
	s_or_b64 s[26:27], vcc, s[26:27]
	s_andn2_b64 exec, exec, s[26:27]
	s_cbranch_execnz .LBB197_9
	s_branch .LBB197_6
.LBB197_12:
	s_or_b64 exec, exec, s[4:5]
	s_mov_b64 s[4:5], 0
.LBB197_13:
	s_andn2_b64 vcc, exec, s[4:5]
	s_cbranch_vccnz .LBB197_23
; %bb.14:
	s_and_saveexec_b64 s[4:5], s[0:1]
	s_cbranch_execz .LBB197_23
; %bb.15:
	v_subrev_co_u32_e32 v10, vcc, s2, v12
	s_mov_b32 s4, 0
	v_subb_co_u32_e64 v11, s[0:1], 0, 0, vcc
	s_mov_b64 s[0:1], 0
	v_mov_b32_e32 v12, s13
	v_mov_b32_e32 v13, s15
	;; [unrolled: 1-line block ×3, first 2 shown]
	s_branch .LBB197_17
.LBB197_16:                             ;   in Loop: Header=BB197_17 Depth=1
	s_or_b64 exec, exec, s[4:5]
	v_add_co_u32_e32 v0, vcc, s3, v0
	v_addc_co_u32_e32 v1, vcc, 0, v1, vcc
	v_cmp_le_i64_e32 vcc, s[8:9], v[0:1]
	s_or_b64 s[0:1], vcc, s[0:1]
	s_andn2_b64 exec, exec, s[0:1]
	s_cbranch_execz .LBB197_23
.LBB197_17:                             ; =>This Loop Header: Depth=1
                                        ;     Child Loop BB197_20 Depth 2
                                        ;       Child Loop BB197_22 Depth 3
	v_lshlrev_b64 v[2:3], 3, v[0:1]
	v_add_co_u32_e32 v4, vcc, s14, v2
	v_addc_co_u32_e32 v5, vcc, v13, v3, vcc
	global_load_dwordx2 v[4:5], v[4:5], off
	v_add_co_u32_e32 v2, vcc, s12, v2
	v_addc_co_u32_e32 v3, vcc, v12, v3, vcc
	global_load_dwordx2 v[6:7], v[2:3], off
	s_waitcnt vmcnt(1)
	v_subrev_co_u32_e32 v2, vcc, s2, v4
	v_subb_co_u32_e32 v3, vcc, v5, v14, vcc
	s_waitcnt vmcnt(0)
	v_add_co_u32_e32 v4, vcc, v6, v10
	v_addc_co_u32_e32 v5, vcc, v7, v11, vcc
	v_cmp_lt_i64_e32 vcc, v[4:5], v[2:3]
	s_and_saveexec_b64 s[4:5], vcc
	s_cbranch_execz .LBB197_16
; %bb.18:                               ;   in Loop: Header=BB197_17 Depth=1
	v_mov_b32_e32 v7, s21
	v_add_co_u32_e32 v6, vcc, s20, v0
	v_addc_co_u32_e32 v7, vcc, v7, v1, vcc
	global_load_sbyte v6, v[6:7], off
	s_mov_b64 s[6:7], 0
	s_waitcnt vmcnt(0)
	v_cvt_f32_i32_e32 v6, v6
	v_mul_f32_e32 v15, s10, v6
	s_branch .LBB197_20
.LBB197_19:                             ;   in Loop: Header=BB197_20 Depth=2
	s_or_b64 exec, exec, s[24:25]
	v_add_co_u32_e32 v4, vcc, 64, v4
	v_addc_co_u32_e32 v5, vcc, 0, v5, vcc
	v_cmp_ge_i64_e32 vcc, v[4:5], v[2:3]
	s_or_b64 s[6:7], vcc, s[6:7]
	s_andn2_b64 exec, exec, s[6:7]
	s_cbranch_execz .LBB197_16
.LBB197_20:                             ;   Parent Loop BB197_17 Depth=1
                                        ; =>  This Loop Header: Depth=2
                                        ;       Child Loop BB197_22 Depth 3
	v_lshlrev_b64 v[6:7], 3, v[4:5]
	v_mov_b32_e32 v8, s17
	v_add_co_u32_e32 v6, vcc, s16, v6
	v_addc_co_u32_e32 v7, vcc, v8, v7, vcc
	global_load_dwordx2 v[6:7], v[6:7], off
	s_waitcnt vmcnt(0)
	v_subrev_co_u32_e32 v6, vcc, s2, v6
	v_subb_co_u32_e32 v7, vcc, v7, v14, vcc
	v_cmp_ne_u64_e32 vcc, v[6:7], v[0:1]
	s_and_saveexec_b64 s[24:25], vcc
	s_cbranch_execz .LBB197_19
; %bb.21:                               ;   in Loop: Header=BB197_20 Depth=2
	v_mov_b32_e32 v9, s19
	v_add_co_u32_e32 v8, vcc, s18, v4
	v_addc_co_u32_e32 v9, vcc, v9, v5, vcc
	global_load_sbyte v8, v[8:9], off
	v_lshlrev_b64 v[6:7], 2, v[6:7]
	v_mov_b32_e32 v9, s23
	v_add_co_u32_e32 v6, vcc, s22, v6
	v_addc_co_u32_e32 v7, vcc, v9, v7, vcc
	global_load_dword v9, v[6:7], off
	s_mov_b64 s[26:27], 0
	s_waitcnt vmcnt(1)
	v_cvt_f32_i32_e32 v8, v8
	v_mul_f32_e32 v16, v15, v8
.LBB197_22:                             ;   Parent Loop BB197_17 Depth=1
                                        ;     Parent Loop BB197_20 Depth=2
                                        ; =>    This Inner Loop Header: Depth=3
	s_waitcnt vmcnt(0)
	v_add_f32_e32 v8, v9, v16
	global_atomic_cmpswap v8, v[6:7], v[8:9], off glc
	s_waitcnt vmcnt(0)
	v_cmp_eq_u32_e32 vcc, v8, v9
	s_or_b64 s[26:27], vcc, s[26:27]
	v_mov_b32_e32 v9, v8
	s_andn2_b64 exec, exec, s[26:27]
	s_cbranch_execnz .LBB197_22
	s_branch .LBB197_19
.LBB197_23:
	s_endpgm
	.section	.rodata,"a",@progbits
	.p2align	6, 0x0
	.amdhsa_kernel _ZN9rocsparseL21csrmvt_general_kernelILj256ELj64EllaaffEEvbbT2_NS_24const_host_device_scalarIT6_EEPKT1_S7_PKS1_PKT3_PKT4_PT5_21rocsparse_index_base_b
		.amdhsa_group_segment_fixed_size 0
		.amdhsa_private_segment_fixed_size 0
		.amdhsa_kernarg_size 336
		.amdhsa_user_sgpr_count 6
		.amdhsa_user_sgpr_private_segment_buffer 1
		.amdhsa_user_sgpr_dispatch_ptr 0
		.amdhsa_user_sgpr_queue_ptr 0
		.amdhsa_user_sgpr_kernarg_segment_ptr 1
		.amdhsa_user_sgpr_dispatch_id 0
		.amdhsa_user_sgpr_flat_scratch_init 0
		.amdhsa_user_sgpr_kernarg_preload_length 0
		.amdhsa_user_sgpr_kernarg_preload_offset 0
		.amdhsa_user_sgpr_private_segment_size 0
		.amdhsa_uses_dynamic_stack 0
		.amdhsa_system_sgpr_private_segment_wavefront_offset 0
		.amdhsa_system_sgpr_workgroup_id_x 1
		.amdhsa_system_sgpr_workgroup_id_y 0
		.amdhsa_system_sgpr_workgroup_id_z 0
		.amdhsa_system_sgpr_workgroup_info 0
		.amdhsa_system_vgpr_workitem_id 0
		.amdhsa_next_free_vgpr 20
		.amdhsa_next_free_sgpr 30
		.amdhsa_accum_offset 20
		.amdhsa_reserve_vcc 1
		.amdhsa_reserve_flat_scratch 0
		.amdhsa_float_round_mode_32 0
		.amdhsa_float_round_mode_16_64 0
		.amdhsa_float_denorm_mode_32 3
		.amdhsa_float_denorm_mode_16_64 3
		.amdhsa_dx10_clamp 1
		.amdhsa_ieee_mode 1
		.amdhsa_fp16_overflow 0
		.amdhsa_tg_split 0
		.amdhsa_exception_fp_ieee_invalid_op 0
		.amdhsa_exception_fp_denorm_src 0
		.amdhsa_exception_fp_ieee_div_zero 0
		.amdhsa_exception_fp_ieee_overflow 0
		.amdhsa_exception_fp_ieee_underflow 0
		.amdhsa_exception_fp_ieee_inexact 0
		.amdhsa_exception_int_div_zero 0
	.end_amdhsa_kernel
	.section	.text._ZN9rocsparseL21csrmvt_general_kernelILj256ELj64EllaaffEEvbbT2_NS_24const_host_device_scalarIT6_EEPKT1_S7_PKS1_PKT3_PKT4_PT5_21rocsparse_index_base_b,"axG",@progbits,_ZN9rocsparseL21csrmvt_general_kernelILj256ELj64EllaaffEEvbbT2_NS_24const_host_device_scalarIT6_EEPKT1_S7_PKS1_PKT3_PKT4_PT5_21rocsparse_index_base_b,comdat
.Lfunc_end197:
	.size	_ZN9rocsparseL21csrmvt_general_kernelILj256ELj64EllaaffEEvbbT2_NS_24const_host_device_scalarIT6_EEPKT1_S7_PKS1_PKT3_PKT4_PT5_21rocsparse_index_base_b, .Lfunc_end197-_ZN9rocsparseL21csrmvt_general_kernelILj256ELj64EllaaffEEvbbT2_NS_24const_host_device_scalarIT6_EEPKT1_S7_PKS1_PKT3_PKT4_PT5_21rocsparse_index_base_b
                                        ; -- End function
	.section	.AMDGPU.csdata,"",@progbits
; Kernel info:
; codeLenInByte = 904
; NumSgprs: 34
; NumVgprs: 20
; NumAgprs: 0
; TotalNumVgprs: 20
; ScratchSize: 0
; MemoryBound: 0
; FloatMode: 240
; IeeeMode: 1
; LDSByteSize: 0 bytes/workgroup (compile time only)
; SGPRBlocks: 4
; VGPRBlocks: 2
; NumSGPRsForWavesPerEU: 34
; NumVGPRsForWavesPerEU: 20
; AccumOffset: 20
; Occupancy: 8
; WaveLimiterHint : 1
; COMPUTE_PGM_RSRC2:SCRATCH_EN: 0
; COMPUTE_PGM_RSRC2:USER_SGPR: 6
; COMPUTE_PGM_RSRC2:TRAP_HANDLER: 0
; COMPUTE_PGM_RSRC2:TGID_X_EN: 1
; COMPUTE_PGM_RSRC2:TGID_Y_EN: 0
; COMPUTE_PGM_RSRC2:TGID_Z_EN: 0
; COMPUTE_PGM_RSRC2:TIDIG_COMP_CNT: 0
; COMPUTE_PGM_RSRC3_GFX90A:ACCUM_OFFSET: 4
; COMPUTE_PGM_RSRC3_GFX90A:TG_SPLIT: 0
	.section	.text._ZN9rocsparseL21csrmvn_general_kernelILj256ELj2EiiDF16_DF16_ffEEvbT2_NS_24const_host_device_scalarIT6_EEPKT1_S7_PKS1_PKT3_PKT4_S4_PT5_21rocsparse_index_base_b,"axG",@progbits,_ZN9rocsparseL21csrmvn_general_kernelILj256ELj2EiiDF16_DF16_ffEEvbT2_NS_24const_host_device_scalarIT6_EEPKT1_S7_PKS1_PKT3_PKT4_S4_PT5_21rocsparse_index_base_b,comdat
	.globl	_ZN9rocsparseL21csrmvn_general_kernelILj256ELj2EiiDF16_DF16_ffEEvbT2_NS_24const_host_device_scalarIT6_EEPKT1_S7_PKS1_PKT3_PKT4_S4_PT5_21rocsparse_index_base_b ; -- Begin function _ZN9rocsparseL21csrmvn_general_kernelILj256ELj2EiiDF16_DF16_ffEEvbT2_NS_24const_host_device_scalarIT6_EEPKT1_S7_PKS1_PKT3_PKT4_S4_PT5_21rocsparse_index_base_b
	.p2align	8
	.type	_ZN9rocsparseL21csrmvn_general_kernelILj256ELj2EiiDF16_DF16_ffEEvbT2_NS_24const_host_device_scalarIT6_EEPKT1_S7_PKS1_PKT3_PKT4_S4_PT5_21rocsparse_index_base_b,@function
_ZN9rocsparseL21csrmvn_general_kernelILj256ELj2EiiDF16_DF16_ffEEvbT2_NS_24const_host_device_scalarIT6_EEPKT1_S7_PKS1_PKT3_PKT4_S4_PT5_21rocsparse_index_base_b: ; @_ZN9rocsparseL21csrmvn_general_kernelILj256ELj2EiiDF16_DF16_ffEEvbT2_NS_24const_host_device_scalarIT6_EEPKT1_S7_PKS1_PKT3_PKT4_S4_PT5_21rocsparse_index_base_b
; %bb.0:
	s_load_dwordx2 s[20:21], s[4:5], 0x48
	s_load_dwordx4 s[16:19], s[4:5], 0x8
	s_load_dwordx2 s[22:23], s[4:5], 0x38
	s_waitcnt lgkmcnt(0)
	s_bitcmp1_b32 s21, 0
	s_cselect_b64 s[2:3], -1, 0
	s_xor_b64 s[0:1], s[2:3], -1
	s_and_b64 vcc, exec, s[2:3]
	s_cbranch_vccnz .LBB198_2
; %bb.1:
	s_load_dword s16, s[16:17], 0x0
.LBB198_2:
	s_andn2_b64 vcc, exec, s[0:1]
	s_cbranch_vccnz .LBB198_4
; %bb.3:
	s_load_dword s22, s[22:23], 0x0
.LBB198_4:
	s_waitcnt lgkmcnt(0)
	v_cmp_neq_f32_e64 s[0:1], s16, 0
	v_cmp_neq_f32_e64 s[2:3], s22, 1.0
	s_or_b64 s[0:1], s[0:1], s[2:3]
	s_andn2_b64 vcc, exec, s[0:1]
	s_cbranch_vccnz .LBB198_16
; %bb.5:
	s_load_dword s17, s[4:5], 0x4
	v_lshl_or_b32 v1, s6, 8, v0
	v_lshrrev_b32_e32 v2, 1, v1
	s_waitcnt lgkmcnt(0)
	v_cmp_gt_i32_e32 vcc, s17, v2
	s_and_saveexec_b64 s[0:1], vcc
	s_cbranch_execz .LBB198_16
; %bb.6:
	s_load_dword s0, s[4:5], 0x50
	s_load_dwordx2 s[6:7], s[4:5], 0x40
	s_load_dwordx8 s[8:15], s[4:5], 0x18
	s_ashr_i32 s21, s20, 31
	v_and_b32_e32 v0, 1, v0
	s_waitcnt lgkmcnt(0)
	s_lshl_b32 s23, s0, 7
	s_lshl_b64 s[0:1], s[20:21], 1
	s_sub_u32 s21, s14, s0
	v_cmp_neq_f32_e64 s[2:3], s22, 0
	v_subrev_u32_e32 v6, s20, v0
	s_subb_u32 s26, s15, s1
	v_cmp_eq_u32_e64 s[0:1], 1, v0
	v_cndmask_b32_e64 v0, 0, 1, s[2:3]
	s_mov_b64 s[14:15], 0
	v_mov_b32_e32 v7, s19
	v_mov_b32_e32 v8, s9
	v_cmp_ne_u32_e64 s[2:3], 1, v0
	s_branch .LBB198_9
.LBB198_7:                              ;   in Loop: Header=BB198_9 Depth=1
	global_store_dword v[0:1], v3, off
.LBB198_8:                              ;   in Loop: Header=BB198_9 Depth=1
	s_or_b64 exec, exec, s[24:25]
	v_add_u32_e32 v2, s23, v2
	v_cmp_le_i32_e32 vcc, s17, v2
	s_or_b64 s[14:15], vcc, s[14:15]
	s_andn2_b64 exec, exec, s[14:15]
	s_cbranch_execz .LBB198_16
.LBB198_9:                              ; =>This Loop Header: Depth=1
                                        ;     Child Loop BB198_11 Depth 2
	v_ashrrev_i32_e32 v3, 31, v2
	v_lshlrev_b64 v[0:1], 2, v[2:3]
	v_add_co_u32_e32 v4, vcc, s18, v0
	v_addc_co_u32_e32 v5, vcc, v7, v1, vcc
	v_add_co_u32_e32 v10, vcc, s8, v0
	v_addc_co_u32_e32 v11, vcc, v8, v1, vcc
	global_load_dword v3, v[10:11], off
	global_load_dword v12, v[4:5], off
	s_waitcnt vmcnt(1)
	v_subrev_u32_e32 v9, s20, v3
	s_waitcnt vmcnt(0)
	v_add_u32_e32 v4, v12, v6
	v_cmp_lt_i32_e32 vcc, v4, v9
	v_mov_b32_e32 v3, 0
	s_and_saveexec_b64 s[4:5], vcc
	s_cbranch_execz .LBB198_13
; %bb.10:                               ;   in Loop: Header=BB198_9 Depth=1
	s_mov_b64 s[24:25], 0
	v_mov_b32_e32 v3, 0
.LBB198_11:                             ;   Parent Loop BB198_9 Depth=1
                                        ; =>  This Inner Loop Header: Depth=2
	v_ashrrev_i32_e32 v5, 31, v4
	v_lshlrev_b64 v[10:11], 2, v[4:5]
	v_mov_b32_e32 v12, s11
	v_add_co_u32_e32 v10, vcc, s10, v10
	v_addc_co_u32_e32 v11, vcc, v12, v11, vcc
	global_load_dword v10, v[10:11], off
	v_lshlrev_b64 v[12:13], 1, v[4:5]
	v_mov_b32_e32 v11, s13
	v_add_co_u32_e32 v12, vcc, s12, v12
	v_addc_co_u32_e32 v13, vcc, v11, v13, vcc
	global_load_ushort v5, v[12:13], off
	v_mov_b32_e32 v12, s26
	v_add_u32_e32 v4, 2, v4
	s_waitcnt vmcnt(1)
	v_ashrrev_i32_e32 v11, 31, v10
	v_lshlrev_b64 v[10:11], 1, v[10:11]
	v_add_co_u32_e32 v10, vcc, s21, v10
	v_addc_co_u32_e32 v11, vcc, v12, v11, vcc
	global_load_ushort v10, v[10:11], off
	s_waitcnt vmcnt(1)
	v_cvt_f32_f16_e32 v5, v5
	v_cmp_ge_i32_e32 vcc, v4, v9
	s_or_b64 s[24:25], vcc, s[24:25]
	v_mul_f32_e32 v5, s16, v5
	s_waitcnt vmcnt(0)
	v_fma_mix_f32 v3, v5, v10, v3 op_sel_hi:[0,1,0]
	s_andn2_b64 exec, exec, s[24:25]
	s_cbranch_execnz .LBB198_11
; %bb.12:                               ;   in Loop: Header=BB198_9 Depth=1
	s_or_b64 exec, exec, s[24:25]
.LBB198_13:                             ;   in Loop: Header=BB198_9 Depth=1
	s_or_b64 exec, exec, s[4:5]
	v_mov_b32_dpp v4, v3 row_shr:1 row_mask:0xf bank_mask:0xf
	s_and_saveexec_b64 s[24:25], s[0:1]
	s_cbranch_execz .LBB198_8
; %bb.14:                               ;   in Loop: Header=BB198_9 Depth=1
	v_add_f32_e32 v3, v3, v4
	v_mov_b32_e32 v4, s7
	v_add_co_u32_e64 v0, s[4:5], s6, v0
	s_and_b64 vcc, exec, s[2:3]
	v_addc_co_u32_e64 v1, s[4:5], v4, v1, s[4:5]
	s_cbranch_vccnz .LBB198_7
; %bb.15:                               ;   in Loop: Header=BB198_9 Depth=1
	global_load_dword v4, v[0:1], off
	s_waitcnt vmcnt(0)
	v_fmac_f32_e32 v3, s22, v4
	s_branch .LBB198_7
.LBB198_16:
	s_endpgm
	.section	.rodata,"a",@progbits
	.p2align	6, 0x0
	.amdhsa_kernel _ZN9rocsparseL21csrmvn_general_kernelILj256ELj2EiiDF16_DF16_ffEEvbT2_NS_24const_host_device_scalarIT6_EEPKT1_S7_PKS1_PKT3_PKT4_S4_PT5_21rocsparse_index_base_b
		.amdhsa_group_segment_fixed_size 0
		.amdhsa_private_segment_fixed_size 0
		.amdhsa_kernarg_size 336
		.amdhsa_user_sgpr_count 6
		.amdhsa_user_sgpr_private_segment_buffer 1
		.amdhsa_user_sgpr_dispatch_ptr 0
		.amdhsa_user_sgpr_queue_ptr 0
		.amdhsa_user_sgpr_kernarg_segment_ptr 1
		.amdhsa_user_sgpr_dispatch_id 0
		.amdhsa_user_sgpr_flat_scratch_init 0
		.amdhsa_user_sgpr_kernarg_preload_length 0
		.amdhsa_user_sgpr_kernarg_preload_offset 0
		.amdhsa_user_sgpr_private_segment_size 0
		.amdhsa_uses_dynamic_stack 0
		.amdhsa_system_sgpr_private_segment_wavefront_offset 0
		.amdhsa_system_sgpr_workgroup_id_x 1
		.amdhsa_system_sgpr_workgroup_id_y 0
		.amdhsa_system_sgpr_workgroup_id_z 0
		.amdhsa_system_sgpr_workgroup_info 0
		.amdhsa_system_vgpr_workitem_id 0
		.amdhsa_next_free_vgpr 14
		.amdhsa_next_free_sgpr 27
		.amdhsa_accum_offset 16
		.amdhsa_reserve_vcc 1
		.amdhsa_reserve_flat_scratch 0
		.amdhsa_float_round_mode_32 0
		.amdhsa_float_round_mode_16_64 0
		.amdhsa_float_denorm_mode_32 3
		.amdhsa_float_denorm_mode_16_64 3
		.amdhsa_dx10_clamp 1
		.amdhsa_ieee_mode 1
		.amdhsa_fp16_overflow 0
		.amdhsa_tg_split 0
		.amdhsa_exception_fp_ieee_invalid_op 0
		.amdhsa_exception_fp_denorm_src 0
		.amdhsa_exception_fp_ieee_div_zero 0
		.amdhsa_exception_fp_ieee_overflow 0
		.amdhsa_exception_fp_ieee_underflow 0
		.amdhsa_exception_fp_ieee_inexact 0
		.amdhsa_exception_int_div_zero 0
	.end_amdhsa_kernel
	.section	.text._ZN9rocsparseL21csrmvn_general_kernelILj256ELj2EiiDF16_DF16_ffEEvbT2_NS_24const_host_device_scalarIT6_EEPKT1_S7_PKS1_PKT3_PKT4_S4_PT5_21rocsparse_index_base_b,"axG",@progbits,_ZN9rocsparseL21csrmvn_general_kernelILj256ELj2EiiDF16_DF16_ffEEvbT2_NS_24const_host_device_scalarIT6_EEPKT1_S7_PKS1_PKT3_PKT4_S4_PT5_21rocsparse_index_base_b,comdat
.Lfunc_end198:
	.size	_ZN9rocsparseL21csrmvn_general_kernelILj256ELj2EiiDF16_DF16_ffEEvbT2_NS_24const_host_device_scalarIT6_EEPKT1_S7_PKS1_PKT3_PKT4_S4_PT5_21rocsparse_index_base_b, .Lfunc_end198-_ZN9rocsparseL21csrmvn_general_kernelILj256ELj2EiiDF16_DF16_ffEEvbT2_NS_24const_host_device_scalarIT6_EEPKT1_S7_PKS1_PKT3_PKT4_S4_PT5_21rocsparse_index_base_b
                                        ; -- End function
	.section	.AMDGPU.csdata,"",@progbits
; Kernel info:
; codeLenInByte = 580
; NumSgprs: 31
; NumVgprs: 14
; NumAgprs: 0
; TotalNumVgprs: 14
; ScratchSize: 0
; MemoryBound: 0
; FloatMode: 240
; IeeeMode: 1
; LDSByteSize: 0 bytes/workgroup (compile time only)
; SGPRBlocks: 3
; VGPRBlocks: 1
; NumSGPRsForWavesPerEU: 31
; NumVGPRsForWavesPerEU: 14
; AccumOffset: 16
; Occupancy: 8
; WaveLimiterHint : 1
; COMPUTE_PGM_RSRC2:SCRATCH_EN: 0
; COMPUTE_PGM_RSRC2:USER_SGPR: 6
; COMPUTE_PGM_RSRC2:TRAP_HANDLER: 0
; COMPUTE_PGM_RSRC2:TGID_X_EN: 1
; COMPUTE_PGM_RSRC2:TGID_Y_EN: 0
; COMPUTE_PGM_RSRC2:TGID_Z_EN: 0
; COMPUTE_PGM_RSRC2:TIDIG_COMP_CNT: 0
; COMPUTE_PGM_RSRC3_GFX90A:ACCUM_OFFSET: 3
; COMPUTE_PGM_RSRC3_GFX90A:TG_SPLIT: 0
	.section	.text._ZN9rocsparseL21csrmvn_general_kernelILj256ELj4EiiDF16_DF16_ffEEvbT2_NS_24const_host_device_scalarIT6_EEPKT1_S7_PKS1_PKT3_PKT4_S4_PT5_21rocsparse_index_base_b,"axG",@progbits,_ZN9rocsparseL21csrmvn_general_kernelILj256ELj4EiiDF16_DF16_ffEEvbT2_NS_24const_host_device_scalarIT6_EEPKT1_S7_PKS1_PKT3_PKT4_S4_PT5_21rocsparse_index_base_b,comdat
	.globl	_ZN9rocsparseL21csrmvn_general_kernelILj256ELj4EiiDF16_DF16_ffEEvbT2_NS_24const_host_device_scalarIT6_EEPKT1_S7_PKS1_PKT3_PKT4_S4_PT5_21rocsparse_index_base_b ; -- Begin function _ZN9rocsparseL21csrmvn_general_kernelILj256ELj4EiiDF16_DF16_ffEEvbT2_NS_24const_host_device_scalarIT6_EEPKT1_S7_PKS1_PKT3_PKT4_S4_PT5_21rocsparse_index_base_b
	.p2align	8
	.type	_ZN9rocsparseL21csrmvn_general_kernelILj256ELj4EiiDF16_DF16_ffEEvbT2_NS_24const_host_device_scalarIT6_EEPKT1_S7_PKS1_PKT3_PKT4_S4_PT5_21rocsparse_index_base_b,@function
_ZN9rocsparseL21csrmvn_general_kernelILj256ELj4EiiDF16_DF16_ffEEvbT2_NS_24const_host_device_scalarIT6_EEPKT1_S7_PKS1_PKT3_PKT4_S4_PT5_21rocsparse_index_base_b: ; @_ZN9rocsparseL21csrmvn_general_kernelILj256ELj4EiiDF16_DF16_ffEEvbT2_NS_24const_host_device_scalarIT6_EEPKT1_S7_PKS1_PKT3_PKT4_S4_PT5_21rocsparse_index_base_b
; %bb.0:
	s_load_dwordx2 s[20:21], s[4:5], 0x48
	s_load_dwordx4 s[16:19], s[4:5], 0x8
	s_load_dwordx2 s[22:23], s[4:5], 0x38
	s_waitcnt lgkmcnt(0)
	s_bitcmp1_b32 s21, 0
	s_cselect_b64 s[2:3], -1, 0
	s_xor_b64 s[0:1], s[2:3], -1
	s_and_b64 vcc, exec, s[2:3]
	s_cbranch_vccnz .LBB199_2
; %bb.1:
	s_load_dword s16, s[16:17], 0x0
.LBB199_2:
	s_andn2_b64 vcc, exec, s[0:1]
	s_cbranch_vccnz .LBB199_4
; %bb.3:
	s_load_dword s22, s[22:23], 0x0
.LBB199_4:
	s_waitcnt lgkmcnt(0)
	v_cmp_neq_f32_e64 s[0:1], s16, 0
	v_cmp_neq_f32_e64 s[2:3], s22, 1.0
	s_or_b64 s[0:1], s[0:1], s[2:3]
	s_andn2_b64 vcc, exec, s[0:1]
	s_cbranch_vccnz .LBB199_16
; %bb.5:
	s_load_dword s17, s[4:5], 0x4
	v_lshl_or_b32 v1, s6, 8, v0
	v_lshrrev_b32_e32 v2, 2, v1
	s_waitcnt lgkmcnt(0)
	v_cmp_gt_i32_e32 vcc, s17, v2
	s_and_saveexec_b64 s[0:1], vcc
	s_cbranch_execz .LBB199_16
; %bb.6:
	s_load_dword s0, s[4:5], 0x50
	s_load_dwordx2 s[6:7], s[4:5], 0x40
	s_load_dwordx8 s[8:15], s[4:5], 0x18
	s_ashr_i32 s21, s20, 31
	v_and_b32_e32 v0, 3, v0
	s_waitcnt lgkmcnt(0)
	s_lshl_b32 s23, s0, 6
	s_lshl_b64 s[0:1], s[20:21], 1
	s_sub_u32 s21, s14, s0
	v_cmp_neq_f32_e64 s[2:3], s22, 0
	v_subrev_u32_e32 v6, s20, v0
	s_subb_u32 s26, s15, s1
	v_cmp_eq_u32_e64 s[0:1], 3, v0
	v_cndmask_b32_e64 v0, 0, 1, s[2:3]
	s_mov_b64 s[14:15], 0
	v_mov_b32_e32 v7, s19
	v_mov_b32_e32 v8, s9
	v_cmp_ne_u32_e64 s[2:3], 1, v0
	s_branch .LBB199_9
.LBB199_7:                              ;   in Loop: Header=BB199_9 Depth=1
	global_store_dword v[0:1], v3, off
.LBB199_8:                              ;   in Loop: Header=BB199_9 Depth=1
	s_or_b64 exec, exec, s[24:25]
	v_add_u32_e32 v2, s23, v2
	v_cmp_le_i32_e32 vcc, s17, v2
	s_or_b64 s[14:15], vcc, s[14:15]
	s_andn2_b64 exec, exec, s[14:15]
	s_cbranch_execz .LBB199_16
.LBB199_9:                              ; =>This Loop Header: Depth=1
                                        ;     Child Loop BB199_11 Depth 2
	v_ashrrev_i32_e32 v3, 31, v2
	v_lshlrev_b64 v[0:1], 2, v[2:3]
	v_add_co_u32_e32 v4, vcc, s18, v0
	v_addc_co_u32_e32 v5, vcc, v7, v1, vcc
	v_add_co_u32_e32 v10, vcc, s8, v0
	v_addc_co_u32_e32 v11, vcc, v8, v1, vcc
	global_load_dword v3, v[10:11], off
	global_load_dword v12, v[4:5], off
	s_waitcnt vmcnt(1)
	v_subrev_u32_e32 v9, s20, v3
	s_waitcnt vmcnt(0)
	v_add_u32_e32 v4, v12, v6
	v_cmp_lt_i32_e32 vcc, v4, v9
	v_mov_b32_e32 v3, 0
	s_and_saveexec_b64 s[4:5], vcc
	s_cbranch_execz .LBB199_13
; %bb.10:                               ;   in Loop: Header=BB199_9 Depth=1
	s_mov_b64 s[24:25], 0
	v_mov_b32_e32 v3, 0
.LBB199_11:                             ;   Parent Loop BB199_9 Depth=1
                                        ; =>  This Inner Loop Header: Depth=2
	v_ashrrev_i32_e32 v5, 31, v4
	v_lshlrev_b64 v[10:11], 2, v[4:5]
	v_mov_b32_e32 v12, s11
	v_add_co_u32_e32 v10, vcc, s10, v10
	v_addc_co_u32_e32 v11, vcc, v12, v11, vcc
	global_load_dword v10, v[10:11], off
	v_lshlrev_b64 v[12:13], 1, v[4:5]
	v_mov_b32_e32 v11, s13
	v_add_co_u32_e32 v12, vcc, s12, v12
	v_addc_co_u32_e32 v13, vcc, v11, v13, vcc
	global_load_ushort v5, v[12:13], off
	v_mov_b32_e32 v12, s26
	v_add_u32_e32 v4, 4, v4
	s_waitcnt vmcnt(1)
	v_ashrrev_i32_e32 v11, 31, v10
	v_lshlrev_b64 v[10:11], 1, v[10:11]
	v_add_co_u32_e32 v10, vcc, s21, v10
	v_addc_co_u32_e32 v11, vcc, v12, v11, vcc
	global_load_ushort v10, v[10:11], off
	s_waitcnt vmcnt(1)
	v_cvt_f32_f16_e32 v5, v5
	v_cmp_ge_i32_e32 vcc, v4, v9
	s_or_b64 s[24:25], vcc, s[24:25]
	v_mul_f32_e32 v5, s16, v5
	s_waitcnt vmcnt(0)
	v_fma_mix_f32 v3, v5, v10, v3 op_sel_hi:[0,1,0]
	s_andn2_b64 exec, exec, s[24:25]
	s_cbranch_execnz .LBB199_11
; %bb.12:                               ;   in Loop: Header=BB199_9 Depth=1
	s_or_b64 exec, exec, s[24:25]
.LBB199_13:                             ;   in Loop: Header=BB199_9 Depth=1
	s_or_b64 exec, exec, s[4:5]
	v_mov_b32_dpp v4, v3 row_shr:1 row_mask:0xf bank_mask:0xf
	v_add_f32_e32 v3, v3, v4
	s_nop 1
	v_mov_b32_dpp v4, v3 row_shr:2 row_mask:0xf bank_mask:0xf
	s_and_saveexec_b64 s[24:25], s[0:1]
	s_cbranch_execz .LBB199_8
; %bb.14:                               ;   in Loop: Header=BB199_9 Depth=1
	v_add_f32_e32 v3, v3, v4
	v_mov_b32_e32 v4, s7
	v_add_co_u32_e64 v0, s[4:5], s6, v0
	s_and_b64 vcc, exec, s[2:3]
	v_addc_co_u32_e64 v1, s[4:5], v4, v1, s[4:5]
	s_cbranch_vccnz .LBB199_7
; %bb.15:                               ;   in Loop: Header=BB199_9 Depth=1
	global_load_dword v4, v[0:1], off
	s_waitcnt vmcnt(0)
	v_fmac_f32_e32 v3, s22, v4
	s_branch .LBB199_7
.LBB199_16:
	s_endpgm
	.section	.rodata,"a",@progbits
	.p2align	6, 0x0
	.amdhsa_kernel _ZN9rocsparseL21csrmvn_general_kernelILj256ELj4EiiDF16_DF16_ffEEvbT2_NS_24const_host_device_scalarIT6_EEPKT1_S7_PKS1_PKT3_PKT4_S4_PT5_21rocsparse_index_base_b
		.amdhsa_group_segment_fixed_size 0
		.amdhsa_private_segment_fixed_size 0
		.amdhsa_kernarg_size 336
		.amdhsa_user_sgpr_count 6
		.amdhsa_user_sgpr_private_segment_buffer 1
		.amdhsa_user_sgpr_dispatch_ptr 0
		.amdhsa_user_sgpr_queue_ptr 0
		.amdhsa_user_sgpr_kernarg_segment_ptr 1
		.amdhsa_user_sgpr_dispatch_id 0
		.amdhsa_user_sgpr_flat_scratch_init 0
		.amdhsa_user_sgpr_kernarg_preload_length 0
		.amdhsa_user_sgpr_kernarg_preload_offset 0
		.amdhsa_user_sgpr_private_segment_size 0
		.amdhsa_uses_dynamic_stack 0
		.amdhsa_system_sgpr_private_segment_wavefront_offset 0
		.amdhsa_system_sgpr_workgroup_id_x 1
		.amdhsa_system_sgpr_workgroup_id_y 0
		.amdhsa_system_sgpr_workgroup_id_z 0
		.amdhsa_system_sgpr_workgroup_info 0
		.amdhsa_system_vgpr_workitem_id 0
		.amdhsa_next_free_vgpr 14
		.amdhsa_next_free_sgpr 27
		.amdhsa_accum_offset 16
		.amdhsa_reserve_vcc 1
		.amdhsa_reserve_flat_scratch 0
		.amdhsa_float_round_mode_32 0
		.amdhsa_float_round_mode_16_64 0
		.amdhsa_float_denorm_mode_32 3
		.amdhsa_float_denorm_mode_16_64 3
		.amdhsa_dx10_clamp 1
		.amdhsa_ieee_mode 1
		.amdhsa_fp16_overflow 0
		.amdhsa_tg_split 0
		.amdhsa_exception_fp_ieee_invalid_op 0
		.amdhsa_exception_fp_denorm_src 0
		.amdhsa_exception_fp_ieee_div_zero 0
		.amdhsa_exception_fp_ieee_overflow 0
		.amdhsa_exception_fp_ieee_underflow 0
		.amdhsa_exception_fp_ieee_inexact 0
		.amdhsa_exception_int_div_zero 0
	.end_amdhsa_kernel
	.section	.text._ZN9rocsparseL21csrmvn_general_kernelILj256ELj4EiiDF16_DF16_ffEEvbT2_NS_24const_host_device_scalarIT6_EEPKT1_S7_PKS1_PKT3_PKT4_S4_PT5_21rocsparse_index_base_b,"axG",@progbits,_ZN9rocsparseL21csrmvn_general_kernelILj256ELj4EiiDF16_DF16_ffEEvbT2_NS_24const_host_device_scalarIT6_EEPKT1_S7_PKS1_PKT3_PKT4_S4_PT5_21rocsparse_index_base_b,comdat
.Lfunc_end199:
	.size	_ZN9rocsparseL21csrmvn_general_kernelILj256ELj4EiiDF16_DF16_ffEEvbT2_NS_24const_host_device_scalarIT6_EEPKT1_S7_PKS1_PKT3_PKT4_S4_PT5_21rocsparse_index_base_b, .Lfunc_end199-_ZN9rocsparseL21csrmvn_general_kernelILj256ELj4EiiDF16_DF16_ffEEvbT2_NS_24const_host_device_scalarIT6_EEPKT1_S7_PKS1_PKT3_PKT4_S4_PT5_21rocsparse_index_base_b
                                        ; -- End function
	.section	.AMDGPU.csdata,"",@progbits
; Kernel info:
; codeLenInByte = 596
; NumSgprs: 31
; NumVgprs: 14
; NumAgprs: 0
; TotalNumVgprs: 14
; ScratchSize: 0
; MemoryBound: 0
; FloatMode: 240
; IeeeMode: 1
; LDSByteSize: 0 bytes/workgroup (compile time only)
; SGPRBlocks: 3
; VGPRBlocks: 1
; NumSGPRsForWavesPerEU: 31
; NumVGPRsForWavesPerEU: 14
; AccumOffset: 16
; Occupancy: 8
; WaveLimiterHint : 1
; COMPUTE_PGM_RSRC2:SCRATCH_EN: 0
; COMPUTE_PGM_RSRC2:USER_SGPR: 6
; COMPUTE_PGM_RSRC2:TRAP_HANDLER: 0
; COMPUTE_PGM_RSRC2:TGID_X_EN: 1
; COMPUTE_PGM_RSRC2:TGID_Y_EN: 0
; COMPUTE_PGM_RSRC2:TGID_Z_EN: 0
; COMPUTE_PGM_RSRC2:TIDIG_COMP_CNT: 0
; COMPUTE_PGM_RSRC3_GFX90A:ACCUM_OFFSET: 3
; COMPUTE_PGM_RSRC3_GFX90A:TG_SPLIT: 0
	.section	.text._ZN9rocsparseL21csrmvn_general_kernelILj256ELj8EiiDF16_DF16_ffEEvbT2_NS_24const_host_device_scalarIT6_EEPKT1_S7_PKS1_PKT3_PKT4_S4_PT5_21rocsparse_index_base_b,"axG",@progbits,_ZN9rocsparseL21csrmvn_general_kernelILj256ELj8EiiDF16_DF16_ffEEvbT2_NS_24const_host_device_scalarIT6_EEPKT1_S7_PKS1_PKT3_PKT4_S4_PT5_21rocsparse_index_base_b,comdat
	.globl	_ZN9rocsparseL21csrmvn_general_kernelILj256ELj8EiiDF16_DF16_ffEEvbT2_NS_24const_host_device_scalarIT6_EEPKT1_S7_PKS1_PKT3_PKT4_S4_PT5_21rocsparse_index_base_b ; -- Begin function _ZN9rocsparseL21csrmvn_general_kernelILj256ELj8EiiDF16_DF16_ffEEvbT2_NS_24const_host_device_scalarIT6_EEPKT1_S7_PKS1_PKT3_PKT4_S4_PT5_21rocsparse_index_base_b
	.p2align	8
	.type	_ZN9rocsparseL21csrmvn_general_kernelILj256ELj8EiiDF16_DF16_ffEEvbT2_NS_24const_host_device_scalarIT6_EEPKT1_S7_PKS1_PKT3_PKT4_S4_PT5_21rocsparse_index_base_b,@function
_ZN9rocsparseL21csrmvn_general_kernelILj256ELj8EiiDF16_DF16_ffEEvbT2_NS_24const_host_device_scalarIT6_EEPKT1_S7_PKS1_PKT3_PKT4_S4_PT5_21rocsparse_index_base_b: ; @_ZN9rocsparseL21csrmvn_general_kernelILj256ELj8EiiDF16_DF16_ffEEvbT2_NS_24const_host_device_scalarIT6_EEPKT1_S7_PKS1_PKT3_PKT4_S4_PT5_21rocsparse_index_base_b
; %bb.0:
	s_load_dwordx2 s[20:21], s[4:5], 0x48
	s_load_dwordx4 s[16:19], s[4:5], 0x8
	s_load_dwordx2 s[22:23], s[4:5], 0x38
	s_waitcnt lgkmcnt(0)
	s_bitcmp1_b32 s21, 0
	s_cselect_b64 s[2:3], -1, 0
	s_xor_b64 s[0:1], s[2:3], -1
	s_and_b64 vcc, exec, s[2:3]
	s_cbranch_vccnz .LBB200_2
; %bb.1:
	s_load_dword s16, s[16:17], 0x0
.LBB200_2:
	s_andn2_b64 vcc, exec, s[0:1]
	s_cbranch_vccnz .LBB200_4
; %bb.3:
	s_load_dword s22, s[22:23], 0x0
.LBB200_4:
	s_waitcnt lgkmcnt(0)
	v_cmp_neq_f32_e64 s[0:1], s16, 0
	v_cmp_neq_f32_e64 s[2:3], s22, 1.0
	s_or_b64 s[0:1], s[0:1], s[2:3]
	s_andn2_b64 vcc, exec, s[0:1]
	s_cbranch_vccnz .LBB200_16
; %bb.5:
	s_load_dword s17, s[4:5], 0x4
	v_lshl_or_b32 v1, s6, 8, v0
	v_lshrrev_b32_e32 v2, 3, v1
	s_waitcnt lgkmcnt(0)
	v_cmp_gt_i32_e32 vcc, s17, v2
	s_and_saveexec_b64 s[0:1], vcc
	s_cbranch_execz .LBB200_16
; %bb.6:
	s_load_dword s0, s[4:5], 0x50
	s_load_dwordx2 s[6:7], s[4:5], 0x40
	s_load_dwordx8 s[8:15], s[4:5], 0x18
	s_ashr_i32 s21, s20, 31
	v_and_b32_e32 v0, 7, v0
	s_waitcnt lgkmcnt(0)
	s_lshl_b32 s23, s0, 5
	s_lshl_b64 s[0:1], s[20:21], 1
	s_sub_u32 s21, s14, s0
	v_cmp_neq_f32_e64 s[2:3], s22, 0
	v_subrev_u32_e32 v6, s20, v0
	s_subb_u32 s26, s15, s1
	v_cmp_eq_u32_e64 s[0:1], 7, v0
	v_cndmask_b32_e64 v0, 0, 1, s[2:3]
	s_mov_b64 s[14:15], 0
	v_mov_b32_e32 v7, s19
	v_mov_b32_e32 v8, s9
	v_cmp_ne_u32_e64 s[2:3], 1, v0
	s_branch .LBB200_9
.LBB200_7:                              ;   in Loop: Header=BB200_9 Depth=1
	global_store_dword v[0:1], v3, off
.LBB200_8:                              ;   in Loop: Header=BB200_9 Depth=1
	s_or_b64 exec, exec, s[24:25]
	v_add_u32_e32 v2, s23, v2
	v_cmp_le_i32_e32 vcc, s17, v2
	s_or_b64 s[14:15], vcc, s[14:15]
	s_andn2_b64 exec, exec, s[14:15]
	s_cbranch_execz .LBB200_16
.LBB200_9:                              ; =>This Loop Header: Depth=1
                                        ;     Child Loop BB200_11 Depth 2
	v_ashrrev_i32_e32 v3, 31, v2
	v_lshlrev_b64 v[0:1], 2, v[2:3]
	v_add_co_u32_e32 v4, vcc, s18, v0
	v_addc_co_u32_e32 v5, vcc, v7, v1, vcc
	v_add_co_u32_e32 v10, vcc, s8, v0
	v_addc_co_u32_e32 v11, vcc, v8, v1, vcc
	global_load_dword v3, v[10:11], off
	global_load_dword v12, v[4:5], off
	s_waitcnt vmcnt(1)
	v_subrev_u32_e32 v9, s20, v3
	s_waitcnt vmcnt(0)
	v_add_u32_e32 v4, v12, v6
	v_cmp_lt_i32_e32 vcc, v4, v9
	v_mov_b32_e32 v3, 0
	s_and_saveexec_b64 s[4:5], vcc
	s_cbranch_execz .LBB200_13
; %bb.10:                               ;   in Loop: Header=BB200_9 Depth=1
	s_mov_b64 s[24:25], 0
	v_mov_b32_e32 v3, 0
.LBB200_11:                             ;   Parent Loop BB200_9 Depth=1
                                        ; =>  This Inner Loop Header: Depth=2
	v_ashrrev_i32_e32 v5, 31, v4
	v_lshlrev_b64 v[10:11], 2, v[4:5]
	v_mov_b32_e32 v12, s11
	v_add_co_u32_e32 v10, vcc, s10, v10
	v_addc_co_u32_e32 v11, vcc, v12, v11, vcc
	global_load_dword v10, v[10:11], off
	v_lshlrev_b64 v[12:13], 1, v[4:5]
	v_mov_b32_e32 v11, s13
	v_add_co_u32_e32 v12, vcc, s12, v12
	v_addc_co_u32_e32 v13, vcc, v11, v13, vcc
	global_load_ushort v5, v[12:13], off
	v_mov_b32_e32 v12, s26
	v_add_u32_e32 v4, 8, v4
	s_waitcnt vmcnt(1)
	v_ashrrev_i32_e32 v11, 31, v10
	v_lshlrev_b64 v[10:11], 1, v[10:11]
	v_add_co_u32_e32 v10, vcc, s21, v10
	v_addc_co_u32_e32 v11, vcc, v12, v11, vcc
	global_load_ushort v10, v[10:11], off
	s_waitcnt vmcnt(1)
	v_cvt_f32_f16_e32 v5, v5
	v_cmp_ge_i32_e32 vcc, v4, v9
	s_or_b64 s[24:25], vcc, s[24:25]
	v_mul_f32_e32 v5, s16, v5
	s_waitcnt vmcnt(0)
	v_fma_mix_f32 v3, v5, v10, v3 op_sel_hi:[0,1,0]
	s_andn2_b64 exec, exec, s[24:25]
	s_cbranch_execnz .LBB200_11
; %bb.12:                               ;   in Loop: Header=BB200_9 Depth=1
	s_or_b64 exec, exec, s[24:25]
.LBB200_13:                             ;   in Loop: Header=BB200_9 Depth=1
	s_or_b64 exec, exec, s[4:5]
	v_mov_b32_dpp v4, v3 row_shr:1 row_mask:0xf bank_mask:0xf
	v_add_f32_e32 v3, v3, v4
	s_nop 1
	v_mov_b32_dpp v4, v3 row_shr:2 row_mask:0xf bank_mask:0xf
	v_add_f32_e32 v3, v3, v4
	s_nop 1
	v_mov_b32_dpp v4, v3 row_shr:4 row_mask:0xf bank_mask:0xe
	s_and_saveexec_b64 s[24:25], s[0:1]
	s_cbranch_execz .LBB200_8
; %bb.14:                               ;   in Loop: Header=BB200_9 Depth=1
	v_add_f32_e32 v3, v3, v4
	v_mov_b32_e32 v4, s7
	v_add_co_u32_e64 v0, s[4:5], s6, v0
	s_and_b64 vcc, exec, s[2:3]
	v_addc_co_u32_e64 v1, s[4:5], v4, v1, s[4:5]
	s_cbranch_vccnz .LBB200_7
; %bb.15:                               ;   in Loop: Header=BB200_9 Depth=1
	global_load_dword v4, v[0:1], off
	s_waitcnt vmcnt(0)
	v_fmac_f32_e32 v3, s22, v4
	s_branch .LBB200_7
.LBB200_16:
	s_endpgm
	.section	.rodata,"a",@progbits
	.p2align	6, 0x0
	.amdhsa_kernel _ZN9rocsparseL21csrmvn_general_kernelILj256ELj8EiiDF16_DF16_ffEEvbT2_NS_24const_host_device_scalarIT6_EEPKT1_S7_PKS1_PKT3_PKT4_S4_PT5_21rocsparse_index_base_b
		.amdhsa_group_segment_fixed_size 0
		.amdhsa_private_segment_fixed_size 0
		.amdhsa_kernarg_size 336
		.amdhsa_user_sgpr_count 6
		.amdhsa_user_sgpr_private_segment_buffer 1
		.amdhsa_user_sgpr_dispatch_ptr 0
		.amdhsa_user_sgpr_queue_ptr 0
		.amdhsa_user_sgpr_kernarg_segment_ptr 1
		.amdhsa_user_sgpr_dispatch_id 0
		.amdhsa_user_sgpr_flat_scratch_init 0
		.amdhsa_user_sgpr_kernarg_preload_length 0
		.amdhsa_user_sgpr_kernarg_preload_offset 0
		.amdhsa_user_sgpr_private_segment_size 0
		.amdhsa_uses_dynamic_stack 0
		.amdhsa_system_sgpr_private_segment_wavefront_offset 0
		.amdhsa_system_sgpr_workgroup_id_x 1
		.amdhsa_system_sgpr_workgroup_id_y 0
		.amdhsa_system_sgpr_workgroup_id_z 0
		.amdhsa_system_sgpr_workgroup_info 0
		.amdhsa_system_vgpr_workitem_id 0
		.amdhsa_next_free_vgpr 14
		.amdhsa_next_free_sgpr 27
		.amdhsa_accum_offset 16
		.amdhsa_reserve_vcc 1
		.amdhsa_reserve_flat_scratch 0
		.amdhsa_float_round_mode_32 0
		.amdhsa_float_round_mode_16_64 0
		.amdhsa_float_denorm_mode_32 3
		.amdhsa_float_denorm_mode_16_64 3
		.amdhsa_dx10_clamp 1
		.amdhsa_ieee_mode 1
		.amdhsa_fp16_overflow 0
		.amdhsa_tg_split 0
		.amdhsa_exception_fp_ieee_invalid_op 0
		.amdhsa_exception_fp_denorm_src 0
		.amdhsa_exception_fp_ieee_div_zero 0
		.amdhsa_exception_fp_ieee_overflow 0
		.amdhsa_exception_fp_ieee_underflow 0
		.amdhsa_exception_fp_ieee_inexact 0
		.amdhsa_exception_int_div_zero 0
	.end_amdhsa_kernel
	.section	.text._ZN9rocsparseL21csrmvn_general_kernelILj256ELj8EiiDF16_DF16_ffEEvbT2_NS_24const_host_device_scalarIT6_EEPKT1_S7_PKS1_PKT3_PKT4_S4_PT5_21rocsparse_index_base_b,"axG",@progbits,_ZN9rocsparseL21csrmvn_general_kernelILj256ELj8EiiDF16_DF16_ffEEvbT2_NS_24const_host_device_scalarIT6_EEPKT1_S7_PKS1_PKT3_PKT4_S4_PT5_21rocsparse_index_base_b,comdat
.Lfunc_end200:
	.size	_ZN9rocsparseL21csrmvn_general_kernelILj256ELj8EiiDF16_DF16_ffEEvbT2_NS_24const_host_device_scalarIT6_EEPKT1_S7_PKS1_PKT3_PKT4_S4_PT5_21rocsparse_index_base_b, .Lfunc_end200-_ZN9rocsparseL21csrmvn_general_kernelILj256ELj8EiiDF16_DF16_ffEEvbT2_NS_24const_host_device_scalarIT6_EEPKT1_S7_PKS1_PKT3_PKT4_S4_PT5_21rocsparse_index_base_b
                                        ; -- End function
	.section	.AMDGPU.csdata,"",@progbits
; Kernel info:
; codeLenInByte = 612
; NumSgprs: 31
; NumVgprs: 14
; NumAgprs: 0
; TotalNumVgprs: 14
; ScratchSize: 0
; MemoryBound: 0
; FloatMode: 240
; IeeeMode: 1
; LDSByteSize: 0 bytes/workgroup (compile time only)
; SGPRBlocks: 3
; VGPRBlocks: 1
; NumSGPRsForWavesPerEU: 31
; NumVGPRsForWavesPerEU: 14
; AccumOffset: 16
; Occupancy: 8
; WaveLimiterHint : 1
; COMPUTE_PGM_RSRC2:SCRATCH_EN: 0
; COMPUTE_PGM_RSRC2:USER_SGPR: 6
; COMPUTE_PGM_RSRC2:TRAP_HANDLER: 0
; COMPUTE_PGM_RSRC2:TGID_X_EN: 1
; COMPUTE_PGM_RSRC2:TGID_Y_EN: 0
; COMPUTE_PGM_RSRC2:TGID_Z_EN: 0
; COMPUTE_PGM_RSRC2:TIDIG_COMP_CNT: 0
; COMPUTE_PGM_RSRC3_GFX90A:ACCUM_OFFSET: 3
; COMPUTE_PGM_RSRC3_GFX90A:TG_SPLIT: 0
	.section	.text._ZN9rocsparseL21csrmvn_general_kernelILj256ELj16EiiDF16_DF16_ffEEvbT2_NS_24const_host_device_scalarIT6_EEPKT1_S7_PKS1_PKT3_PKT4_S4_PT5_21rocsparse_index_base_b,"axG",@progbits,_ZN9rocsparseL21csrmvn_general_kernelILj256ELj16EiiDF16_DF16_ffEEvbT2_NS_24const_host_device_scalarIT6_EEPKT1_S7_PKS1_PKT3_PKT4_S4_PT5_21rocsparse_index_base_b,comdat
	.globl	_ZN9rocsparseL21csrmvn_general_kernelILj256ELj16EiiDF16_DF16_ffEEvbT2_NS_24const_host_device_scalarIT6_EEPKT1_S7_PKS1_PKT3_PKT4_S4_PT5_21rocsparse_index_base_b ; -- Begin function _ZN9rocsparseL21csrmvn_general_kernelILj256ELj16EiiDF16_DF16_ffEEvbT2_NS_24const_host_device_scalarIT6_EEPKT1_S7_PKS1_PKT3_PKT4_S4_PT5_21rocsparse_index_base_b
	.p2align	8
	.type	_ZN9rocsparseL21csrmvn_general_kernelILj256ELj16EiiDF16_DF16_ffEEvbT2_NS_24const_host_device_scalarIT6_EEPKT1_S7_PKS1_PKT3_PKT4_S4_PT5_21rocsparse_index_base_b,@function
_ZN9rocsparseL21csrmvn_general_kernelILj256ELj16EiiDF16_DF16_ffEEvbT2_NS_24const_host_device_scalarIT6_EEPKT1_S7_PKS1_PKT3_PKT4_S4_PT5_21rocsparse_index_base_b: ; @_ZN9rocsparseL21csrmvn_general_kernelILj256ELj16EiiDF16_DF16_ffEEvbT2_NS_24const_host_device_scalarIT6_EEPKT1_S7_PKS1_PKT3_PKT4_S4_PT5_21rocsparse_index_base_b
; %bb.0:
	s_load_dwordx2 s[20:21], s[4:5], 0x48
	s_load_dwordx4 s[16:19], s[4:5], 0x8
	s_load_dwordx2 s[22:23], s[4:5], 0x38
	s_waitcnt lgkmcnt(0)
	s_bitcmp1_b32 s21, 0
	s_cselect_b64 s[2:3], -1, 0
	s_xor_b64 s[0:1], s[2:3], -1
	s_and_b64 vcc, exec, s[2:3]
	s_cbranch_vccnz .LBB201_2
; %bb.1:
	s_load_dword s16, s[16:17], 0x0
.LBB201_2:
	s_andn2_b64 vcc, exec, s[0:1]
	s_cbranch_vccnz .LBB201_4
; %bb.3:
	s_load_dword s22, s[22:23], 0x0
.LBB201_4:
	s_waitcnt lgkmcnt(0)
	v_cmp_neq_f32_e64 s[0:1], s16, 0
	v_cmp_neq_f32_e64 s[2:3], s22, 1.0
	s_or_b64 s[0:1], s[0:1], s[2:3]
	s_andn2_b64 vcc, exec, s[0:1]
	s_cbranch_vccnz .LBB201_16
; %bb.5:
	s_load_dword s17, s[4:5], 0x4
	v_lshl_or_b32 v1, s6, 8, v0
	v_lshrrev_b32_e32 v2, 4, v1
	s_waitcnt lgkmcnt(0)
	v_cmp_gt_i32_e32 vcc, s17, v2
	s_and_saveexec_b64 s[0:1], vcc
	s_cbranch_execz .LBB201_16
; %bb.6:
	s_load_dword s0, s[4:5], 0x50
	s_load_dwordx2 s[6:7], s[4:5], 0x40
	s_load_dwordx8 s[8:15], s[4:5], 0x18
	s_ashr_i32 s21, s20, 31
	v_and_b32_e32 v0, 15, v0
	s_waitcnt lgkmcnt(0)
	s_lshl_b32 s23, s0, 4
	s_lshl_b64 s[0:1], s[20:21], 1
	s_sub_u32 s21, s14, s0
	v_cmp_neq_f32_e64 s[2:3], s22, 0
	v_subrev_u32_e32 v6, s20, v0
	s_subb_u32 s26, s15, s1
	v_cmp_eq_u32_e64 s[0:1], 15, v0
	v_cndmask_b32_e64 v0, 0, 1, s[2:3]
	s_mov_b64 s[14:15], 0
	v_mov_b32_e32 v7, s19
	v_mov_b32_e32 v8, s9
	v_cmp_ne_u32_e64 s[2:3], 1, v0
	s_branch .LBB201_9
.LBB201_7:                              ;   in Loop: Header=BB201_9 Depth=1
	global_store_dword v[0:1], v3, off
.LBB201_8:                              ;   in Loop: Header=BB201_9 Depth=1
	s_or_b64 exec, exec, s[24:25]
	v_add_u32_e32 v2, s23, v2
	v_cmp_le_i32_e32 vcc, s17, v2
	s_or_b64 s[14:15], vcc, s[14:15]
	s_andn2_b64 exec, exec, s[14:15]
	s_cbranch_execz .LBB201_16
.LBB201_9:                              ; =>This Loop Header: Depth=1
                                        ;     Child Loop BB201_11 Depth 2
	v_ashrrev_i32_e32 v3, 31, v2
	v_lshlrev_b64 v[0:1], 2, v[2:3]
	v_add_co_u32_e32 v4, vcc, s18, v0
	v_addc_co_u32_e32 v5, vcc, v7, v1, vcc
	v_add_co_u32_e32 v10, vcc, s8, v0
	v_addc_co_u32_e32 v11, vcc, v8, v1, vcc
	global_load_dword v3, v[10:11], off
	global_load_dword v12, v[4:5], off
	s_waitcnt vmcnt(1)
	v_subrev_u32_e32 v9, s20, v3
	s_waitcnt vmcnt(0)
	v_add_u32_e32 v4, v12, v6
	v_cmp_lt_i32_e32 vcc, v4, v9
	v_mov_b32_e32 v3, 0
	s_and_saveexec_b64 s[4:5], vcc
	s_cbranch_execz .LBB201_13
; %bb.10:                               ;   in Loop: Header=BB201_9 Depth=1
	s_mov_b64 s[24:25], 0
	v_mov_b32_e32 v3, 0
.LBB201_11:                             ;   Parent Loop BB201_9 Depth=1
                                        ; =>  This Inner Loop Header: Depth=2
	v_ashrrev_i32_e32 v5, 31, v4
	v_lshlrev_b64 v[10:11], 2, v[4:5]
	v_mov_b32_e32 v12, s11
	v_add_co_u32_e32 v10, vcc, s10, v10
	v_addc_co_u32_e32 v11, vcc, v12, v11, vcc
	global_load_dword v10, v[10:11], off
	v_lshlrev_b64 v[12:13], 1, v[4:5]
	v_mov_b32_e32 v11, s13
	v_add_co_u32_e32 v12, vcc, s12, v12
	v_addc_co_u32_e32 v13, vcc, v11, v13, vcc
	global_load_ushort v5, v[12:13], off
	v_mov_b32_e32 v12, s26
	v_add_u32_e32 v4, 16, v4
	s_waitcnt vmcnt(1)
	v_ashrrev_i32_e32 v11, 31, v10
	v_lshlrev_b64 v[10:11], 1, v[10:11]
	v_add_co_u32_e32 v10, vcc, s21, v10
	v_addc_co_u32_e32 v11, vcc, v12, v11, vcc
	global_load_ushort v10, v[10:11], off
	s_waitcnt vmcnt(1)
	v_cvt_f32_f16_e32 v5, v5
	v_cmp_ge_i32_e32 vcc, v4, v9
	s_or_b64 s[24:25], vcc, s[24:25]
	v_mul_f32_e32 v5, s16, v5
	s_waitcnt vmcnt(0)
	v_fma_mix_f32 v3, v5, v10, v3 op_sel_hi:[0,1,0]
	s_andn2_b64 exec, exec, s[24:25]
	s_cbranch_execnz .LBB201_11
; %bb.12:                               ;   in Loop: Header=BB201_9 Depth=1
	s_or_b64 exec, exec, s[24:25]
.LBB201_13:                             ;   in Loop: Header=BB201_9 Depth=1
	s_or_b64 exec, exec, s[4:5]
	v_mov_b32_dpp v4, v3 row_shr:1 row_mask:0xf bank_mask:0xf
	v_add_f32_e32 v3, v3, v4
	s_nop 1
	v_mov_b32_dpp v4, v3 row_shr:2 row_mask:0xf bank_mask:0xf
	v_add_f32_e32 v3, v3, v4
	s_nop 1
	;; [unrolled: 3-line block ×3, first 2 shown]
	v_mov_b32_dpp v4, v3 row_shr:8 row_mask:0xf bank_mask:0xc
	s_and_saveexec_b64 s[24:25], s[0:1]
	s_cbranch_execz .LBB201_8
; %bb.14:                               ;   in Loop: Header=BB201_9 Depth=1
	v_add_f32_e32 v3, v3, v4
	v_mov_b32_e32 v4, s7
	v_add_co_u32_e64 v0, s[4:5], s6, v0
	s_and_b64 vcc, exec, s[2:3]
	v_addc_co_u32_e64 v1, s[4:5], v4, v1, s[4:5]
	s_cbranch_vccnz .LBB201_7
; %bb.15:                               ;   in Loop: Header=BB201_9 Depth=1
	global_load_dword v4, v[0:1], off
	s_waitcnt vmcnt(0)
	v_fmac_f32_e32 v3, s22, v4
	s_branch .LBB201_7
.LBB201_16:
	s_endpgm
	.section	.rodata,"a",@progbits
	.p2align	6, 0x0
	.amdhsa_kernel _ZN9rocsparseL21csrmvn_general_kernelILj256ELj16EiiDF16_DF16_ffEEvbT2_NS_24const_host_device_scalarIT6_EEPKT1_S7_PKS1_PKT3_PKT4_S4_PT5_21rocsparse_index_base_b
		.amdhsa_group_segment_fixed_size 0
		.amdhsa_private_segment_fixed_size 0
		.amdhsa_kernarg_size 336
		.amdhsa_user_sgpr_count 6
		.amdhsa_user_sgpr_private_segment_buffer 1
		.amdhsa_user_sgpr_dispatch_ptr 0
		.amdhsa_user_sgpr_queue_ptr 0
		.amdhsa_user_sgpr_kernarg_segment_ptr 1
		.amdhsa_user_sgpr_dispatch_id 0
		.amdhsa_user_sgpr_flat_scratch_init 0
		.amdhsa_user_sgpr_kernarg_preload_length 0
		.amdhsa_user_sgpr_kernarg_preload_offset 0
		.amdhsa_user_sgpr_private_segment_size 0
		.amdhsa_uses_dynamic_stack 0
		.amdhsa_system_sgpr_private_segment_wavefront_offset 0
		.amdhsa_system_sgpr_workgroup_id_x 1
		.amdhsa_system_sgpr_workgroup_id_y 0
		.amdhsa_system_sgpr_workgroup_id_z 0
		.amdhsa_system_sgpr_workgroup_info 0
		.amdhsa_system_vgpr_workitem_id 0
		.amdhsa_next_free_vgpr 14
		.amdhsa_next_free_sgpr 27
		.amdhsa_accum_offset 16
		.amdhsa_reserve_vcc 1
		.amdhsa_reserve_flat_scratch 0
		.amdhsa_float_round_mode_32 0
		.amdhsa_float_round_mode_16_64 0
		.amdhsa_float_denorm_mode_32 3
		.amdhsa_float_denorm_mode_16_64 3
		.amdhsa_dx10_clamp 1
		.amdhsa_ieee_mode 1
		.amdhsa_fp16_overflow 0
		.amdhsa_tg_split 0
		.amdhsa_exception_fp_ieee_invalid_op 0
		.amdhsa_exception_fp_denorm_src 0
		.amdhsa_exception_fp_ieee_div_zero 0
		.amdhsa_exception_fp_ieee_overflow 0
		.amdhsa_exception_fp_ieee_underflow 0
		.amdhsa_exception_fp_ieee_inexact 0
		.amdhsa_exception_int_div_zero 0
	.end_amdhsa_kernel
	.section	.text._ZN9rocsparseL21csrmvn_general_kernelILj256ELj16EiiDF16_DF16_ffEEvbT2_NS_24const_host_device_scalarIT6_EEPKT1_S7_PKS1_PKT3_PKT4_S4_PT5_21rocsparse_index_base_b,"axG",@progbits,_ZN9rocsparseL21csrmvn_general_kernelILj256ELj16EiiDF16_DF16_ffEEvbT2_NS_24const_host_device_scalarIT6_EEPKT1_S7_PKS1_PKT3_PKT4_S4_PT5_21rocsparse_index_base_b,comdat
.Lfunc_end201:
	.size	_ZN9rocsparseL21csrmvn_general_kernelILj256ELj16EiiDF16_DF16_ffEEvbT2_NS_24const_host_device_scalarIT6_EEPKT1_S7_PKS1_PKT3_PKT4_S4_PT5_21rocsparse_index_base_b, .Lfunc_end201-_ZN9rocsparseL21csrmvn_general_kernelILj256ELj16EiiDF16_DF16_ffEEvbT2_NS_24const_host_device_scalarIT6_EEPKT1_S7_PKS1_PKT3_PKT4_S4_PT5_21rocsparse_index_base_b
                                        ; -- End function
	.section	.AMDGPU.csdata,"",@progbits
; Kernel info:
; codeLenInByte = 628
; NumSgprs: 31
; NumVgprs: 14
; NumAgprs: 0
; TotalNumVgprs: 14
; ScratchSize: 0
; MemoryBound: 0
; FloatMode: 240
; IeeeMode: 1
; LDSByteSize: 0 bytes/workgroup (compile time only)
; SGPRBlocks: 3
; VGPRBlocks: 1
; NumSGPRsForWavesPerEU: 31
; NumVGPRsForWavesPerEU: 14
; AccumOffset: 16
; Occupancy: 8
; WaveLimiterHint : 1
; COMPUTE_PGM_RSRC2:SCRATCH_EN: 0
; COMPUTE_PGM_RSRC2:USER_SGPR: 6
; COMPUTE_PGM_RSRC2:TRAP_HANDLER: 0
; COMPUTE_PGM_RSRC2:TGID_X_EN: 1
; COMPUTE_PGM_RSRC2:TGID_Y_EN: 0
; COMPUTE_PGM_RSRC2:TGID_Z_EN: 0
; COMPUTE_PGM_RSRC2:TIDIG_COMP_CNT: 0
; COMPUTE_PGM_RSRC3_GFX90A:ACCUM_OFFSET: 3
; COMPUTE_PGM_RSRC3_GFX90A:TG_SPLIT: 0
	.section	.text._ZN9rocsparseL21csrmvn_general_kernelILj256ELj32EiiDF16_DF16_ffEEvbT2_NS_24const_host_device_scalarIT6_EEPKT1_S7_PKS1_PKT3_PKT4_S4_PT5_21rocsparse_index_base_b,"axG",@progbits,_ZN9rocsparseL21csrmvn_general_kernelILj256ELj32EiiDF16_DF16_ffEEvbT2_NS_24const_host_device_scalarIT6_EEPKT1_S7_PKS1_PKT3_PKT4_S4_PT5_21rocsparse_index_base_b,comdat
	.globl	_ZN9rocsparseL21csrmvn_general_kernelILj256ELj32EiiDF16_DF16_ffEEvbT2_NS_24const_host_device_scalarIT6_EEPKT1_S7_PKS1_PKT3_PKT4_S4_PT5_21rocsparse_index_base_b ; -- Begin function _ZN9rocsparseL21csrmvn_general_kernelILj256ELj32EiiDF16_DF16_ffEEvbT2_NS_24const_host_device_scalarIT6_EEPKT1_S7_PKS1_PKT3_PKT4_S4_PT5_21rocsparse_index_base_b
	.p2align	8
	.type	_ZN9rocsparseL21csrmvn_general_kernelILj256ELj32EiiDF16_DF16_ffEEvbT2_NS_24const_host_device_scalarIT6_EEPKT1_S7_PKS1_PKT3_PKT4_S4_PT5_21rocsparse_index_base_b,@function
_ZN9rocsparseL21csrmvn_general_kernelILj256ELj32EiiDF16_DF16_ffEEvbT2_NS_24const_host_device_scalarIT6_EEPKT1_S7_PKS1_PKT3_PKT4_S4_PT5_21rocsparse_index_base_b: ; @_ZN9rocsparseL21csrmvn_general_kernelILj256ELj32EiiDF16_DF16_ffEEvbT2_NS_24const_host_device_scalarIT6_EEPKT1_S7_PKS1_PKT3_PKT4_S4_PT5_21rocsparse_index_base_b
; %bb.0:
	s_load_dwordx2 s[20:21], s[4:5], 0x48
	s_load_dwordx4 s[16:19], s[4:5], 0x8
	s_load_dwordx2 s[22:23], s[4:5], 0x38
	s_waitcnt lgkmcnt(0)
	s_bitcmp1_b32 s21, 0
	s_cselect_b64 s[2:3], -1, 0
	s_xor_b64 s[0:1], s[2:3], -1
	s_and_b64 vcc, exec, s[2:3]
	s_cbranch_vccnz .LBB202_2
; %bb.1:
	s_load_dword s16, s[16:17], 0x0
.LBB202_2:
	s_andn2_b64 vcc, exec, s[0:1]
	s_cbranch_vccnz .LBB202_4
; %bb.3:
	s_load_dword s22, s[22:23], 0x0
.LBB202_4:
	s_waitcnt lgkmcnt(0)
	v_cmp_neq_f32_e64 s[0:1], s16, 0
	v_cmp_neq_f32_e64 s[2:3], s22, 1.0
	s_or_b64 s[0:1], s[0:1], s[2:3]
	s_andn2_b64 vcc, exec, s[0:1]
	s_cbranch_vccnz .LBB202_16
; %bb.5:
	s_load_dword s17, s[4:5], 0x4
	v_lshl_or_b32 v1, s6, 8, v0
	v_lshrrev_b32_e32 v2, 5, v1
	s_waitcnt lgkmcnt(0)
	v_cmp_gt_i32_e32 vcc, s17, v2
	s_and_saveexec_b64 s[0:1], vcc
	s_cbranch_execz .LBB202_16
; %bb.6:
	s_load_dword s0, s[4:5], 0x50
	s_load_dwordx2 s[6:7], s[4:5], 0x40
	s_load_dwordx8 s[8:15], s[4:5], 0x18
	s_ashr_i32 s21, s20, 31
	v_and_b32_e32 v0, 31, v0
	s_waitcnt lgkmcnt(0)
	s_lshl_b32 s23, s0, 3
	s_lshl_b64 s[0:1], s[20:21], 1
	s_sub_u32 s21, s14, s0
	v_cmp_neq_f32_e64 s[2:3], s22, 0
	v_subrev_u32_e32 v6, s20, v0
	s_subb_u32 s26, s15, s1
	v_cmp_eq_u32_e64 s[0:1], 31, v0
	v_cndmask_b32_e64 v0, 0, 1, s[2:3]
	s_mov_b64 s[14:15], 0
	v_mov_b32_e32 v7, s19
	v_mov_b32_e32 v8, s9
	v_cmp_ne_u32_e64 s[2:3], 1, v0
	s_branch .LBB202_9
.LBB202_7:                              ;   in Loop: Header=BB202_9 Depth=1
	global_store_dword v[0:1], v3, off
.LBB202_8:                              ;   in Loop: Header=BB202_9 Depth=1
	s_or_b64 exec, exec, s[24:25]
	v_add_u32_e32 v2, s23, v2
	v_cmp_le_i32_e32 vcc, s17, v2
	s_or_b64 s[14:15], vcc, s[14:15]
	s_andn2_b64 exec, exec, s[14:15]
	s_cbranch_execz .LBB202_16
.LBB202_9:                              ; =>This Loop Header: Depth=1
                                        ;     Child Loop BB202_11 Depth 2
	v_ashrrev_i32_e32 v3, 31, v2
	v_lshlrev_b64 v[0:1], 2, v[2:3]
	v_add_co_u32_e32 v4, vcc, s18, v0
	v_addc_co_u32_e32 v5, vcc, v7, v1, vcc
	v_add_co_u32_e32 v10, vcc, s8, v0
	v_addc_co_u32_e32 v11, vcc, v8, v1, vcc
	global_load_dword v3, v[10:11], off
	global_load_dword v12, v[4:5], off
	s_waitcnt vmcnt(1)
	v_subrev_u32_e32 v9, s20, v3
	s_waitcnt vmcnt(0)
	v_add_u32_e32 v4, v12, v6
	v_cmp_lt_i32_e32 vcc, v4, v9
	v_mov_b32_e32 v3, 0
	s_and_saveexec_b64 s[4:5], vcc
	s_cbranch_execz .LBB202_13
; %bb.10:                               ;   in Loop: Header=BB202_9 Depth=1
	s_mov_b64 s[24:25], 0
	v_mov_b32_e32 v3, 0
.LBB202_11:                             ;   Parent Loop BB202_9 Depth=1
                                        ; =>  This Inner Loop Header: Depth=2
	v_ashrrev_i32_e32 v5, 31, v4
	v_lshlrev_b64 v[10:11], 2, v[4:5]
	v_mov_b32_e32 v12, s11
	v_add_co_u32_e32 v10, vcc, s10, v10
	v_addc_co_u32_e32 v11, vcc, v12, v11, vcc
	global_load_dword v10, v[10:11], off
	v_lshlrev_b64 v[12:13], 1, v[4:5]
	v_mov_b32_e32 v11, s13
	v_add_co_u32_e32 v12, vcc, s12, v12
	v_addc_co_u32_e32 v13, vcc, v11, v13, vcc
	global_load_ushort v5, v[12:13], off
	v_mov_b32_e32 v12, s26
	v_add_u32_e32 v4, 32, v4
	s_waitcnt vmcnt(1)
	v_ashrrev_i32_e32 v11, 31, v10
	v_lshlrev_b64 v[10:11], 1, v[10:11]
	v_add_co_u32_e32 v10, vcc, s21, v10
	v_addc_co_u32_e32 v11, vcc, v12, v11, vcc
	global_load_ushort v10, v[10:11], off
	s_waitcnt vmcnt(1)
	v_cvt_f32_f16_e32 v5, v5
	v_cmp_ge_i32_e32 vcc, v4, v9
	s_or_b64 s[24:25], vcc, s[24:25]
	v_mul_f32_e32 v5, s16, v5
	s_waitcnt vmcnt(0)
	v_fma_mix_f32 v3, v5, v10, v3 op_sel_hi:[0,1,0]
	s_andn2_b64 exec, exec, s[24:25]
	s_cbranch_execnz .LBB202_11
; %bb.12:                               ;   in Loop: Header=BB202_9 Depth=1
	s_or_b64 exec, exec, s[24:25]
.LBB202_13:                             ;   in Loop: Header=BB202_9 Depth=1
	s_or_b64 exec, exec, s[4:5]
	v_mov_b32_dpp v4, v3 row_shr:1 row_mask:0xf bank_mask:0xf
	v_add_f32_e32 v3, v3, v4
	s_nop 1
	v_mov_b32_dpp v4, v3 row_shr:2 row_mask:0xf bank_mask:0xf
	v_add_f32_e32 v3, v3, v4
	s_nop 1
	;; [unrolled: 3-line block ×4, first 2 shown]
	v_mov_b32_dpp v4, v3 row_bcast:15 row_mask:0xa bank_mask:0xf
	s_and_saveexec_b64 s[24:25], s[0:1]
	s_cbranch_execz .LBB202_8
; %bb.14:                               ;   in Loop: Header=BB202_9 Depth=1
	v_add_f32_e32 v3, v3, v4
	v_mov_b32_e32 v4, s7
	v_add_co_u32_e64 v0, s[4:5], s6, v0
	s_and_b64 vcc, exec, s[2:3]
	v_addc_co_u32_e64 v1, s[4:5], v4, v1, s[4:5]
	s_cbranch_vccnz .LBB202_7
; %bb.15:                               ;   in Loop: Header=BB202_9 Depth=1
	global_load_dword v4, v[0:1], off
	s_waitcnt vmcnt(0)
	v_fmac_f32_e32 v3, s22, v4
	s_branch .LBB202_7
.LBB202_16:
	s_endpgm
	.section	.rodata,"a",@progbits
	.p2align	6, 0x0
	.amdhsa_kernel _ZN9rocsparseL21csrmvn_general_kernelILj256ELj32EiiDF16_DF16_ffEEvbT2_NS_24const_host_device_scalarIT6_EEPKT1_S7_PKS1_PKT3_PKT4_S4_PT5_21rocsparse_index_base_b
		.amdhsa_group_segment_fixed_size 0
		.amdhsa_private_segment_fixed_size 0
		.amdhsa_kernarg_size 336
		.amdhsa_user_sgpr_count 6
		.amdhsa_user_sgpr_private_segment_buffer 1
		.amdhsa_user_sgpr_dispatch_ptr 0
		.amdhsa_user_sgpr_queue_ptr 0
		.amdhsa_user_sgpr_kernarg_segment_ptr 1
		.amdhsa_user_sgpr_dispatch_id 0
		.amdhsa_user_sgpr_flat_scratch_init 0
		.amdhsa_user_sgpr_kernarg_preload_length 0
		.amdhsa_user_sgpr_kernarg_preload_offset 0
		.amdhsa_user_sgpr_private_segment_size 0
		.amdhsa_uses_dynamic_stack 0
		.amdhsa_system_sgpr_private_segment_wavefront_offset 0
		.amdhsa_system_sgpr_workgroup_id_x 1
		.amdhsa_system_sgpr_workgroup_id_y 0
		.amdhsa_system_sgpr_workgroup_id_z 0
		.amdhsa_system_sgpr_workgroup_info 0
		.amdhsa_system_vgpr_workitem_id 0
		.amdhsa_next_free_vgpr 14
		.amdhsa_next_free_sgpr 27
		.amdhsa_accum_offset 16
		.amdhsa_reserve_vcc 1
		.amdhsa_reserve_flat_scratch 0
		.amdhsa_float_round_mode_32 0
		.amdhsa_float_round_mode_16_64 0
		.amdhsa_float_denorm_mode_32 3
		.amdhsa_float_denorm_mode_16_64 3
		.amdhsa_dx10_clamp 1
		.amdhsa_ieee_mode 1
		.amdhsa_fp16_overflow 0
		.amdhsa_tg_split 0
		.amdhsa_exception_fp_ieee_invalid_op 0
		.amdhsa_exception_fp_denorm_src 0
		.amdhsa_exception_fp_ieee_div_zero 0
		.amdhsa_exception_fp_ieee_overflow 0
		.amdhsa_exception_fp_ieee_underflow 0
		.amdhsa_exception_fp_ieee_inexact 0
		.amdhsa_exception_int_div_zero 0
	.end_amdhsa_kernel
	.section	.text._ZN9rocsparseL21csrmvn_general_kernelILj256ELj32EiiDF16_DF16_ffEEvbT2_NS_24const_host_device_scalarIT6_EEPKT1_S7_PKS1_PKT3_PKT4_S4_PT5_21rocsparse_index_base_b,"axG",@progbits,_ZN9rocsparseL21csrmvn_general_kernelILj256ELj32EiiDF16_DF16_ffEEvbT2_NS_24const_host_device_scalarIT6_EEPKT1_S7_PKS1_PKT3_PKT4_S4_PT5_21rocsparse_index_base_b,comdat
.Lfunc_end202:
	.size	_ZN9rocsparseL21csrmvn_general_kernelILj256ELj32EiiDF16_DF16_ffEEvbT2_NS_24const_host_device_scalarIT6_EEPKT1_S7_PKS1_PKT3_PKT4_S4_PT5_21rocsparse_index_base_b, .Lfunc_end202-_ZN9rocsparseL21csrmvn_general_kernelILj256ELj32EiiDF16_DF16_ffEEvbT2_NS_24const_host_device_scalarIT6_EEPKT1_S7_PKS1_PKT3_PKT4_S4_PT5_21rocsparse_index_base_b
                                        ; -- End function
	.section	.AMDGPU.csdata,"",@progbits
; Kernel info:
; codeLenInByte = 644
; NumSgprs: 31
; NumVgprs: 14
; NumAgprs: 0
; TotalNumVgprs: 14
; ScratchSize: 0
; MemoryBound: 0
; FloatMode: 240
; IeeeMode: 1
; LDSByteSize: 0 bytes/workgroup (compile time only)
; SGPRBlocks: 3
; VGPRBlocks: 1
; NumSGPRsForWavesPerEU: 31
; NumVGPRsForWavesPerEU: 14
; AccumOffset: 16
; Occupancy: 8
; WaveLimiterHint : 1
; COMPUTE_PGM_RSRC2:SCRATCH_EN: 0
; COMPUTE_PGM_RSRC2:USER_SGPR: 6
; COMPUTE_PGM_RSRC2:TRAP_HANDLER: 0
; COMPUTE_PGM_RSRC2:TGID_X_EN: 1
; COMPUTE_PGM_RSRC2:TGID_Y_EN: 0
; COMPUTE_PGM_RSRC2:TGID_Z_EN: 0
; COMPUTE_PGM_RSRC2:TIDIG_COMP_CNT: 0
; COMPUTE_PGM_RSRC3_GFX90A:ACCUM_OFFSET: 3
; COMPUTE_PGM_RSRC3_GFX90A:TG_SPLIT: 0
	.section	.text._ZN9rocsparseL21csrmvn_general_kernelILj256ELj64EiiDF16_DF16_ffEEvbT2_NS_24const_host_device_scalarIT6_EEPKT1_S7_PKS1_PKT3_PKT4_S4_PT5_21rocsparse_index_base_b,"axG",@progbits,_ZN9rocsparseL21csrmvn_general_kernelILj256ELj64EiiDF16_DF16_ffEEvbT2_NS_24const_host_device_scalarIT6_EEPKT1_S7_PKS1_PKT3_PKT4_S4_PT5_21rocsparse_index_base_b,comdat
	.globl	_ZN9rocsparseL21csrmvn_general_kernelILj256ELj64EiiDF16_DF16_ffEEvbT2_NS_24const_host_device_scalarIT6_EEPKT1_S7_PKS1_PKT3_PKT4_S4_PT5_21rocsparse_index_base_b ; -- Begin function _ZN9rocsparseL21csrmvn_general_kernelILj256ELj64EiiDF16_DF16_ffEEvbT2_NS_24const_host_device_scalarIT6_EEPKT1_S7_PKS1_PKT3_PKT4_S4_PT5_21rocsparse_index_base_b
	.p2align	8
	.type	_ZN9rocsparseL21csrmvn_general_kernelILj256ELj64EiiDF16_DF16_ffEEvbT2_NS_24const_host_device_scalarIT6_EEPKT1_S7_PKS1_PKT3_PKT4_S4_PT5_21rocsparse_index_base_b,@function
_ZN9rocsparseL21csrmvn_general_kernelILj256ELj64EiiDF16_DF16_ffEEvbT2_NS_24const_host_device_scalarIT6_EEPKT1_S7_PKS1_PKT3_PKT4_S4_PT5_21rocsparse_index_base_b: ; @_ZN9rocsparseL21csrmvn_general_kernelILj256ELj64EiiDF16_DF16_ffEEvbT2_NS_24const_host_device_scalarIT6_EEPKT1_S7_PKS1_PKT3_PKT4_S4_PT5_21rocsparse_index_base_b
; %bb.0:
	s_load_dwordx2 s[20:21], s[4:5], 0x48
	s_load_dwordx4 s[16:19], s[4:5], 0x8
	s_load_dwordx2 s[22:23], s[4:5], 0x38
	s_waitcnt lgkmcnt(0)
	s_bitcmp1_b32 s21, 0
	s_cselect_b64 s[2:3], -1, 0
	s_xor_b64 s[0:1], s[2:3], -1
	s_and_b64 vcc, exec, s[2:3]
	s_cbranch_vccnz .LBB203_2
; %bb.1:
	s_load_dword s16, s[16:17], 0x0
.LBB203_2:
	s_andn2_b64 vcc, exec, s[0:1]
	s_cbranch_vccnz .LBB203_4
; %bb.3:
	s_load_dword s22, s[22:23], 0x0
.LBB203_4:
	s_waitcnt lgkmcnt(0)
	v_cmp_neq_f32_e64 s[0:1], s16, 0
	v_cmp_neq_f32_e64 s[2:3], s22, 1.0
	s_or_b64 s[0:1], s[0:1], s[2:3]
	s_andn2_b64 vcc, exec, s[0:1]
	s_cbranch_vccnz .LBB203_16
; %bb.5:
	s_load_dword s17, s[4:5], 0x4
	v_lshl_or_b32 v1, s6, 8, v0
	v_lshrrev_b32_e32 v2, 6, v1
	s_waitcnt lgkmcnt(0)
	v_cmp_gt_i32_e32 vcc, s17, v2
	s_and_saveexec_b64 s[0:1], vcc
	s_cbranch_execz .LBB203_16
; %bb.6:
	s_load_dword s0, s[4:5], 0x50
	s_load_dwordx2 s[6:7], s[4:5], 0x40
	s_load_dwordx8 s[8:15], s[4:5], 0x18
	s_ashr_i32 s21, s20, 31
	v_and_b32_e32 v0, 63, v0
	s_waitcnt lgkmcnt(0)
	s_lshl_b32 s23, s0, 2
	s_lshl_b64 s[0:1], s[20:21], 1
	s_sub_u32 s21, s14, s0
	v_cmp_neq_f32_e64 s[2:3], s22, 0
	v_subrev_u32_e32 v6, s20, v0
	s_subb_u32 s26, s15, s1
	v_cmp_eq_u32_e64 s[0:1], 63, v0
	v_cndmask_b32_e64 v0, 0, 1, s[2:3]
	s_mov_b64 s[14:15], 0
	v_mov_b32_e32 v7, s19
	v_mov_b32_e32 v8, s9
	v_cmp_ne_u32_e64 s[2:3], 1, v0
	s_branch .LBB203_9
.LBB203_7:                              ;   in Loop: Header=BB203_9 Depth=1
	global_store_dword v[0:1], v3, off
.LBB203_8:                              ;   in Loop: Header=BB203_9 Depth=1
	s_or_b64 exec, exec, s[24:25]
	v_add_u32_e32 v2, s23, v2
	v_cmp_le_i32_e32 vcc, s17, v2
	s_or_b64 s[14:15], vcc, s[14:15]
	s_andn2_b64 exec, exec, s[14:15]
	s_cbranch_execz .LBB203_16
.LBB203_9:                              ; =>This Loop Header: Depth=1
                                        ;     Child Loop BB203_11 Depth 2
	v_ashrrev_i32_e32 v3, 31, v2
	v_lshlrev_b64 v[0:1], 2, v[2:3]
	v_add_co_u32_e32 v4, vcc, s18, v0
	v_addc_co_u32_e32 v5, vcc, v7, v1, vcc
	v_add_co_u32_e32 v10, vcc, s8, v0
	v_addc_co_u32_e32 v11, vcc, v8, v1, vcc
	global_load_dword v3, v[10:11], off
	global_load_dword v12, v[4:5], off
	s_waitcnt vmcnt(1)
	v_subrev_u32_e32 v9, s20, v3
	s_waitcnt vmcnt(0)
	v_add_u32_e32 v4, v12, v6
	v_cmp_lt_i32_e32 vcc, v4, v9
	v_mov_b32_e32 v3, 0
	s_and_saveexec_b64 s[4:5], vcc
	s_cbranch_execz .LBB203_13
; %bb.10:                               ;   in Loop: Header=BB203_9 Depth=1
	s_mov_b64 s[24:25], 0
	v_mov_b32_e32 v3, 0
.LBB203_11:                             ;   Parent Loop BB203_9 Depth=1
                                        ; =>  This Inner Loop Header: Depth=2
	v_ashrrev_i32_e32 v5, 31, v4
	v_lshlrev_b64 v[10:11], 2, v[4:5]
	v_mov_b32_e32 v12, s11
	v_add_co_u32_e32 v10, vcc, s10, v10
	v_addc_co_u32_e32 v11, vcc, v12, v11, vcc
	global_load_dword v10, v[10:11], off
	v_lshlrev_b64 v[12:13], 1, v[4:5]
	v_mov_b32_e32 v11, s13
	v_add_co_u32_e32 v12, vcc, s12, v12
	v_addc_co_u32_e32 v13, vcc, v11, v13, vcc
	global_load_ushort v5, v[12:13], off
	v_mov_b32_e32 v12, s26
	v_add_u32_e32 v4, 64, v4
	s_waitcnt vmcnt(1)
	v_ashrrev_i32_e32 v11, 31, v10
	v_lshlrev_b64 v[10:11], 1, v[10:11]
	v_add_co_u32_e32 v10, vcc, s21, v10
	v_addc_co_u32_e32 v11, vcc, v12, v11, vcc
	global_load_ushort v10, v[10:11], off
	s_waitcnt vmcnt(1)
	v_cvt_f32_f16_e32 v5, v5
	v_cmp_ge_i32_e32 vcc, v4, v9
	s_or_b64 s[24:25], vcc, s[24:25]
	v_mul_f32_e32 v5, s16, v5
	s_waitcnt vmcnt(0)
	v_fma_mix_f32 v3, v5, v10, v3 op_sel_hi:[0,1,0]
	s_andn2_b64 exec, exec, s[24:25]
	s_cbranch_execnz .LBB203_11
; %bb.12:                               ;   in Loop: Header=BB203_9 Depth=1
	s_or_b64 exec, exec, s[24:25]
.LBB203_13:                             ;   in Loop: Header=BB203_9 Depth=1
	s_or_b64 exec, exec, s[4:5]
	v_mov_b32_dpp v4, v3 row_shr:1 row_mask:0xf bank_mask:0xf
	v_add_f32_e32 v3, v3, v4
	s_nop 1
	v_mov_b32_dpp v4, v3 row_shr:2 row_mask:0xf bank_mask:0xf
	v_add_f32_e32 v3, v3, v4
	s_nop 1
	;; [unrolled: 3-line block ×4, first 2 shown]
	v_mov_b32_dpp v4, v3 row_bcast:15 row_mask:0xa bank_mask:0xf
	v_add_f32_e32 v3, v3, v4
	s_nop 1
	v_mov_b32_dpp v4, v3 row_bcast:31 row_mask:0xc bank_mask:0xf
	s_and_saveexec_b64 s[24:25], s[0:1]
	s_cbranch_execz .LBB203_8
; %bb.14:                               ;   in Loop: Header=BB203_9 Depth=1
	v_add_f32_e32 v3, v3, v4
	v_mov_b32_e32 v4, s7
	v_add_co_u32_e64 v0, s[4:5], s6, v0
	s_and_b64 vcc, exec, s[2:3]
	v_addc_co_u32_e64 v1, s[4:5], v4, v1, s[4:5]
	s_cbranch_vccnz .LBB203_7
; %bb.15:                               ;   in Loop: Header=BB203_9 Depth=1
	global_load_dword v4, v[0:1], off
	s_waitcnt vmcnt(0)
	v_fmac_f32_e32 v3, s22, v4
	s_branch .LBB203_7
.LBB203_16:
	s_endpgm
	.section	.rodata,"a",@progbits
	.p2align	6, 0x0
	.amdhsa_kernel _ZN9rocsparseL21csrmvn_general_kernelILj256ELj64EiiDF16_DF16_ffEEvbT2_NS_24const_host_device_scalarIT6_EEPKT1_S7_PKS1_PKT3_PKT4_S4_PT5_21rocsparse_index_base_b
		.amdhsa_group_segment_fixed_size 0
		.amdhsa_private_segment_fixed_size 0
		.amdhsa_kernarg_size 336
		.amdhsa_user_sgpr_count 6
		.amdhsa_user_sgpr_private_segment_buffer 1
		.amdhsa_user_sgpr_dispatch_ptr 0
		.amdhsa_user_sgpr_queue_ptr 0
		.amdhsa_user_sgpr_kernarg_segment_ptr 1
		.amdhsa_user_sgpr_dispatch_id 0
		.amdhsa_user_sgpr_flat_scratch_init 0
		.amdhsa_user_sgpr_kernarg_preload_length 0
		.amdhsa_user_sgpr_kernarg_preload_offset 0
		.amdhsa_user_sgpr_private_segment_size 0
		.amdhsa_uses_dynamic_stack 0
		.amdhsa_system_sgpr_private_segment_wavefront_offset 0
		.amdhsa_system_sgpr_workgroup_id_x 1
		.amdhsa_system_sgpr_workgroup_id_y 0
		.amdhsa_system_sgpr_workgroup_id_z 0
		.amdhsa_system_sgpr_workgroup_info 0
		.amdhsa_system_vgpr_workitem_id 0
		.amdhsa_next_free_vgpr 14
		.amdhsa_next_free_sgpr 27
		.amdhsa_accum_offset 16
		.amdhsa_reserve_vcc 1
		.amdhsa_reserve_flat_scratch 0
		.amdhsa_float_round_mode_32 0
		.amdhsa_float_round_mode_16_64 0
		.amdhsa_float_denorm_mode_32 3
		.amdhsa_float_denorm_mode_16_64 3
		.amdhsa_dx10_clamp 1
		.amdhsa_ieee_mode 1
		.amdhsa_fp16_overflow 0
		.amdhsa_tg_split 0
		.amdhsa_exception_fp_ieee_invalid_op 0
		.amdhsa_exception_fp_denorm_src 0
		.amdhsa_exception_fp_ieee_div_zero 0
		.amdhsa_exception_fp_ieee_overflow 0
		.amdhsa_exception_fp_ieee_underflow 0
		.amdhsa_exception_fp_ieee_inexact 0
		.amdhsa_exception_int_div_zero 0
	.end_amdhsa_kernel
	.section	.text._ZN9rocsparseL21csrmvn_general_kernelILj256ELj64EiiDF16_DF16_ffEEvbT2_NS_24const_host_device_scalarIT6_EEPKT1_S7_PKS1_PKT3_PKT4_S4_PT5_21rocsparse_index_base_b,"axG",@progbits,_ZN9rocsparseL21csrmvn_general_kernelILj256ELj64EiiDF16_DF16_ffEEvbT2_NS_24const_host_device_scalarIT6_EEPKT1_S7_PKS1_PKT3_PKT4_S4_PT5_21rocsparse_index_base_b,comdat
.Lfunc_end203:
	.size	_ZN9rocsparseL21csrmvn_general_kernelILj256ELj64EiiDF16_DF16_ffEEvbT2_NS_24const_host_device_scalarIT6_EEPKT1_S7_PKS1_PKT3_PKT4_S4_PT5_21rocsparse_index_base_b, .Lfunc_end203-_ZN9rocsparseL21csrmvn_general_kernelILj256ELj64EiiDF16_DF16_ffEEvbT2_NS_24const_host_device_scalarIT6_EEPKT1_S7_PKS1_PKT3_PKT4_S4_PT5_21rocsparse_index_base_b
                                        ; -- End function
	.section	.AMDGPU.csdata,"",@progbits
; Kernel info:
; codeLenInByte = 660
; NumSgprs: 31
; NumVgprs: 14
; NumAgprs: 0
; TotalNumVgprs: 14
; ScratchSize: 0
; MemoryBound: 0
; FloatMode: 240
; IeeeMode: 1
; LDSByteSize: 0 bytes/workgroup (compile time only)
; SGPRBlocks: 3
; VGPRBlocks: 1
; NumSGPRsForWavesPerEU: 31
; NumVGPRsForWavesPerEU: 14
; AccumOffset: 16
; Occupancy: 8
; WaveLimiterHint : 1
; COMPUTE_PGM_RSRC2:SCRATCH_EN: 0
; COMPUTE_PGM_RSRC2:USER_SGPR: 6
; COMPUTE_PGM_RSRC2:TRAP_HANDLER: 0
; COMPUTE_PGM_RSRC2:TGID_X_EN: 1
; COMPUTE_PGM_RSRC2:TGID_Y_EN: 0
; COMPUTE_PGM_RSRC2:TGID_Z_EN: 0
; COMPUTE_PGM_RSRC2:TIDIG_COMP_CNT: 0
; COMPUTE_PGM_RSRC3_GFX90A:ACCUM_OFFSET: 3
; COMPUTE_PGM_RSRC3_GFX90A:TG_SPLIT: 0
	.section	.text._ZN9rocsparseL21csrmvt_general_kernelILj256ELj4EiiDF16_DF16_ffEEvbbT2_NS_24const_host_device_scalarIT6_EEPKT1_S7_PKS1_PKT3_PKT4_PT5_21rocsparse_index_base_b,"axG",@progbits,_ZN9rocsparseL21csrmvt_general_kernelILj256ELj4EiiDF16_DF16_ffEEvbbT2_NS_24const_host_device_scalarIT6_EEPKT1_S7_PKS1_PKT3_PKT4_PT5_21rocsparse_index_base_b,comdat
	.globl	_ZN9rocsparseL21csrmvt_general_kernelILj256ELj4EiiDF16_DF16_ffEEvbbT2_NS_24const_host_device_scalarIT6_EEPKT1_S7_PKS1_PKT3_PKT4_PT5_21rocsparse_index_base_b ; -- Begin function _ZN9rocsparseL21csrmvt_general_kernelILj256ELj4EiiDF16_DF16_ffEEvbbT2_NS_24const_host_device_scalarIT6_EEPKT1_S7_PKS1_PKT3_PKT4_PT5_21rocsparse_index_base_b
	.p2align	8
	.type	_ZN9rocsparseL21csrmvt_general_kernelILj256ELj4EiiDF16_DF16_ffEEvbbT2_NS_24const_host_device_scalarIT6_EEPKT1_S7_PKS1_PKT3_PKT4_PT5_21rocsparse_index_base_b,@function
_ZN9rocsparseL21csrmvt_general_kernelILj256ELj4EiiDF16_DF16_ffEEvbbT2_NS_24const_host_device_scalarIT6_EEPKT1_S7_PKS1_PKT3_PKT4_PT5_21rocsparse_index_base_b: ; @_ZN9rocsparseL21csrmvt_general_kernelILj256ELj4EiiDF16_DF16_ffEEvbbT2_NS_24const_host_device_scalarIT6_EEPKT1_S7_PKS1_PKT3_PKT4_PT5_21rocsparse_index_base_b
; %bb.0:
	s_load_dwordx2 s[2:3], s[4:5], 0x40
	s_load_dwordx4 s[16:19], s[4:5], 0x8
	s_waitcnt lgkmcnt(0)
	s_bitcmp1_b32 s3, 0
	s_cselect_b64 s[0:1], -1, 0
	s_and_b64 vcc, exec, s[0:1]
	s_cbranch_vccnz .LBB204_2
; %bb.1:
	s_load_dword s16, s[16:17], 0x0
.LBB204_2:
	s_waitcnt lgkmcnt(0)
	v_cmp_eq_f32_e64 s[0:1], s16, 0
	s_and_b64 vcc, exec, s[0:1]
	s_cbranch_vccnz .LBB204_23
; %bb.3:
	s_load_dwordx2 s[20:21], s[4:5], 0x0
	s_load_dword s0, s[4:5], 0x48
	s_load_dwordx2 s[22:23], s[4:5], 0x38
	s_load_dwordx8 s[8:15], s[4:5], 0x18
	v_and_b32_e32 v1, 3, v0
	v_lshl_or_b32 v0, s6, 8, v0
	s_waitcnt lgkmcnt(0)
	s_and_b32 s1, s20, 1
	s_lshl_b32 s3, s0, 6
	v_lshrrev_b32_e32 v0, 2, v0
	s_cmp_eq_u32 s1, 0
	v_cmp_gt_i32_e64 s[0:1], s21, v0
	s_mov_b64 s[4:5], -1
	s_cbranch_scc0 .LBB204_13
; %bb.4:
	s_and_saveexec_b64 s[4:5], s[0:1]
	s_cbranch_execz .LBB204_12
; %bb.5:
	v_subrev_u32_e32 v10, s2, v1
	s_mov_b64 s[6:7], 0
	v_mov_b32_e32 v11, s19
	v_mov_b32_e32 v12, s9
	;; [unrolled: 1-line block ×3, first 2 shown]
	s_branch .LBB204_7
.LBB204_6:                              ;   in Loop: Header=BB204_7 Depth=1
	s_or_b64 exec, exec, s[24:25]
	v_add_u32_e32 v2, s3, v2
	v_cmp_le_i32_e32 vcc, s21, v2
	s_or_b64 s[6:7], vcc, s[6:7]
	s_andn2_b64 exec, exec, s[6:7]
	s_cbranch_execz .LBB204_12
.LBB204_7:                              ; =>This Loop Header: Depth=1
                                        ;     Child Loop BB204_9 Depth 2
                                        ;       Child Loop BB204_10 Depth 3
	v_ashrrev_i32_e32 v3, 31, v2
	v_lshlrev_b64 v[4:5], 2, v[2:3]
	v_add_co_u32_e32 v6, vcc, s18, v4
	v_addc_co_u32_e32 v7, vcc, v11, v5, vcc
	v_add_co_u32_e32 v4, vcc, s8, v4
	v_addc_co_u32_e32 v5, vcc, v12, v5, vcc
	global_load_dword v8, v[4:5], off
	global_load_dword v9, v[6:7], off
	s_waitcnt vmcnt(1)
	v_subrev_u32_e32 v13, s2, v8
	s_waitcnt vmcnt(0)
	v_add_u32_e32 v4, v9, v10
	v_cmp_lt_i32_e32 vcc, v4, v13
	s_and_saveexec_b64 s[24:25], vcc
	s_cbranch_execz .LBB204_6
; %bb.8:                                ;   in Loop: Header=BB204_7 Depth=1
	v_lshlrev_b64 v[6:7], 1, v[2:3]
	v_mov_b32_e32 v3, s15
	v_add_co_u32_e32 v6, vcc, s14, v6
	v_addc_co_u32_e32 v7, vcc, v3, v7, vcc
	global_load_ushort v3, v[6:7], off
	s_mov_b64 s[26:27], 0
	s_waitcnt vmcnt(0)
	v_cvt_f32_f16_e32 v3, v3
	v_mul_f32_e32 v3, s16, v3
.LBB204_9:                              ;   Parent Loop BB204_7 Depth=1
                                        ; =>  This Loop Header: Depth=2
                                        ;       Child Loop BB204_10 Depth 3
	v_ashrrev_i32_e32 v5, 31, v4
	v_lshlrev_b64 v[6:7], 2, v[4:5]
	v_mov_b32_e32 v8, s11
	v_add_co_u32_e32 v6, vcc, s10, v6
	v_addc_co_u32_e32 v7, vcc, v8, v7, vcc
	global_load_dword v8, v[6:7], off
	v_lshlrev_b64 v[6:7], 1, v[4:5]
	v_mov_b32_e32 v9, s13
	v_add_co_u32_e32 v6, vcc, s12, v6
	v_addc_co_u32_e32 v7, vcc, v9, v7, vcc
	global_load_ushort v5, v[6:7], off
	v_mov_b32_e32 v14, s23
	s_mov_b64 s[28:29], 0
	s_waitcnt vmcnt(1)
	v_subrev_u32_e32 v6, s2, v8
	v_ashrrev_i32_e32 v7, 31, v6
	v_lshlrev_b64 v[6:7], 2, v[6:7]
	v_add_co_u32_e32 v6, vcc, s22, v6
	v_addc_co_u32_e32 v7, vcc, v14, v7, vcc
	global_load_dword v9, v[6:7], off
	s_waitcnt vmcnt(1)
	v_cvt_f32_f16_e32 v5, v5
	v_mul_f32_e32 v5, v3, v5
.LBB204_10:                             ;   Parent Loop BB204_7 Depth=1
                                        ;     Parent Loop BB204_9 Depth=2
                                        ; =>    This Inner Loop Header: Depth=3
	s_waitcnt vmcnt(0)
	v_add_f32_e32 v8, v9, v5
	global_atomic_cmpswap v8, v[6:7], v[8:9], off glc
	s_waitcnt vmcnt(0)
	v_cmp_eq_u32_e32 vcc, v8, v9
	s_or_b64 s[28:29], vcc, s[28:29]
	v_mov_b32_e32 v9, v8
	s_andn2_b64 exec, exec, s[28:29]
	s_cbranch_execnz .LBB204_10
; %bb.11:                               ;   in Loop: Header=BB204_9 Depth=2
	s_or_b64 exec, exec, s[28:29]
	v_add_u32_e32 v4, 4, v4
	v_cmp_ge_i32_e32 vcc, v4, v13
	s_or_b64 s[26:27], vcc, s[26:27]
	s_andn2_b64 exec, exec, s[26:27]
	s_cbranch_execnz .LBB204_9
	s_branch .LBB204_6
.LBB204_12:
	s_or_b64 exec, exec, s[4:5]
	s_mov_b64 s[4:5], 0
.LBB204_13:
	s_andn2_b64 vcc, exec, s[4:5]
	s_cbranch_vccnz .LBB204_23
; %bb.14:
	s_and_saveexec_b64 s[4:5], s[0:1]
	s_cbranch_execz .LBB204_23
; %bb.15:
	v_subrev_u32_e32 v8, s2, v1
	s_mov_b64 s[0:1], 0
	v_mov_b32_e32 v9, s19
	v_mov_b32_e32 v10, s9
	s_branch .LBB204_17
.LBB204_16:                             ;   in Loop: Header=BB204_17 Depth=1
	s_or_b64 exec, exec, s[4:5]
	v_add_u32_e32 v0, s3, v0
	v_cmp_le_i32_e32 vcc, s21, v0
	s_or_b64 s[0:1], vcc, s[0:1]
	s_andn2_b64 exec, exec, s[0:1]
	s_cbranch_execz .LBB204_23
.LBB204_17:                             ; =>This Loop Header: Depth=1
                                        ;     Child Loop BB204_20 Depth 2
                                        ;       Child Loop BB204_22 Depth 3
	v_ashrrev_i32_e32 v1, 31, v0
	v_lshlrev_b64 v[2:3], 2, v[0:1]
	v_add_co_u32_e32 v4, vcc, s18, v2
	v_addc_co_u32_e32 v5, vcc, v9, v3, vcc
	v_add_co_u32_e32 v2, vcc, s8, v2
	v_addc_co_u32_e32 v3, vcc, v10, v3, vcc
	global_load_dword v6, v[2:3], off
	global_load_dword v7, v[4:5], off
	s_waitcnt vmcnt(1)
	v_subrev_u32_e32 v11, s2, v6
	s_waitcnt vmcnt(0)
	v_add_u32_e32 v2, v7, v8
	v_cmp_lt_i32_e32 vcc, v2, v11
	s_and_saveexec_b64 s[4:5], vcc
	s_cbranch_execz .LBB204_16
; %bb.18:                               ;   in Loop: Header=BB204_17 Depth=1
	v_lshlrev_b64 v[4:5], 1, v[0:1]
	v_mov_b32_e32 v1, s15
	v_add_co_u32_e32 v4, vcc, s14, v4
	v_addc_co_u32_e32 v5, vcc, v1, v5, vcc
	global_load_ushort v1, v[4:5], off
	s_mov_b64 s[6:7], 0
	s_waitcnt vmcnt(0)
	v_cvt_f32_f16_e32 v1, v1
	v_mul_f32_e32 v1, s16, v1
	s_branch .LBB204_20
.LBB204_19:                             ;   in Loop: Header=BB204_20 Depth=2
	s_or_b64 exec, exec, s[24:25]
	v_add_u32_e32 v2, 4, v2
	v_cmp_ge_i32_e32 vcc, v2, v11
	s_or_b64 s[6:7], vcc, s[6:7]
	s_andn2_b64 exec, exec, s[6:7]
	s_cbranch_execz .LBB204_16
.LBB204_20:                             ;   Parent Loop BB204_17 Depth=1
                                        ; =>  This Loop Header: Depth=2
                                        ;       Child Loop BB204_22 Depth 3
	v_ashrrev_i32_e32 v3, 31, v2
	v_lshlrev_b64 v[4:5], 2, v[2:3]
	v_mov_b32_e32 v6, s11
	v_add_co_u32_e32 v4, vcc, s10, v4
	v_addc_co_u32_e32 v5, vcc, v6, v5, vcc
	global_load_dword v4, v[4:5], off
	s_waitcnt vmcnt(0)
	v_subrev_u32_e32 v4, s2, v4
	v_cmp_ne_u32_e32 vcc, v4, v0
	s_and_saveexec_b64 s[24:25], vcc
	s_cbranch_execz .LBB204_19
; %bb.21:                               ;   in Loop: Header=BB204_20 Depth=2
	v_lshlrev_b64 v[6:7], 1, v[2:3]
	v_mov_b32_e32 v3, s13
	v_add_co_u32_e32 v6, vcc, s12, v6
	v_addc_co_u32_e32 v7, vcc, v3, v7, vcc
	global_load_ushort v3, v[6:7], off
	v_ashrrev_i32_e32 v5, 31, v4
	v_lshlrev_b64 v[4:5], 2, v[4:5]
	v_mov_b32_e32 v6, s23
	v_add_co_u32_e32 v4, vcc, s22, v4
	v_addc_co_u32_e32 v5, vcc, v6, v5, vcc
	global_load_dword v7, v[4:5], off
	s_mov_b64 s[26:27], 0
	s_waitcnt vmcnt(1)
	v_cvt_f32_f16_e32 v3, v3
	v_mul_f32_e32 v3, v1, v3
.LBB204_22:                             ;   Parent Loop BB204_17 Depth=1
                                        ;     Parent Loop BB204_20 Depth=2
                                        ; =>    This Inner Loop Header: Depth=3
	s_waitcnt vmcnt(0)
	v_add_f32_e32 v6, v7, v3
	global_atomic_cmpswap v6, v[4:5], v[6:7], off glc
	s_waitcnt vmcnt(0)
	v_cmp_eq_u32_e32 vcc, v6, v7
	s_or_b64 s[26:27], vcc, s[26:27]
	v_mov_b32_e32 v7, v6
	s_andn2_b64 exec, exec, s[26:27]
	s_cbranch_execnz .LBB204_22
	s_branch .LBB204_19
.LBB204_23:
	s_endpgm
	.section	.rodata,"a",@progbits
	.p2align	6, 0x0
	.amdhsa_kernel _ZN9rocsparseL21csrmvt_general_kernelILj256ELj4EiiDF16_DF16_ffEEvbbT2_NS_24const_host_device_scalarIT6_EEPKT1_S7_PKS1_PKT3_PKT4_PT5_21rocsparse_index_base_b
		.amdhsa_group_segment_fixed_size 0
		.amdhsa_private_segment_fixed_size 0
		.amdhsa_kernarg_size 328
		.amdhsa_user_sgpr_count 6
		.amdhsa_user_sgpr_private_segment_buffer 1
		.amdhsa_user_sgpr_dispatch_ptr 0
		.amdhsa_user_sgpr_queue_ptr 0
		.amdhsa_user_sgpr_kernarg_segment_ptr 1
		.amdhsa_user_sgpr_dispatch_id 0
		.amdhsa_user_sgpr_flat_scratch_init 0
		.amdhsa_user_sgpr_kernarg_preload_length 0
		.amdhsa_user_sgpr_kernarg_preload_offset 0
		.amdhsa_user_sgpr_private_segment_size 0
		.amdhsa_uses_dynamic_stack 0
		.amdhsa_system_sgpr_private_segment_wavefront_offset 0
		.amdhsa_system_sgpr_workgroup_id_x 1
		.amdhsa_system_sgpr_workgroup_id_y 0
		.amdhsa_system_sgpr_workgroup_id_z 0
		.amdhsa_system_sgpr_workgroup_info 0
		.amdhsa_system_vgpr_workitem_id 0
		.amdhsa_next_free_vgpr 15
		.amdhsa_next_free_sgpr 30
		.amdhsa_accum_offset 16
		.amdhsa_reserve_vcc 1
		.amdhsa_reserve_flat_scratch 0
		.amdhsa_float_round_mode_32 0
		.amdhsa_float_round_mode_16_64 0
		.amdhsa_float_denorm_mode_32 3
		.amdhsa_float_denorm_mode_16_64 3
		.amdhsa_dx10_clamp 1
		.amdhsa_ieee_mode 1
		.amdhsa_fp16_overflow 0
		.amdhsa_tg_split 0
		.amdhsa_exception_fp_ieee_invalid_op 0
		.amdhsa_exception_fp_denorm_src 0
		.amdhsa_exception_fp_ieee_div_zero 0
		.amdhsa_exception_fp_ieee_overflow 0
		.amdhsa_exception_fp_ieee_underflow 0
		.amdhsa_exception_fp_ieee_inexact 0
		.amdhsa_exception_int_div_zero 0
	.end_amdhsa_kernel
	.section	.text._ZN9rocsparseL21csrmvt_general_kernelILj256ELj4EiiDF16_DF16_ffEEvbbT2_NS_24const_host_device_scalarIT6_EEPKT1_S7_PKS1_PKT3_PKT4_PT5_21rocsparse_index_base_b,"axG",@progbits,_ZN9rocsparseL21csrmvt_general_kernelILj256ELj4EiiDF16_DF16_ffEEvbbT2_NS_24const_host_device_scalarIT6_EEPKT1_S7_PKS1_PKT3_PKT4_PT5_21rocsparse_index_base_b,comdat
.Lfunc_end204:
	.size	_ZN9rocsparseL21csrmvt_general_kernelILj256ELj4EiiDF16_DF16_ffEEvbbT2_NS_24const_host_device_scalarIT6_EEPKT1_S7_PKS1_PKT3_PKT4_PT5_21rocsparse_index_base_b, .Lfunc_end204-_ZN9rocsparseL21csrmvt_general_kernelILj256ELj4EiiDF16_DF16_ffEEvbbT2_NS_24const_host_device_scalarIT6_EEPKT1_S7_PKS1_PKT3_PKT4_PT5_21rocsparse_index_base_b
                                        ; -- End function
	.section	.AMDGPU.csdata,"",@progbits
; Kernel info:
; codeLenInByte = 888
; NumSgprs: 34
; NumVgprs: 15
; NumAgprs: 0
; TotalNumVgprs: 15
; ScratchSize: 0
; MemoryBound: 0
; FloatMode: 240
; IeeeMode: 1
; LDSByteSize: 0 bytes/workgroup (compile time only)
; SGPRBlocks: 4
; VGPRBlocks: 1
; NumSGPRsForWavesPerEU: 34
; NumVGPRsForWavesPerEU: 15
; AccumOffset: 16
; Occupancy: 8
; WaveLimiterHint : 1
; COMPUTE_PGM_RSRC2:SCRATCH_EN: 0
; COMPUTE_PGM_RSRC2:USER_SGPR: 6
; COMPUTE_PGM_RSRC2:TRAP_HANDLER: 0
; COMPUTE_PGM_RSRC2:TGID_X_EN: 1
; COMPUTE_PGM_RSRC2:TGID_Y_EN: 0
; COMPUTE_PGM_RSRC2:TGID_Z_EN: 0
; COMPUTE_PGM_RSRC2:TIDIG_COMP_CNT: 0
; COMPUTE_PGM_RSRC3_GFX90A:ACCUM_OFFSET: 3
; COMPUTE_PGM_RSRC3_GFX90A:TG_SPLIT: 0
	.section	.text._ZN9rocsparseL21csrmvt_general_kernelILj256ELj8EiiDF16_DF16_ffEEvbbT2_NS_24const_host_device_scalarIT6_EEPKT1_S7_PKS1_PKT3_PKT4_PT5_21rocsparse_index_base_b,"axG",@progbits,_ZN9rocsparseL21csrmvt_general_kernelILj256ELj8EiiDF16_DF16_ffEEvbbT2_NS_24const_host_device_scalarIT6_EEPKT1_S7_PKS1_PKT3_PKT4_PT5_21rocsparse_index_base_b,comdat
	.globl	_ZN9rocsparseL21csrmvt_general_kernelILj256ELj8EiiDF16_DF16_ffEEvbbT2_NS_24const_host_device_scalarIT6_EEPKT1_S7_PKS1_PKT3_PKT4_PT5_21rocsparse_index_base_b ; -- Begin function _ZN9rocsparseL21csrmvt_general_kernelILj256ELj8EiiDF16_DF16_ffEEvbbT2_NS_24const_host_device_scalarIT6_EEPKT1_S7_PKS1_PKT3_PKT4_PT5_21rocsparse_index_base_b
	.p2align	8
	.type	_ZN9rocsparseL21csrmvt_general_kernelILj256ELj8EiiDF16_DF16_ffEEvbbT2_NS_24const_host_device_scalarIT6_EEPKT1_S7_PKS1_PKT3_PKT4_PT5_21rocsparse_index_base_b,@function
_ZN9rocsparseL21csrmvt_general_kernelILj256ELj8EiiDF16_DF16_ffEEvbbT2_NS_24const_host_device_scalarIT6_EEPKT1_S7_PKS1_PKT3_PKT4_PT5_21rocsparse_index_base_b: ; @_ZN9rocsparseL21csrmvt_general_kernelILj256ELj8EiiDF16_DF16_ffEEvbbT2_NS_24const_host_device_scalarIT6_EEPKT1_S7_PKS1_PKT3_PKT4_PT5_21rocsparse_index_base_b
; %bb.0:
	s_load_dwordx2 s[2:3], s[4:5], 0x40
	s_load_dwordx4 s[16:19], s[4:5], 0x8
	s_waitcnt lgkmcnt(0)
	s_bitcmp1_b32 s3, 0
	s_cselect_b64 s[0:1], -1, 0
	s_and_b64 vcc, exec, s[0:1]
	s_cbranch_vccnz .LBB205_2
; %bb.1:
	s_load_dword s16, s[16:17], 0x0
.LBB205_2:
	s_waitcnt lgkmcnt(0)
	v_cmp_eq_f32_e64 s[0:1], s16, 0
	s_and_b64 vcc, exec, s[0:1]
	s_cbranch_vccnz .LBB205_23
; %bb.3:
	s_load_dwordx2 s[20:21], s[4:5], 0x0
	s_load_dword s0, s[4:5], 0x48
	s_load_dwordx2 s[22:23], s[4:5], 0x38
	s_load_dwordx8 s[8:15], s[4:5], 0x18
	v_and_b32_e32 v1, 7, v0
	v_lshl_or_b32 v0, s6, 8, v0
	s_waitcnt lgkmcnt(0)
	s_and_b32 s1, s20, 1
	s_lshl_b32 s3, s0, 5
	v_lshrrev_b32_e32 v0, 3, v0
	s_cmp_eq_u32 s1, 0
	v_cmp_gt_i32_e64 s[0:1], s21, v0
	s_mov_b64 s[4:5], -1
	s_cbranch_scc0 .LBB205_13
; %bb.4:
	s_and_saveexec_b64 s[4:5], s[0:1]
	s_cbranch_execz .LBB205_12
; %bb.5:
	v_subrev_u32_e32 v10, s2, v1
	s_mov_b64 s[6:7], 0
	v_mov_b32_e32 v11, s19
	v_mov_b32_e32 v12, s9
	v_mov_b32_e32 v2, v0
	s_branch .LBB205_7
.LBB205_6:                              ;   in Loop: Header=BB205_7 Depth=1
	s_or_b64 exec, exec, s[24:25]
	v_add_u32_e32 v2, s3, v2
	v_cmp_le_i32_e32 vcc, s21, v2
	s_or_b64 s[6:7], vcc, s[6:7]
	s_andn2_b64 exec, exec, s[6:7]
	s_cbranch_execz .LBB205_12
.LBB205_7:                              ; =>This Loop Header: Depth=1
                                        ;     Child Loop BB205_9 Depth 2
                                        ;       Child Loop BB205_10 Depth 3
	v_ashrrev_i32_e32 v3, 31, v2
	v_lshlrev_b64 v[4:5], 2, v[2:3]
	v_add_co_u32_e32 v6, vcc, s18, v4
	v_addc_co_u32_e32 v7, vcc, v11, v5, vcc
	v_add_co_u32_e32 v4, vcc, s8, v4
	v_addc_co_u32_e32 v5, vcc, v12, v5, vcc
	global_load_dword v8, v[4:5], off
	global_load_dword v9, v[6:7], off
	s_waitcnt vmcnt(1)
	v_subrev_u32_e32 v13, s2, v8
	s_waitcnt vmcnt(0)
	v_add_u32_e32 v4, v9, v10
	v_cmp_lt_i32_e32 vcc, v4, v13
	s_and_saveexec_b64 s[24:25], vcc
	s_cbranch_execz .LBB205_6
; %bb.8:                                ;   in Loop: Header=BB205_7 Depth=1
	v_lshlrev_b64 v[6:7], 1, v[2:3]
	v_mov_b32_e32 v3, s15
	v_add_co_u32_e32 v6, vcc, s14, v6
	v_addc_co_u32_e32 v7, vcc, v3, v7, vcc
	global_load_ushort v3, v[6:7], off
	s_mov_b64 s[26:27], 0
	s_waitcnt vmcnt(0)
	v_cvt_f32_f16_e32 v3, v3
	v_mul_f32_e32 v3, s16, v3
.LBB205_9:                              ;   Parent Loop BB205_7 Depth=1
                                        ; =>  This Loop Header: Depth=2
                                        ;       Child Loop BB205_10 Depth 3
	v_ashrrev_i32_e32 v5, 31, v4
	v_lshlrev_b64 v[6:7], 2, v[4:5]
	v_mov_b32_e32 v8, s11
	v_add_co_u32_e32 v6, vcc, s10, v6
	v_addc_co_u32_e32 v7, vcc, v8, v7, vcc
	global_load_dword v8, v[6:7], off
	v_lshlrev_b64 v[6:7], 1, v[4:5]
	v_mov_b32_e32 v9, s13
	v_add_co_u32_e32 v6, vcc, s12, v6
	v_addc_co_u32_e32 v7, vcc, v9, v7, vcc
	global_load_ushort v5, v[6:7], off
	v_mov_b32_e32 v14, s23
	s_mov_b64 s[28:29], 0
	s_waitcnt vmcnt(1)
	v_subrev_u32_e32 v6, s2, v8
	v_ashrrev_i32_e32 v7, 31, v6
	v_lshlrev_b64 v[6:7], 2, v[6:7]
	v_add_co_u32_e32 v6, vcc, s22, v6
	v_addc_co_u32_e32 v7, vcc, v14, v7, vcc
	global_load_dword v9, v[6:7], off
	s_waitcnt vmcnt(1)
	v_cvt_f32_f16_e32 v5, v5
	v_mul_f32_e32 v5, v3, v5
.LBB205_10:                             ;   Parent Loop BB205_7 Depth=1
                                        ;     Parent Loop BB205_9 Depth=2
                                        ; =>    This Inner Loop Header: Depth=3
	s_waitcnt vmcnt(0)
	v_add_f32_e32 v8, v9, v5
	global_atomic_cmpswap v8, v[6:7], v[8:9], off glc
	s_waitcnt vmcnt(0)
	v_cmp_eq_u32_e32 vcc, v8, v9
	s_or_b64 s[28:29], vcc, s[28:29]
	v_mov_b32_e32 v9, v8
	s_andn2_b64 exec, exec, s[28:29]
	s_cbranch_execnz .LBB205_10
; %bb.11:                               ;   in Loop: Header=BB205_9 Depth=2
	s_or_b64 exec, exec, s[28:29]
	v_add_u32_e32 v4, 8, v4
	v_cmp_ge_i32_e32 vcc, v4, v13
	s_or_b64 s[26:27], vcc, s[26:27]
	s_andn2_b64 exec, exec, s[26:27]
	s_cbranch_execnz .LBB205_9
	s_branch .LBB205_6
.LBB205_12:
	s_or_b64 exec, exec, s[4:5]
	s_mov_b64 s[4:5], 0
.LBB205_13:
	s_andn2_b64 vcc, exec, s[4:5]
	s_cbranch_vccnz .LBB205_23
; %bb.14:
	s_and_saveexec_b64 s[4:5], s[0:1]
	s_cbranch_execz .LBB205_23
; %bb.15:
	v_subrev_u32_e32 v8, s2, v1
	s_mov_b64 s[0:1], 0
	v_mov_b32_e32 v9, s19
	v_mov_b32_e32 v10, s9
	s_branch .LBB205_17
.LBB205_16:                             ;   in Loop: Header=BB205_17 Depth=1
	s_or_b64 exec, exec, s[4:5]
	v_add_u32_e32 v0, s3, v0
	v_cmp_le_i32_e32 vcc, s21, v0
	s_or_b64 s[0:1], vcc, s[0:1]
	s_andn2_b64 exec, exec, s[0:1]
	s_cbranch_execz .LBB205_23
.LBB205_17:                             ; =>This Loop Header: Depth=1
                                        ;     Child Loop BB205_20 Depth 2
                                        ;       Child Loop BB205_22 Depth 3
	v_ashrrev_i32_e32 v1, 31, v0
	v_lshlrev_b64 v[2:3], 2, v[0:1]
	v_add_co_u32_e32 v4, vcc, s18, v2
	v_addc_co_u32_e32 v5, vcc, v9, v3, vcc
	v_add_co_u32_e32 v2, vcc, s8, v2
	v_addc_co_u32_e32 v3, vcc, v10, v3, vcc
	global_load_dword v6, v[2:3], off
	global_load_dword v7, v[4:5], off
	s_waitcnt vmcnt(1)
	v_subrev_u32_e32 v11, s2, v6
	s_waitcnt vmcnt(0)
	v_add_u32_e32 v2, v7, v8
	v_cmp_lt_i32_e32 vcc, v2, v11
	s_and_saveexec_b64 s[4:5], vcc
	s_cbranch_execz .LBB205_16
; %bb.18:                               ;   in Loop: Header=BB205_17 Depth=1
	v_lshlrev_b64 v[4:5], 1, v[0:1]
	v_mov_b32_e32 v1, s15
	v_add_co_u32_e32 v4, vcc, s14, v4
	v_addc_co_u32_e32 v5, vcc, v1, v5, vcc
	global_load_ushort v1, v[4:5], off
	s_mov_b64 s[6:7], 0
	s_waitcnt vmcnt(0)
	v_cvt_f32_f16_e32 v1, v1
	v_mul_f32_e32 v1, s16, v1
	s_branch .LBB205_20
.LBB205_19:                             ;   in Loop: Header=BB205_20 Depth=2
	s_or_b64 exec, exec, s[24:25]
	v_add_u32_e32 v2, 8, v2
	v_cmp_ge_i32_e32 vcc, v2, v11
	s_or_b64 s[6:7], vcc, s[6:7]
	s_andn2_b64 exec, exec, s[6:7]
	s_cbranch_execz .LBB205_16
.LBB205_20:                             ;   Parent Loop BB205_17 Depth=1
                                        ; =>  This Loop Header: Depth=2
                                        ;       Child Loop BB205_22 Depth 3
	v_ashrrev_i32_e32 v3, 31, v2
	v_lshlrev_b64 v[4:5], 2, v[2:3]
	v_mov_b32_e32 v6, s11
	v_add_co_u32_e32 v4, vcc, s10, v4
	v_addc_co_u32_e32 v5, vcc, v6, v5, vcc
	global_load_dword v4, v[4:5], off
	s_waitcnt vmcnt(0)
	v_subrev_u32_e32 v4, s2, v4
	v_cmp_ne_u32_e32 vcc, v4, v0
	s_and_saveexec_b64 s[24:25], vcc
	s_cbranch_execz .LBB205_19
; %bb.21:                               ;   in Loop: Header=BB205_20 Depth=2
	v_lshlrev_b64 v[6:7], 1, v[2:3]
	v_mov_b32_e32 v3, s13
	v_add_co_u32_e32 v6, vcc, s12, v6
	v_addc_co_u32_e32 v7, vcc, v3, v7, vcc
	global_load_ushort v3, v[6:7], off
	v_ashrrev_i32_e32 v5, 31, v4
	v_lshlrev_b64 v[4:5], 2, v[4:5]
	v_mov_b32_e32 v6, s23
	v_add_co_u32_e32 v4, vcc, s22, v4
	v_addc_co_u32_e32 v5, vcc, v6, v5, vcc
	global_load_dword v7, v[4:5], off
	s_mov_b64 s[26:27], 0
	s_waitcnt vmcnt(1)
	v_cvt_f32_f16_e32 v3, v3
	v_mul_f32_e32 v3, v1, v3
.LBB205_22:                             ;   Parent Loop BB205_17 Depth=1
                                        ;     Parent Loop BB205_20 Depth=2
                                        ; =>    This Inner Loop Header: Depth=3
	s_waitcnt vmcnt(0)
	v_add_f32_e32 v6, v7, v3
	global_atomic_cmpswap v6, v[4:5], v[6:7], off glc
	s_waitcnt vmcnt(0)
	v_cmp_eq_u32_e32 vcc, v6, v7
	s_or_b64 s[26:27], vcc, s[26:27]
	v_mov_b32_e32 v7, v6
	s_andn2_b64 exec, exec, s[26:27]
	s_cbranch_execnz .LBB205_22
	s_branch .LBB205_19
.LBB205_23:
	s_endpgm
	.section	.rodata,"a",@progbits
	.p2align	6, 0x0
	.amdhsa_kernel _ZN9rocsparseL21csrmvt_general_kernelILj256ELj8EiiDF16_DF16_ffEEvbbT2_NS_24const_host_device_scalarIT6_EEPKT1_S7_PKS1_PKT3_PKT4_PT5_21rocsparse_index_base_b
		.amdhsa_group_segment_fixed_size 0
		.amdhsa_private_segment_fixed_size 0
		.amdhsa_kernarg_size 328
		.amdhsa_user_sgpr_count 6
		.amdhsa_user_sgpr_private_segment_buffer 1
		.amdhsa_user_sgpr_dispatch_ptr 0
		.amdhsa_user_sgpr_queue_ptr 0
		.amdhsa_user_sgpr_kernarg_segment_ptr 1
		.amdhsa_user_sgpr_dispatch_id 0
		.amdhsa_user_sgpr_flat_scratch_init 0
		.amdhsa_user_sgpr_kernarg_preload_length 0
		.amdhsa_user_sgpr_kernarg_preload_offset 0
		.amdhsa_user_sgpr_private_segment_size 0
		.amdhsa_uses_dynamic_stack 0
		.amdhsa_system_sgpr_private_segment_wavefront_offset 0
		.amdhsa_system_sgpr_workgroup_id_x 1
		.amdhsa_system_sgpr_workgroup_id_y 0
		.amdhsa_system_sgpr_workgroup_id_z 0
		.amdhsa_system_sgpr_workgroup_info 0
		.amdhsa_system_vgpr_workitem_id 0
		.amdhsa_next_free_vgpr 15
		.amdhsa_next_free_sgpr 30
		.amdhsa_accum_offset 16
		.amdhsa_reserve_vcc 1
		.amdhsa_reserve_flat_scratch 0
		.amdhsa_float_round_mode_32 0
		.amdhsa_float_round_mode_16_64 0
		.amdhsa_float_denorm_mode_32 3
		.amdhsa_float_denorm_mode_16_64 3
		.amdhsa_dx10_clamp 1
		.amdhsa_ieee_mode 1
		.amdhsa_fp16_overflow 0
		.amdhsa_tg_split 0
		.amdhsa_exception_fp_ieee_invalid_op 0
		.amdhsa_exception_fp_denorm_src 0
		.amdhsa_exception_fp_ieee_div_zero 0
		.amdhsa_exception_fp_ieee_overflow 0
		.amdhsa_exception_fp_ieee_underflow 0
		.amdhsa_exception_fp_ieee_inexact 0
		.amdhsa_exception_int_div_zero 0
	.end_amdhsa_kernel
	.section	.text._ZN9rocsparseL21csrmvt_general_kernelILj256ELj8EiiDF16_DF16_ffEEvbbT2_NS_24const_host_device_scalarIT6_EEPKT1_S7_PKS1_PKT3_PKT4_PT5_21rocsparse_index_base_b,"axG",@progbits,_ZN9rocsparseL21csrmvt_general_kernelILj256ELj8EiiDF16_DF16_ffEEvbbT2_NS_24const_host_device_scalarIT6_EEPKT1_S7_PKS1_PKT3_PKT4_PT5_21rocsparse_index_base_b,comdat
.Lfunc_end205:
	.size	_ZN9rocsparseL21csrmvt_general_kernelILj256ELj8EiiDF16_DF16_ffEEvbbT2_NS_24const_host_device_scalarIT6_EEPKT1_S7_PKS1_PKT3_PKT4_PT5_21rocsparse_index_base_b, .Lfunc_end205-_ZN9rocsparseL21csrmvt_general_kernelILj256ELj8EiiDF16_DF16_ffEEvbbT2_NS_24const_host_device_scalarIT6_EEPKT1_S7_PKS1_PKT3_PKT4_PT5_21rocsparse_index_base_b
                                        ; -- End function
	.section	.AMDGPU.csdata,"",@progbits
; Kernel info:
; codeLenInByte = 888
; NumSgprs: 34
; NumVgprs: 15
; NumAgprs: 0
; TotalNumVgprs: 15
; ScratchSize: 0
; MemoryBound: 0
; FloatMode: 240
; IeeeMode: 1
; LDSByteSize: 0 bytes/workgroup (compile time only)
; SGPRBlocks: 4
; VGPRBlocks: 1
; NumSGPRsForWavesPerEU: 34
; NumVGPRsForWavesPerEU: 15
; AccumOffset: 16
; Occupancy: 8
; WaveLimiterHint : 1
; COMPUTE_PGM_RSRC2:SCRATCH_EN: 0
; COMPUTE_PGM_RSRC2:USER_SGPR: 6
; COMPUTE_PGM_RSRC2:TRAP_HANDLER: 0
; COMPUTE_PGM_RSRC2:TGID_X_EN: 1
; COMPUTE_PGM_RSRC2:TGID_Y_EN: 0
; COMPUTE_PGM_RSRC2:TGID_Z_EN: 0
; COMPUTE_PGM_RSRC2:TIDIG_COMP_CNT: 0
; COMPUTE_PGM_RSRC3_GFX90A:ACCUM_OFFSET: 3
; COMPUTE_PGM_RSRC3_GFX90A:TG_SPLIT: 0
	.section	.text._ZN9rocsparseL21csrmvt_general_kernelILj256ELj16EiiDF16_DF16_ffEEvbbT2_NS_24const_host_device_scalarIT6_EEPKT1_S7_PKS1_PKT3_PKT4_PT5_21rocsparse_index_base_b,"axG",@progbits,_ZN9rocsparseL21csrmvt_general_kernelILj256ELj16EiiDF16_DF16_ffEEvbbT2_NS_24const_host_device_scalarIT6_EEPKT1_S7_PKS1_PKT3_PKT4_PT5_21rocsparse_index_base_b,comdat
	.globl	_ZN9rocsparseL21csrmvt_general_kernelILj256ELj16EiiDF16_DF16_ffEEvbbT2_NS_24const_host_device_scalarIT6_EEPKT1_S7_PKS1_PKT3_PKT4_PT5_21rocsparse_index_base_b ; -- Begin function _ZN9rocsparseL21csrmvt_general_kernelILj256ELj16EiiDF16_DF16_ffEEvbbT2_NS_24const_host_device_scalarIT6_EEPKT1_S7_PKS1_PKT3_PKT4_PT5_21rocsparse_index_base_b
	.p2align	8
	.type	_ZN9rocsparseL21csrmvt_general_kernelILj256ELj16EiiDF16_DF16_ffEEvbbT2_NS_24const_host_device_scalarIT6_EEPKT1_S7_PKS1_PKT3_PKT4_PT5_21rocsparse_index_base_b,@function
_ZN9rocsparseL21csrmvt_general_kernelILj256ELj16EiiDF16_DF16_ffEEvbbT2_NS_24const_host_device_scalarIT6_EEPKT1_S7_PKS1_PKT3_PKT4_PT5_21rocsparse_index_base_b: ; @_ZN9rocsparseL21csrmvt_general_kernelILj256ELj16EiiDF16_DF16_ffEEvbbT2_NS_24const_host_device_scalarIT6_EEPKT1_S7_PKS1_PKT3_PKT4_PT5_21rocsparse_index_base_b
; %bb.0:
	s_load_dwordx2 s[2:3], s[4:5], 0x40
	s_load_dwordx4 s[16:19], s[4:5], 0x8
	s_waitcnt lgkmcnt(0)
	s_bitcmp1_b32 s3, 0
	s_cselect_b64 s[0:1], -1, 0
	s_and_b64 vcc, exec, s[0:1]
	s_cbranch_vccnz .LBB206_2
; %bb.1:
	s_load_dword s16, s[16:17], 0x0
.LBB206_2:
	s_waitcnt lgkmcnt(0)
	v_cmp_eq_f32_e64 s[0:1], s16, 0
	s_and_b64 vcc, exec, s[0:1]
	s_cbranch_vccnz .LBB206_23
; %bb.3:
	s_load_dwordx2 s[20:21], s[4:5], 0x0
	s_load_dword s0, s[4:5], 0x48
	s_load_dwordx2 s[22:23], s[4:5], 0x38
	s_load_dwordx8 s[8:15], s[4:5], 0x18
	v_and_b32_e32 v1, 15, v0
	v_lshl_or_b32 v0, s6, 8, v0
	s_waitcnt lgkmcnt(0)
	s_and_b32 s1, s20, 1
	s_lshl_b32 s3, s0, 4
	v_lshrrev_b32_e32 v0, 4, v0
	s_cmp_eq_u32 s1, 0
	v_cmp_gt_i32_e64 s[0:1], s21, v0
	s_mov_b64 s[4:5], -1
	s_cbranch_scc0 .LBB206_13
; %bb.4:
	s_and_saveexec_b64 s[4:5], s[0:1]
	s_cbranch_execz .LBB206_12
; %bb.5:
	v_subrev_u32_e32 v10, s2, v1
	s_mov_b64 s[6:7], 0
	v_mov_b32_e32 v11, s19
	v_mov_b32_e32 v12, s9
	;; [unrolled: 1-line block ×3, first 2 shown]
	s_branch .LBB206_7
.LBB206_6:                              ;   in Loop: Header=BB206_7 Depth=1
	s_or_b64 exec, exec, s[24:25]
	v_add_u32_e32 v2, s3, v2
	v_cmp_le_i32_e32 vcc, s21, v2
	s_or_b64 s[6:7], vcc, s[6:7]
	s_andn2_b64 exec, exec, s[6:7]
	s_cbranch_execz .LBB206_12
.LBB206_7:                              ; =>This Loop Header: Depth=1
                                        ;     Child Loop BB206_9 Depth 2
                                        ;       Child Loop BB206_10 Depth 3
	v_ashrrev_i32_e32 v3, 31, v2
	v_lshlrev_b64 v[4:5], 2, v[2:3]
	v_add_co_u32_e32 v6, vcc, s18, v4
	v_addc_co_u32_e32 v7, vcc, v11, v5, vcc
	v_add_co_u32_e32 v4, vcc, s8, v4
	v_addc_co_u32_e32 v5, vcc, v12, v5, vcc
	global_load_dword v8, v[4:5], off
	global_load_dword v9, v[6:7], off
	s_waitcnt vmcnt(1)
	v_subrev_u32_e32 v13, s2, v8
	s_waitcnt vmcnt(0)
	v_add_u32_e32 v4, v9, v10
	v_cmp_lt_i32_e32 vcc, v4, v13
	s_and_saveexec_b64 s[24:25], vcc
	s_cbranch_execz .LBB206_6
; %bb.8:                                ;   in Loop: Header=BB206_7 Depth=1
	v_lshlrev_b64 v[6:7], 1, v[2:3]
	v_mov_b32_e32 v3, s15
	v_add_co_u32_e32 v6, vcc, s14, v6
	v_addc_co_u32_e32 v7, vcc, v3, v7, vcc
	global_load_ushort v3, v[6:7], off
	s_mov_b64 s[26:27], 0
	s_waitcnt vmcnt(0)
	v_cvt_f32_f16_e32 v3, v3
	v_mul_f32_e32 v3, s16, v3
.LBB206_9:                              ;   Parent Loop BB206_7 Depth=1
                                        ; =>  This Loop Header: Depth=2
                                        ;       Child Loop BB206_10 Depth 3
	v_ashrrev_i32_e32 v5, 31, v4
	v_lshlrev_b64 v[6:7], 2, v[4:5]
	v_mov_b32_e32 v8, s11
	v_add_co_u32_e32 v6, vcc, s10, v6
	v_addc_co_u32_e32 v7, vcc, v8, v7, vcc
	global_load_dword v8, v[6:7], off
	v_lshlrev_b64 v[6:7], 1, v[4:5]
	v_mov_b32_e32 v9, s13
	v_add_co_u32_e32 v6, vcc, s12, v6
	v_addc_co_u32_e32 v7, vcc, v9, v7, vcc
	global_load_ushort v5, v[6:7], off
	v_mov_b32_e32 v14, s23
	s_mov_b64 s[28:29], 0
	s_waitcnt vmcnt(1)
	v_subrev_u32_e32 v6, s2, v8
	v_ashrrev_i32_e32 v7, 31, v6
	v_lshlrev_b64 v[6:7], 2, v[6:7]
	v_add_co_u32_e32 v6, vcc, s22, v6
	v_addc_co_u32_e32 v7, vcc, v14, v7, vcc
	global_load_dword v9, v[6:7], off
	s_waitcnt vmcnt(1)
	v_cvt_f32_f16_e32 v5, v5
	v_mul_f32_e32 v5, v3, v5
.LBB206_10:                             ;   Parent Loop BB206_7 Depth=1
                                        ;     Parent Loop BB206_9 Depth=2
                                        ; =>    This Inner Loop Header: Depth=3
	s_waitcnt vmcnt(0)
	v_add_f32_e32 v8, v9, v5
	global_atomic_cmpswap v8, v[6:7], v[8:9], off glc
	s_waitcnt vmcnt(0)
	v_cmp_eq_u32_e32 vcc, v8, v9
	s_or_b64 s[28:29], vcc, s[28:29]
	v_mov_b32_e32 v9, v8
	s_andn2_b64 exec, exec, s[28:29]
	s_cbranch_execnz .LBB206_10
; %bb.11:                               ;   in Loop: Header=BB206_9 Depth=2
	s_or_b64 exec, exec, s[28:29]
	v_add_u32_e32 v4, 16, v4
	v_cmp_ge_i32_e32 vcc, v4, v13
	s_or_b64 s[26:27], vcc, s[26:27]
	s_andn2_b64 exec, exec, s[26:27]
	s_cbranch_execnz .LBB206_9
	s_branch .LBB206_6
.LBB206_12:
	s_or_b64 exec, exec, s[4:5]
	s_mov_b64 s[4:5], 0
.LBB206_13:
	s_andn2_b64 vcc, exec, s[4:5]
	s_cbranch_vccnz .LBB206_23
; %bb.14:
	s_and_saveexec_b64 s[4:5], s[0:1]
	s_cbranch_execz .LBB206_23
; %bb.15:
	v_subrev_u32_e32 v8, s2, v1
	s_mov_b64 s[0:1], 0
	v_mov_b32_e32 v9, s19
	v_mov_b32_e32 v10, s9
	s_branch .LBB206_17
.LBB206_16:                             ;   in Loop: Header=BB206_17 Depth=1
	s_or_b64 exec, exec, s[4:5]
	v_add_u32_e32 v0, s3, v0
	v_cmp_le_i32_e32 vcc, s21, v0
	s_or_b64 s[0:1], vcc, s[0:1]
	s_andn2_b64 exec, exec, s[0:1]
	s_cbranch_execz .LBB206_23
.LBB206_17:                             ; =>This Loop Header: Depth=1
                                        ;     Child Loop BB206_20 Depth 2
                                        ;       Child Loop BB206_22 Depth 3
	v_ashrrev_i32_e32 v1, 31, v0
	v_lshlrev_b64 v[2:3], 2, v[0:1]
	v_add_co_u32_e32 v4, vcc, s18, v2
	v_addc_co_u32_e32 v5, vcc, v9, v3, vcc
	v_add_co_u32_e32 v2, vcc, s8, v2
	v_addc_co_u32_e32 v3, vcc, v10, v3, vcc
	global_load_dword v6, v[2:3], off
	global_load_dword v7, v[4:5], off
	s_waitcnt vmcnt(1)
	v_subrev_u32_e32 v11, s2, v6
	s_waitcnt vmcnt(0)
	v_add_u32_e32 v2, v7, v8
	v_cmp_lt_i32_e32 vcc, v2, v11
	s_and_saveexec_b64 s[4:5], vcc
	s_cbranch_execz .LBB206_16
; %bb.18:                               ;   in Loop: Header=BB206_17 Depth=1
	v_lshlrev_b64 v[4:5], 1, v[0:1]
	v_mov_b32_e32 v1, s15
	v_add_co_u32_e32 v4, vcc, s14, v4
	v_addc_co_u32_e32 v5, vcc, v1, v5, vcc
	global_load_ushort v1, v[4:5], off
	s_mov_b64 s[6:7], 0
	s_waitcnt vmcnt(0)
	v_cvt_f32_f16_e32 v1, v1
	v_mul_f32_e32 v1, s16, v1
	s_branch .LBB206_20
.LBB206_19:                             ;   in Loop: Header=BB206_20 Depth=2
	s_or_b64 exec, exec, s[24:25]
	v_add_u32_e32 v2, 16, v2
	v_cmp_ge_i32_e32 vcc, v2, v11
	s_or_b64 s[6:7], vcc, s[6:7]
	s_andn2_b64 exec, exec, s[6:7]
	s_cbranch_execz .LBB206_16
.LBB206_20:                             ;   Parent Loop BB206_17 Depth=1
                                        ; =>  This Loop Header: Depth=2
                                        ;       Child Loop BB206_22 Depth 3
	v_ashrrev_i32_e32 v3, 31, v2
	v_lshlrev_b64 v[4:5], 2, v[2:3]
	v_mov_b32_e32 v6, s11
	v_add_co_u32_e32 v4, vcc, s10, v4
	v_addc_co_u32_e32 v5, vcc, v6, v5, vcc
	global_load_dword v4, v[4:5], off
	s_waitcnt vmcnt(0)
	v_subrev_u32_e32 v4, s2, v4
	v_cmp_ne_u32_e32 vcc, v4, v0
	s_and_saveexec_b64 s[24:25], vcc
	s_cbranch_execz .LBB206_19
; %bb.21:                               ;   in Loop: Header=BB206_20 Depth=2
	v_lshlrev_b64 v[6:7], 1, v[2:3]
	v_mov_b32_e32 v3, s13
	v_add_co_u32_e32 v6, vcc, s12, v6
	v_addc_co_u32_e32 v7, vcc, v3, v7, vcc
	global_load_ushort v3, v[6:7], off
	v_ashrrev_i32_e32 v5, 31, v4
	v_lshlrev_b64 v[4:5], 2, v[4:5]
	v_mov_b32_e32 v6, s23
	v_add_co_u32_e32 v4, vcc, s22, v4
	v_addc_co_u32_e32 v5, vcc, v6, v5, vcc
	global_load_dword v7, v[4:5], off
	s_mov_b64 s[26:27], 0
	s_waitcnt vmcnt(1)
	v_cvt_f32_f16_e32 v3, v3
	v_mul_f32_e32 v3, v1, v3
.LBB206_22:                             ;   Parent Loop BB206_17 Depth=1
                                        ;     Parent Loop BB206_20 Depth=2
                                        ; =>    This Inner Loop Header: Depth=3
	s_waitcnt vmcnt(0)
	v_add_f32_e32 v6, v7, v3
	global_atomic_cmpswap v6, v[4:5], v[6:7], off glc
	s_waitcnt vmcnt(0)
	v_cmp_eq_u32_e32 vcc, v6, v7
	s_or_b64 s[26:27], vcc, s[26:27]
	v_mov_b32_e32 v7, v6
	s_andn2_b64 exec, exec, s[26:27]
	s_cbranch_execnz .LBB206_22
	s_branch .LBB206_19
.LBB206_23:
	s_endpgm
	.section	.rodata,"a",@progbits
	.p2align	6, 0x0
	.amdhsa_kernel _ZN9rocsparseL21csrmvt_general_kernelILj256ELj16EiiDF16_DF16_ffEEvbbT2_NS_24const_host_device_scalarIT6_EEPKT1_S7_PKS1_PKT3_PKT4_PT5_21rocsparse_index_base_b
		.amdhsa_group_segment_fixed_size 0
		.amdhsa_private_segment_fixed_size 0
		.amdhsa_kernarg_size 328
		.amdhsa_user_sgpr_count 6
		.amdhsa_user_sgpr_private_segment_buffer 1
		.amdhsa_user_sgpr_dispatch_ptr 0
		.amdhsa_user_sgpr_queue_ptr 0
		.amdhsa_user_sgpr_kernarg_segment_ptr 1
		.amdhsa_user_sgpr_dispatch_id 0
		.amdhsa_user_sgpr_flat_scratch_init 0
		.amdhsa_user_sgpr_kernarg_preload_length 0
		.amdhsa_user_sgpr_kernarg_preload_offset 0
		.amdhsa_user_sgpr_private_segment_size 0
		.amdhsa_uses_dynamic_stack 0
		.amdhsa_system_sgpr_private_segment_wavefront_offset 0
		.amdhsa_system_sgpr_workgroup_id_x 1
		.amdhsa_system_sgpr_workgroup_id_y 0
		.amdhsa_system_sgpr_workgroup_id_z 0
		.amdhsa_system_sgpr_workgroup_info 0
		.amdhsa_system_vgpr_workitem_id 0
		.amdhsa_next_free_vgpr 15
		.amdhsa_next_free_sgpr 30
		.amdhsa_accum_offset 16
		.amdhsa_reserve_vcc 1
		.amdhsa_reserve_flat_scratch 0
		.amdhsa_float_round_mode_32 0
		.amdhsa_float_round_mode_16_64 0
		.amdhsa_float_denorm_mode_32 3
		.amdhsa_float_denorm_mode_16_64 3
		.amdhsa_dx10_clamp 1
		.amdhsa_ieee_mode 1
		.amdhsa_fp16_overflow 0
		.amdhsa_tg_split 0
		.amdhsa_exception_fp_ieee_invalid_op 0
		.amdhsa_exception_fp_denorm_src 0
		.amdhsa_exception_fp_ieee_div_zero 0
		.amdhsa_exception_fp_ieee_overflow 0
		.amdhsa_exception_fp_ieee_underflow 0
		.amdhsa_exception_fp_ieee_inexact 0
		.amdhsa_exception_int_div_zero 0
	.end_amdhsa_kernel
	.section	.text._ZN9rocsparseL21csrmvt_general_kernelILj256ELj16EiiDF16_DF16_ffEEvbbT2_NS_24const_host_device_scalarIT6_EEPKT1_S7_PKS1_PKT3_PKT4_PT5_21rocsparse_index_base_b,"axG",@progbits,_ZN9rocsparseL21csrmvt_general_kernelILj256ELj16EiiDF16_DF16_ffEEvbbT2_NS_24const_host_device_scalarIT6_EEPKT1_S7_PKS1_PKT3_PKT4_PT5_21rocsparse_index_base_b,comdat
.Lfunc_end206:
	.size	_ZN9rocsparseL21csrmvt_general_kernelILj256ELj16EiiDF16_DF16_ffEEvbbT2_NS_24const_host_device_scalarIT6_EEPKT1_S7_PKS1_PKT3_PKT4_PT5_21rocsparse_index_base_b, .Lfunc_end206-_ZN9rocsparseL21csrmvt_general_kernelILj256ELj16EiiDF16_DF16_ffEEvbbT2_NS_24const_host_device_scalarIT6_EEPKT1_S7_PKS1_PKT3_PKT4_PT5_21rocsparse_index_base_b
                                        ; -- End function
	.section	.AMDGPU.csdata,"",@progbits
; Kernel info:
; codeLenInByte = 888
; NumSgprs: 34
; NumVgprs: 15
; NumAgprs: 0
; TotalNumVgprs: 15
; ScratchSize: 0
; MemoryBound: 0
; FloatMode: 240
; IeeeMode: 1
; LDSByteSize: 0 bytes/workgroup (compile time only)
; SGPRBlocks: 4
; VGPRBlocks: 1
; NumSGPRsForWavesPerEU: 34
; NumVGPRsForWavesPerEU: 15
; AccumOffset: 16
; Occupancy: 8
; WaveLimiterHint : 1
; COMPUTE_PGM_RSRC2:SCRATCH_EN: 0
; COMPUTE_PGM_RSRC2:USER_SGPR: 6
; COMPUTE_PGM_RSRC2:TRAP_HANDLER: 0
; COMPUTE_PGM_RSRC2:TGID_X_EN: 1
; COMPUTE_PGM_RSRC2:TGID_Y_EN: 0
; COMPUTE_PGM_RSRC2:TGID_Z_EN: 0
; COMPUTE_PGM_RSRC2:TIDIG_COMP_CNT: 0
; COMPUTE_PGM_RSRC3_GFX90A:ACCUM_OFFSET: 3
; COMPUTE_PGM_RSRC3_GFX90A:TG_SPLIT: 0
	.section	.text._ZN9rocsparseL21csrmvt_general_kernelILj256ELj32EiiDF16_DF16_ffEEvbbT2_NS_24const_host_device_scalarIT6_EEPKT1_S7_PKS1_PKT3_PKT4_PT5_21rocsparse_index_base_b,"axG",@progbits,_ZN9rocsparseL21csrmvt_general_kernelILj256ELj32EiiDF16_DF16_ffEEvbbT2_NS_24const_host_device_scalarIT6_EEPKT1_S7_PKS1_PKT3_PKT4_PT5_21rocsparse_index_base_b,comdat
	.globl	_ZN9rocsparseL21csrmvt_general_kernelILj256ELj32EiiDF16_DF16_ffEEvbbT2_NS_24const_host_device_scalarIT6_EEPKT1_S7_PKS1_PKT3_PKT4_PT5_21rocsparse_index_base_b ; -- Begin function _ZN9rocsparseL21csrmvt_general_kernelILj256ELj32EiiDF16_DF16_ffEEvbbT2_NS_24const_host_device_scalarIT6_EEPKT1_S7_PKS1_PKT3_PKT4_PT5_21rocsparse_index_base_b
	.p2align	8
	.type	_ZN9rocsparseL21csrmvt_general_kernelILj256ELj32EiiDF16_DF16_ffEEvbbT2_NS_24const_host_device_scalarIT6_EEPKT1_S7_PKS1_PKT3_PKT4_PT5_21rocsparse_index_base_b,@function
_ZN9rocsparseL21csrmvt_general_kernelILj256ELj32EiiDF16_DF16_ffEEvbbT2_NS_24const_host_device_scalarIT6_EEPKT1_S7_PKS1_PKT3_PKT4_PT5_21rocsparse_index_base_b: ; @_ZN9rocsparseL21csrmvt_general_kernelILj256ELj32EiiDF16_DF16_ffEEvbbT2_NS_24const_host_device_scalarIT6_EEPKT1_S7_PKS1_PKT3_PKT4_PT5_21rocsparse_index_base_b
; %bb.0:
	s_load_dwordx2 s[2:3], s[4:5], 0x40
	s_load_dwordx4 s[16:19], s[4:5], 0x8
	s_waitcnt lgkmcnt(0)
	s_bitcmp1_b32 s3, 0
	s_cselect_b64 s[0:1], -1, 0
	s_and_b64 vcc, exec, s[0:1]
	s_cbranch_vccnz .LBB207_2
; %bb.1:
	s_load_dword s16, s[16:17], 0x0
.LBB207_2:
	s_waitcnt lgkmcnt(0)
	v_cmp_eq_f32_e64 s[0:1], s16, 0
	s_and_b64 vcc, exec, s[0:1]
	s_cbranch_vccnz .LBB207_23
; %bb.3:
	s_load_dwordx2 s[20:21], s[4:5], 0x0
	s_load_dword s0, s[4:5], 0x48
	s_load_dwordx2 s[22:23], s[4:5], 0x38
	s_load_dwordx8 s[8:15], s[4:5], 0x18
	v_and_b32_e32 v1, 31, v0
	v_lshl_or_b32 v0, s6, 8, v0
	s_waitcnt lgkmcnt(0)
	s_and_b32 s1, s20, 1
	s_lshl_b32 s3, s0, 3
	v_lshrrev_b32_e32 v0, 5, v0
	s_cmp_eq_u32 s1, 0
	v_cmp_gt_i32_e64 s[0:1], s21, v0
	s_mov_b64 s[4:5], -1
	s_cbranch_scc0 .LBB207_13
; %bb.4:
	s_and_saveexec_b64 s[4:5], s[0:1]
	s_cbranch_execz .LBB207_12
; %bb.5:
	v_subrev_u32_e32 v10, s2, v1
	s_mov_b64 s[6:7], 0
	v_mov_b32_e32 v11, s19
	v_mov_b32_e32 v12, s9
	;; [unrolled: 1-line block ×3, first 2 shown]
	s_branch .LBB207_7
.LBB207_6:                              ;   in Loop: Header=BB207_7 Depth=1
	s_or_b64 exec, exec, s[24:25]
	v_add_u32_e32 v2, s3, v2
	v_cmp_le_i32_e32 vcc, s21, v2
	s_or_b64 s[6:7], vcc, s[6:7]
	s_andn2_b64 exec, exec, s[6:7]
	s_cbranch_execz .LBB207_12
.LBB207_7:                              ; =>This Loop Header: Depth=1
                                        ;     Child Loop BB207_9 Depth 2
                                        ;       Child Loop BB207_10 Depth 3
	v_ashrrev_i32_e32 v3, 31, v2
	v_lshlrev_b64 v[4:5], 2, v[2:3]
	v_add_co_u32_e32 v6, vcc, s18, v4
	v_addc_co_u32_e32 v7, vcc, v11, v5, vcc
	v_add_co_u32_e32 v4, vcc, s8, v4
	v_addc_co_u32_e32 v5, vcc, v12, v5, vcc
	global_load_dword v8, v[4:5], off
	global_load_dword v9, v[6:7], off
	s_waitcnt vmcnt(1)
	v_subrev_u32_e32 v13, s2, v8
	s_waitcnt vmcnt(0)
	v_add_u32_e32 v4, v9, v10
	v_cmp_lt_i32_e32 vcc, v4, v13
	s_and_saveexec_b64 s[24:25], vcc
	s_cbranch_execz .LBB207_6
; %bb.8:                                ;   in Loop: Header=BB207_7 Depth=1
	v_lshlrev_b64 v[6:7], 1, v[2:3]
	v_mov_b32_e32 v3, s15
	v_add_co_u32_e32 v6, vcc, s14, v6
	v_addc_co_u32_e32 v7, vcc, v3, v7, vcc
	global_load_ushort v3, v[6:7], off
	s_mov_b64 s[26:27], 0
	s_waitcnt vmcnt(0)
	v_cvt_f32_f16_e32 v3, v3
	v_mul_f32_e32 v3, s16, v3
.LBB207_9:                              ;   Parent Loop BB207_7 Depth=1
                                        ; =>  This Loop Header: Depth=2
                                        ;       Child Loop BB207_10 Depth 3
	v_ashrrev_i32_e32 v5, 31, v4
	v_lshlrev_b64 v[6:7], 2, v[4:5]
	v_mov_b32_e32 v8, s11
	v_add_co_u32_e32 v6, vcc, s10, v6
	v_addc_co_u32_e32 v7, vcc, v8, v7, vcc
	global_load_dword v8, v[6:7], off
	v_lshlrev_b64 v[6:7], 1, v[4:5]
	v_mov_b32_e32 v9, s13
	v_add_co_u32_e32 v6, vcc, s12, v6
	v_addc_co_u32_e32 v7, vcc, v9, v7, vcc
	global_load_ushort v5, v[6:7], off
	v_mov_b32_e32 v14, s23
	s_mov_b64 s[28:29], 0
	s_waitcnt vmcnt(1)
	v_subrev_u32_e32 v6, s2, v8
	v_ashrrev_i32_e32 v7, 31, v6
	v_lshlrev_b64 v[6:7], 2, v[6:7]
	v_add_co_u32_e32 v6, vcc, s22, v6
	v_addc_co_u32_e32 v7, vcc, v14, v7, vcc
	global_load_dword v9, v[6:7], off
	s_waitcnt vmcnt(1)
	v_cvt_f32_f16_e32 v5, v5
	v_mul_f32_e32 v5, v3, v5
.LBB207_10:                             ;   Parent Loop BB207_7 Depth=1
                                        ;     Parent Loop BB207_9 Depth=2
                                        ; =>    This Inner Loop Header: Depth=3
	s_waitcnt vmcnt(0)
	v_add_f32_e32 v8, v9, v5
	global_atomic_cmpswap v8, v[6:7], v[8:9], off glc
	s_waitcnt vmcnt(0)
	v_cmp_eq_u32_e32 vcc, v8, v9
	s_or_b64 s[28:29], vcc, s[28:29]
	v_mov_b32_e32 v9, v8
	s_andn2_b64 exec, exec, s[28:29]
	s_cbranch_execnz .LBB207_10
; %bb.11:                               ;   in Loop: Header=BB207_9 Depth=2
	s_or_b64 exec, exec, s[28:29]
	v_add_u32_e32 v4, 32, v4
	v_cmp_ge_i32_e32 vcc, v4, v13
	s_or_b64 s[26:27], vcc, s[26:27]
	s_andn2_b64 exec, exec, s[26:27]
	s_cbranch_execnz .LBB207_9
	s_branch .LBB207_6
.LBB207_12:
	s_or_b64 exec, exec, s[4:5]
	s_mov_b64 s[4:5], 0
.LBB207_13:
	s_andn2_b64 vcc, exec, s[4:5]
	s_cbranch_vccnz .LBB207_23
; %bb.14:
	s_and_saveexec_b64 s[4:5], s[0:1]
	s_cbranch_execz .LBB207_23
; %bb.15:
	v_subrev_u32_e32 v8, s2, v1
	s_mov_b64 s[0:1], 0
	v_mov_b32_e32 v9, s19
	v_mov_b32_e32 v10, s9
	s_branch .LBB207_17
.LBB207_16:                             ;   in Loop: Header=BB207_17 Depth=1
	s_or_b64 exec, exec, s[4:5]
	v_add_u32_e32 v0, s3, v0
	v_cmp_le_i32_e32 vcc, s21, v0
	s_or_b64 s[0:1], vcc, s[0:1]
	s_andn2_b64 exec, exec, s[0:1]
	s_cbranch_execz .LBB207_23
.LBB207_17:                             ; =>This Loop Header: Depth=1
                                        ;     Child Loop BB207_20 Depth 2
                                        ;       Child Loop BB207_22 Depth 3
	v_ashrrev_i32_e32 v1, 31, v0
	v_lshlrev_b64 v[2:3], 2, v[0:1]
	v_add_co_u32_e32 v4, vcc, s18, v2
	v_addc_co_u32_e32 v5, vcc, v9, v3, vcc
	v_add_co_u32_e32 v2, vcc, s8, v2
	v_addc_co_u32_e32 v3, vcc, v10, v3, vcc
	global_load_dword v6, v[2:3], off
	global_load_dword v7, v[4:5], off
	s_waitcnt vmcnt(1)
	v_subrev_u32_e32 v11, s2, v6
	s_waitcnt vmcnt(0)
	v_add_u32_e32 v2, v7, v8
	v_cmp_lt_i32_e32 vcc, v2, v11
	s_and_saveexec_b64 s[4:5], vcc
	s_cbranch_execz .LBB207_16
; %bb.18:                               ;   in Loop: Header=BB207_17 Depth=1
	v_lshlrev_b64 v[4:5], 1, v[0:1]
	v_mov_b32_e32 v1, s15
	v_add_co_u32_e32 v4, vcc, s14, v4
	v_addc_co_u32_e32 v5, vcc, v1, v5, vcc
	global_load_ushort v1, v[4:5], off
	s_mov_b64 s[6:7], 0
	s_waitcnt vmcnt(0)
	v_cvt_f32_f16_e32 v1, v1
	v_mul_f32_e32 v1, s16, v1
	s_branch .LBB207_20
.LBB207_19:                             ;   in Loop: Header=BB207_20 Depth=2
	s_or_b64 exec, exec, s[24:25]
	v_add_u32_e32 v2, 32, v2
	v_cmp_ge_i32_e32 vcc, v2, v11
	s_or_b64 s[6:7], vcc, s[6:7]
	s_andn2_b64 exec, exec, s[6:7]
	s_cbranch_execz .LBB207_16
.LBB207_20:                             ;   Parent Loop BB207_17 Depth=1
                                        ; =>  This Loop Header: Depth=2
                                        ;       Child Loop BB207_22 Depth 3
	v_ashrrev_i32_e32 v3, 31, v2
	v_lshlrev_b64 v[4:5], 2, v[2:3]
	v_mov_b32_e32 v6, s11
	v_add_co_u32_e32 v4, vcc, s10, v4
	v_addc_co_u32_e32 v5, vcc, v6, v5, vcc
	global_load_dword v4, v[4:5], off
	s_waitcnt vmcnt(0)
	v_subrev_u32_e32 v4, s2, v4
	v_cmp_ne_u32_e32 vcc, v4, v0
	s_and_saveexec_b64 s[24:25], vcc
	s_cbranch_execz .LBB207_19
; %bb.21:                               ;   in Loop: Header=BB207_20 Depth=2
	v_lshlrev_b64 v[6:7], 1, v[2:3]
	v_mov_b32_e32 v3, s13
	v_add_co_u32_e32 v6, vcc, s12, v6
	v_addc_co_u32_e32 v7, vcc, v3, v7, vcc
	global_load_ushort v3, v[6:7], off
	v_ashrrev_i32_e32 v5, 31, v4
	v_lshlrev_b64 v[4:5], 2, v[4:5]
	v_mov_b32_e32 v6, s23
	v_add_co_u32_e32 v4, vcc, s22, v4
	v_addc_co_u32_e32 v5, vcc, v6, v5, vcc
	global_load_dword v7, v[4:5], off
	s_mov_b64 s[26:27], 0
	s_waitcnt vmcnt(1)
	v_cvt_f32_f16_e32 v3, v3
	v_mul_f32_e32 v3, v1, v3
.LBB207_22:                             ;   Parent Loop BB207_17 Depth=1
                                        ;     Parent Loop BB207_20 Depth=2
                                        ; =>    This Inner Loop Header: Depth=3
	s_waitcnt vmcnt(0)
	v_add_f32_e32 v6, v7, v3
	global_atomic_cmpswap v6, v[4:5], v[6:7], off glc
	s_waitcnt vmcnt(0)
	v_cmp_eq_u32_e32 vcc, v6, v7
	s_or_b64 s[26:27], vcc, s[26:27]
	v_mov_b32_e32 v7, v6
	s_andn2_b64 exec, exec, s[26:27]
	s_cbranch_execnz .LBB207_22
	s_branch .LBB207_19
.LBB207_23:
	s_endpgm
	.section	.rodata,"a",@progbits
	.p2align	6, 0x0
	.amdhsa_kernel _ZN9rocsparseL21csrmvt_general_kernelILj256ELj32EiiDF16_DF16_ffEEvbbT2_NS_24const_host_device_scalarIT6_EEPKT1_S7_PKS1_PKT3_PKT4_PT5_21rocsparse_index_base_b
		.amdhsa_group_segment_fixed_size 0
		.amdhsa_private_segment_fixed_size 0
		.amdhsa_kernarg_size 328
		.amdhsa_user_sgpr_count 6
		.amdhsa_user_sgpr_private_segment_buffer 1
		.amdhsa_user_sgpr_dispatch_ptr 0
		.amdhsa_user_sgpr_queue_ptr 0
		.amdhsa_user_sgpr_kernarg_segment_ptr 1
		.amdhsa_user_sgpr_dispatch_id 0
		.amdhsa_user_sgpr_flat_scratch_init 0
		.amdhsa_user_sgpr_kernarg_preload_length 0
		.amdhsa_user_sgpr_kernarg_preload_offset 0
		.amdhsa_user_sgpr_private_segment_size 0
		.amdhsa_uses_dynamic_stack 0
		.amdhsa_system_sgpr_private_segment_wavefront_offset 0
		.amdhsa_system_sgpr_workgroup_id_x 1
		.amdhsa_system_sgpr_workgroup_id_y 0
		.amdhsa_system_sgpr_workgroup_id_z 0
		.amdhsa_system_sgpr_workgroup_info 0
		.amdhsa_system_vgpr_workitem_id 0
		.amdhsa_next_free_vgpr 15
		.amdhsa_next_free_sgpr 30
		.amdhsa_accum_offset 16
		.amdhsa_reserve_vcc 1
		.amdhsa_reserve_flat_scratch 0
		.amdhsa_float_round_mode_32 0
		.amdhsa_float_round_mode_16_64 0
		.amdhsa_float_denorm_mode_32 3
		.amdhsa_float_denorm_mode_16_64 3
		.amdhsa_dx10_clamp 1
		.amdhsa_ieee_mode 1
		.amdhsa_fp16_overflow 0
		.amdhsa_tg_split 0
		.amdhsa_exception_fp_ieee_invalid_op 0
		.amdhsa_exception_fp_denorm_src 0
		.amdhsa_exception_fp_ieee_div_zero 0
		.amdhsa_exception_fp_ieee_overflow 0
		.amdhsa_exception_fp_ieee_underflow 0
		.amdhsa_exception_fp_ieee_inexact 0
		.amdhsa_exception_int_div_zero 0
	.end_amdhsa_kernel
	.section	.text._ZN9rocsparseL21csrmvt_general_kernelILj256ELj32EiiDF16_DF16_ffEEvbbT2_NS_24const_host_device_scalarIT6_EEPKT1_S7_PKS1_PKT3_PKT4_PT5_21rocsparse_index_base_b,"axG",@progbits,_ZN9rocsparseL21csrmvt_general_kernelILj256ELj32EiiDF16_DF16_ffEEvbbT2_NS_24const_host_device_scalarIT6_EEPKT1_S7_PKS1_PKT3_PKT4_PT5_21rocsparse_index_base_b,comdat
.Lfunc_end207:
	.size	_ZN9rocsparseL21csrmvt_general_kernelILj256ELj32EiiDF16_DF16_ffEEvbbT2_NS_24const_host_device_scalarIT6_EEPKT1_S7_PKS1_PKT3_PKT4_PT5_21rocsparse_index_base_b, .Lfunc_end207-_ZN9rocsparseL21csrmvt_general_kernelILj256ELj32EiiDF16_DF16_ffEEvbbT2_NS_24const_host_device_scalarIT6_EEPKT1_S7_PKS1_PKT3_PKT4_PT5_21rocsparse_index_base_b
                                        ; -- End function
	.section	.AMDGPU.csdata,"",@progbits
; Kernel info:
; codeLenInByte = 888
; NumSgprs: 34
; NumVgprs: 15
; NumAgprs: 0
; TotalNumVgprs: 15
; ScratchSize: 0
; MemoryBound: 0
; FloatMode: 240
; IeeeMode: 1
; LDSByteSize: 0 bytes/workgroup (compile time only)
; SGPRBlocks: 4
; VGPRBlocks: 1
; NumSGPRsForWavesPerEU: 34
; NumVGPRsForWavesPerEU: 15
; AccumOffset: 16
; Occupancy: 8
; WaveLimiterHint : 1
; COMPUTE_PGM_RSRC2:SCRATCH_EN: 0
; COMPUTE_PGM_RSRC2:USER_SGPR: 6
; COMPUTE_PGM_RSRC2:TRAP_HANDLER: 0
; COMPUTE_PGM_RSRC2:TGID_X_EN: 1
; COMPUTE_PGM_RSRC2:TGID_Y_EN: 0
; COMPUTE_PGM_RSRC2:TGID_Z_EN: 0
; COMPUTE_PGM_RSRC2:TIDIG_COMP_CNT: 0
; COMPUTE_PGM_RSRC3_GFX90A:ACCUM_OFFSET: 3
; COMPUTE_PGM_RSRC3_GFX90A:TG_SPLIT: 0
	.section	.text._ZN9rocsparseL21csrmvt_general_kernelILj256ELj64EiiDF16_DF16_ffEEvbbT2_NS_24const_host_device_scalarIT6_EEPKT1_S7_PKS1_PKT3_PKT4_PT5_21rocsparse_index_base_b,"axG",@progbits,_ZN9rocsparseL21csrmvt_general_kernelILj256ELj64EiiDF16_DF16_ffEEvbbT2_NS_24const_host_device_scalarIT6_EEPKT1_S7_PKS1_PKT3_PKT4_PT5_21rocsparse_index_base_b,comdat
	.globl	_ZN9rocsparseL21csrmvt_general_kernelILj256ELj64EiiDF16_DF16_ffEEvbbT2_NS_24const_host_device_scalarIT6_EEPKT1_S7_PKS1_PKT3_PKT4_PT5_21rocsparse_index_base_b ; -- Begin function _ZN9rocsparseL21csrmvt_general_kernelILj256ELj64EiiDF16_DF16_ffEEvbbT2_NS_24const_host_device_scalarIT6_EEPKT1_S7_PKS1_PKT3_PKT4_PT5_21rocsparse_index_base_b
	.p2align	8
	.type	_ZN9rocsparseL21csrmvt_general_kernelILj256ELj64EiiDF16_DF16_ffEEvbbT2_NS_24const_host_device_scalarIT6_EEPKT1_S7_PKS1_PKT3_PKT4_PT5_21rocsparse_index_base_b,@function
_ZN9rocsparseL21csrmvt_general_kernelILj256ELj64EiiDF16_DF16_ffEEvbbT2_NS_24const_host_device_scalarIT6_EEPKT1_S7_PKS1_PKT3_PKT4_PT5_21rocsparse_index_base_b: ; @_ZN9rocsparseL21csrmvt_general_kernelILj256ELj64EiiDF16_DF16_ffEEvbbT2_NS_24const_host_device_scalarIT6_EEPKT1_S7_PKS1_PKT3_PKT4_PT5_21rocsparse_index_base_b
; %bb.0:
	s_load_dwordx2 s[2:3], s[4:5], 0x40
	s_load_dwordx4 s[16:19], s[4:5], 0x8
	s_waitcnt lgkmcnt(0)
	s_bitcmp1_b32 s3, 0
	s_cselect_b64 s[0:1], -1, 0
	s_and_b64 vcc, exec, s[0:1]
	s_cbranch_vccnz .LBB208_2
; %bb.1:
	s_load_dword s16, s[16:17], 0x0
.LBB208_2:
	s_waitcnt lgkmcnt(0)
	v_cmp_eq_f32_e64 s[0:1], s16, 0
	s_and_b64 vcc, exec, s[0:1]
	s_cbranch_vccnz .LBB208_23
; %bb.3:
	s_load_dwordx2 s[20:21], s[4:5], 0x0
	s_load_dword s0, s[4:5], 0x48
	s_load_dwordx2 s[22:23], s[4:5], 0x38
	s_load_dwordx8 s[8:15], s[4:5], 0x18
	v_and_b32_e32 v1, 63, v0
	v_lshl_or_b32 v0, s6, 8, v0
	s_waitcnt lgkmcnt(0)
	s_and_b32 s1, s20, 1
	s_lshl_b32 s3, s0, 2
	v_lshrrev_b32_e32 v0, 6, v0
	s_cmp_eq_u32 s1, 0
	v_cmp_gt_i32_e64 s[0:1], s21, v0
	s_mov_b64 s[4:5], -1
	s_cbranch_scc0 .LBB208_13
; %bb.4:
	s_and_saveexec_b64 s[4:5], s[0:1]
	s_cbranch_execz .LBB208_12
; %bb.5:
	v_subrev_u32_e32 v10, s2, v1
	s_mov_b64 s[6:7], 0
	v_mov_b32_e32 v11, s19
	v_mov_b32_e32 v12, s9
	;; [unrolled: 1-line block ×3, first 2 shown]
	s_branch .LBB208_7
.LBB208_6:                              ;   in Loop: Header=BB208_7 Depth=1
	s_or_b64 exec, exec, s[24:25]
	v_add_u32_e32 v2, s3, v2
	v_cmp_le_i32_e32 vcc, s21, v2
	s_or_b64 s[6:7], vcc, s[6:7]
	s_andn2_b64 exec, exec, s[6:7]
	s_cbranch_execz .LBB208_12
.LBB208_7:                              ; =>This Loop Header: Depth=1
                                        ;     Child Loop BB208_9 Depth 2
                                        ;       Child Loop BB208_10 Depth 3
	v_ashrrev_i32_e32 v3, 31, v2
	v_lshlrev_b64 v[4:5], 2, v[2:3]
	v_add_co_u32_e32 v6, vcc, s18, v4
	v_addc_co_u32_e32 v7, vcc, v11, v5, vcc
	v_add_co_u32_e32 v4, vcc, s8, v4
	v_addc_co_u32_e32 v5, vcc, v12, v5, vcc
	global_load_dword v8, v[4:5], off
	global_load_dword v9, v[6:7], off
	s_waitcnt vmcnt(1)
	v_subrev_u32_e32 v13, s2, v8
	s_waitcnt vmcnt(0)
	v_add_u32_e32 v4, v9, v10
	v_cmp_lt_i32_e32 vcc, v4, v13
	s_and_saveexec_b64 s[24:25], vcc
	s_cbranch_execz .LBB208_6
; %bb.8:                                ;   in Loop: Header=BB208_7 Depth=1
	v_lshlrev_b64 v[6:7], 1, v[2:3]
	v_mov_b32_e32 v3, s15
	v_add_co_u32_e32 v6, vcc, s14, v6
	v_addc_co_u32_e32 v7, vcc, v3, v7, vcc
	global_load_ushort v3, v[6:7], off
	s_mov_b64 s[26:27], 0
	s_waitcnt vmcnt(0)
	v_cvt_f32_f16_e32 v3, v3
	v_mul_f32_e32 v3, s16, v3
.LBB208_9:                              ;   Parent Loop BB208_7 Depth=1
                                        ; =>  This Loop Header: Depth=2
                                        ;       Child Loop BB208_10 Depth 3
	v_ashrrev_i32_e32 v5, 31, v4
	v_lshlrev_b64 v[6:7], 2, v[4:5]
	v_mov_b32_e32 v8, s11
	v_add_co_u32_e32 v6, vcc, s10, v6
	v_addc_co_u32_e32 v7, vcc, v8, v7, vcc
	global_load_dword v8, v[6:7], off
	v_lshlrev_b64 v[6:7], 1, v[4:5]
	v_mov_b32_e32 v9, s13
	v_add_co_u32_e32 v6, vcc, s12, v6
	v_addc_co_u32_e32 v7, vcc, v9, v7, vcc
	global_load_ushort v5, v[6:7], off
	v_mov_b32_e32 v14, s23
	s_mov_b64 s[28:29], 0
	s_waitcnt vmcnt(1)
	v_subrev_u32_e32 v6, s2, v8
	v_ashrrev_i32_e32 v7, 31, v6
	v_lshlrev_b64 v[6:7], 2, v[6:7]
	v_add_co_u32_e32 v6, vcc, s22, v6
	v_addc_co_u32_e32 v7, vcc, v14, v7, vcc
	global_load_dword v9, v[6:7], off
	s_waitcnt vmcnt(1)
	v_cvt_f32_f16_e32 v5, v5
	v_mul_f32_e32 v5, v3, v5
.LBB208_10:                             ;   Parent Loop BB208_7 Depth=1
                                        ;     Parent Loop BB208_9 Depth=2
                                        ; =>    This Inner Loop Header: Depth=3
	s_waitcnt vmcnt(0)
	v_add_f32_e32 v8, v9, v5
	global_atomic_cmpswap v8, v[6:7], v[8:9], off glc
	s_waitcnt vmcnt(0)
	v_cmp_eq_u32_e32 vcc, v8, v9
	s_or_b64 s[28:29], vcc, s[28:29]
	v_mov_b32_e32 v9, v8
	s_andn2_b64 exec, exec, s[28:29]
	s_cbranch_execnz .LBB208_10
; %bb.11:                               ;   in Loop: Header=BB208_9 Depth=2
	s_or_b64 exec, exec, s[28:29]
	v_add_u32_e32 v4, 64, v4
	v_cmp_ge_i32_e32 vcc, v4, v13
	s_or_b64 s[26:27], vcc, s[26:27]
	s_andn2_b64 exec, exec, s[26:27]
	s_cbranch_execnz .LBB208_9
	s_branch .LBB208_6
.LBB208_12:
	s_or_b64 exec, exec, s[4:5]
	s_mov_b64 s[4:5], 0
.LBB208_13:
	s_andn2_b64 vcc, exec, s[4:5]
	s_cbranch_vccnz .LBB208_23
; %bb.14:
	s_and_saveexec_b64 s[4:5], s[0:1]
	s_cbranch_execz .LBB208_23
; %bb.15:
	v_subrev_u32_e32 v8, s2, v1
	s_mov_b64 s[0:1], 0
	v_mov_b32_e32 v9, s19
	v_mov_b32_e32 v10, s9
	s_branch .LBB208_17
.LBB208_16:                             ;   in Loop: Header=BB208_17 Depth=1
	s_or_b64 exec, exec, s[4:5]
	v_add_u32_e32 v0, s3, v0
	v_cmp_le_i32_e32 vcc, s21, v0
	s_or_b64 s[0:1], vcc, s[0:1]
	s_andn2_b64 exec, exec, s[0:1]
	s_cbranch_execz .LBB208_23
.LBB208_17:                             ; =>This Loop Header: Depth=1
                                        ;     Child Loop BB208_20 Depth 2
                                        ;       Child Loop BB208_22 Depth 3
	v_ashrrev_i32_e32 v1, 31, v0
	v_lshlrev_b64 v[2:3], 2, v[0:1]
	v_add_co_u32_e32 v4, vcc, s18, v2
	v_addc_co_u32_e32 v5, vcc, v9, v3, vcc
	v_add_co_u32_e32 v2, vcc, s8, v2
	v_addc_co_u32_e32 v3, vcc, v10, v3, vcc
	global_load_dword v6, v[2:3], off
	global_load_dword v7, v[4:5], off
	s_waitcnt vmcnt(1)
	v_subrev_u32_e32 v11, s2, v6
	s_waitcnt vmcnt(0)
	v_add_u32_e32 v2, v7, v8
	v_cmp_lt_i32_e32 vcc, v2, v11
	s_and_saveexec_b64 s[4:5], vcc
	s_cbranch_execz .LBB208_16
; %bb.18:                               ;   in Loop: Header=BB208_17 Depth=1
	v_lshlrev_b64 v[4:5], 1, v[0:1]
	v_mov_b32_e32 v1, s15
	v_add_co_u32_e32 v4, vcc, s14, v4
	v_addc_co_u32_e32 v5, vcc, v1, v5, vcc
	global_load_ushort v1, v[4:5], off
	s_mov_b64 s[6:7], 0
	s_waitcnt vmcnt(0)
	v_cvt_f32_f16_e32 v1, v1
	v_mul_f32_e32 v1, s16, v1
	s_branch .LBB208_20
.LBB208_19:                             ;   in Loop: Header=BB208_20 Depth=2
	s_or_b64 exec, exec, s[24:25]
	v_add_u32_e32 v2, 64, v2
	v_cmp_ge_i32_e32 vcc, v2, v11
	s_or_b64 s[6:7], vcc, s[6:7]
	s_andn2_b64 exec, exec, s[6:7]
	s_cbranch_execz .LBB208_16
.LBB208_20:                             ;   Parent Loop BB208_17 Depth=1
                                        ; =>  This Loop Header: Depth=2
                                        ;       Child Loop BB208_22 Depth 3
	v_ashrrev_i32_e32 v3, 31, v2
	v_lshlrev_b64 v[4:5], 2, v[2:3]
	v_mov_b32_e32 v6, s11
	v_add_co_u32_e32 v4, vcc, s10, v4
	v_addc_co_u32_e32 v5, vcc, v6, v5, vcc
	global_load_dword v4, v[4:5], off
	s_waitcnt vmcnt(0)
	v_subrev_u32_e32 v4, s2, v4
	v_cmp_ne_u32_e32 vcc, v4, v0
	s_and_saveexec_b64 s[24:25], vcc
	s_cbranch_execz .LBB208_19
; %bb.21:                               ;   in Loop: Header=BB208_20 Depth=2
	v_lshlrev_b64 v[6:7], 1, v[2:3]
	v_mov_b32_e32 v3, s13
	v_add_co_u32_e32 v6, vcc, s12, v6
	v_addc_co_u32_e32 v7, vcc, v3, v7, vcc
	global_load_ushort v3, v[6:7], off
	v_ashrrev_i32_e32 v5, 31, v4
	v_lshlrev_b64 v[4:5], 2, v[4:5]
	v_mov_b32_e32 v6, s23
	v_add_co_u32_e32 v4, vcc, s22, v4
	v_addc_co_u32_e32 v5, vcc, v6, v5, vcc
	global_load_dword v7, v[4:5], off
	s_mov_b64 s[26:27], 0
	s_waitcnt vmcnt(1)
	v_cvt_f32_f16_e32 v3, v3
	v_mul_f32_e32 v3, v1, v3
.LBB208_22:                             ;   Parent Loop BB208_17 Depth=1
                                        ;     Parent Loop BB208_20 Depth=2
                                        ; =>    This Inner Loop Header: Depth=3
	s_waitcnt vmcnt(0)
	v_add_f32_e32 v6, v7, v3
	global_atomic_cmpswap v6, v[4:5], v[6:7], off glc
	s_waitcnt vmcnt(0)
	v_cmp_eq_u32_e32 vcc, v6, v7
	s_or_b64 s[26:27], vcc, s[26:27]
	v_mov_b32_e32 v7, v6
	s_andn2_b64 exec, exec, s[26:27]
	s_cbranch_execnz .LBB208_22
	s_branch .LBB208_19
.LBB208_23:
	s_endpgm
	.section	.rodata,"a",@progbits
	.p2align	6, 0x0
	.amdhsa_kernel _ZN9rocsparseL21csrmvt_general_kernelILj256ELj64EiiDF16_DF16_ffEEvbbT2_NS_24const_host_device_scalarIT6_EEPKT1_S7_PKS1_PKT3_PKT4_PT5_21rocsparse_index_base_b
		.amdhsa_group_segment_fixed_size 0
		.amdhsa_private_segment_fixed_size 0
		.amdhsa_kernarg_size 328
		.amdhsa_user_sgpr_count 6
		.amdhsa_user_sgpr_private_segment_buffer 1
		.amdhsa_user_sgpr_dispatch_ptr 0
		.amdhsa_user_sgpr_queue_ptr 0
		.amdhsa_user_sgpr_kernarg_segment_ptr 1
		.amdhsa_user_sgpr_dispatch_id 0
		.amdhsa_user_sgpr_flat_scratch_init 0
		.amdhsa_user_sgpr_kernarg_preload_length 0
		.amdhsa_user_sgpr_kernarg_preload_offset 0
		.amdhsa_user_sgpr_private_segment_size 0
		.amdhsa_uses_dynamic_stack 0
		.amdhsa_system_sgpr_private_segment_wavefront_offset 0
		.amdhsa_system_sgpr_workgroup_id_x 1
		.amdhsa_system_sgpr_workgroup_id_y 0
		.amdhsa_system_sgpr_workgroup_id_z 0
		.amdhsa_system_sgpr_workgroup_info 0
		.amdhsa_system_vgpr_workitem_id 0
		.amdhsa_next_free_vgpr 15
		.amdhsa_next_free_sgpr 30
		.amdhsa_accum_offset 16
		.amdhsa_reserve_vcc 1
		.amdhsa_reserve_flat_scratch 0
		.amdhsa_float_round_mode_32 0
		.amdhsa_float_round_mode_16_64 0
		.amdhsa_float_denorm_mode_32 3
		.amdhsa_float_denorm_mode_16_64 3
		.amdhsa_dx10_clamp 1
		.amdhsa_ieee_mode 1
		.amdhsa_fp16_overflow 0
		.amdhsa_tg_split 0
		.amdhsa_exception_fp_ieee_invalid_op 0
		.amdhsa_exception_fp_denorm_src 0
		.amdhsa_exception_fp_ieee_div_zero 0
		.amdhsa_exception_fp_ieee_overflow 0
		.amdhsa_exception_fp_ieee_underflow 0
		.amdhsa_exception_fp_ieee_inexact 0
		.amdhsa_exception_int_div_zero 0
	.end_amdhsa_kernel
	.section	.text._ZN9rocsparseL21csrmvt_general_kernelILj256ELj64EiiDF16_DF16_ffEEvbbT2_NS_24const_host_device_scalarIT6_EEPKT1_S7_PKS1_PKT3_PKT4_PT5_21rocsparse_index_base_b,"axG",@progbits,_ZN9rocsparseL21csrmvt_general_kernelILj256ELj64EiiDF16_DF16_ffEEvbbT2_NS_24const_host_device_scalarIT6_EEPKT1_S7_PKS1_PKT3_PKT4_PT5_21rocsparse_index_base_b,comdat
.Lfunc_end208:
	.size	_ZN9rocsparseL21csrmvt_general_kernelILj256ELj64EiiDF16_DF16_ffEEvbbT2_NS_24const_host_device_scalarIT6_EEPKT1_S7_PKS1_PKT3_PKT4_PT5_21rocsparse_index_base_b, .Lfunc_end208-_ZN9rocsparseL21csrmvt_general_kernelILj256ELj64EiiDF16_DF16_ffEEvbbT2_NS_24const_host_device_scalarIT6_EEPKT1_S7_PKS1_PKT3_PKT4_PT5_21rocsparse_index_base_b
                                        ; -- End function
	.section	.AMDGPU.csdata,"",@progbits
; Kernel info:
; codeLenInByte = 888
; NumSgprs: 34
; NumVgprs: 15
; NumAgprs: 0
; TotalNumVgprs: 15
; ScratchSize: 0
; MemoryBound: 0
; FloatMode: 240
; IeeeMode: 1
; LDSByteSize: 0 bytes/workgroup (compile time only)
; SGPRBlocks: 4
; VGPRBlocks: 1
; NumSGPRsForWavesPerEU: 34
; NumVGPRsForWavesPerEU: 15
; AccumOffset: 16
; Occupancy: 8
; WaveLimiterHint : 1
; COMPUTE_PGM_RSRC2:SCRATCH_EN: 0
; COMPUTE_PGM_RSRC2:USER_SGPR: 6
; COMPUTE_PGM_RSRC2:TRAP_HANDLER: 0
; COMPUTE_PGM_RSRC2:TGID_X_EN: 1
; COMPUTE_PGM_RSRC2:TGID_Y_EN: 0
; COMPUTE_PGM_RSRC2:TGID_Z_EN: 0
; COMPUTE_PGM_RSRC2:TIDIG_COMP_CNT: 0
; COMPUTE_PGM_RSRC3_GFX90A:ACCUM_OFFSET: 3
; COMPUTE_PGM_RSRC3_GFX90A:TG_SPLIT: 0
	.section	.text._ZN9rocsparseL21csrmvn_general_kernelILj256ELj2EliDF16_DF16_ffEEvbT2_NS_24const_host_device_scalarIT6_EEPKT1_S7_PKS1_PKT3_PKT4_S4_PT5_21rocsparse_index_base_b,"axG",@progbits,_ZN9rocsparseL21csrmvn_general_kernelILj256ELj2EliDF16_DF16_ffEEvbT2_NS_24const_host_device_scalarIT6_EEPKT1_S7_PKS1_PKT3_PKT4_S4_PT5_21rocsparse_index_base_b,comdat
	.globl	_ZN9rocsparseL21csrmvn_general_kernelILj256ELj2EliDF16_DF16_ffEEvbT2_NS_24const_host_device_scalarIT6_EEPKT1_S7_PKS1_PKT3_PKT4_S4_PT5_21rocsparse_index_base_b ; -- Begin function _ZN9rocsparseL21csrmvn_general_kernelILj256ELj2EliDF16_DF16_ffEEvbT2_NS_24const_host_device_scalarIT6_EEPKT1_S7_PKS1_PKT3_PKT4_S4_PT5_21rocsparse_index_base_b
	.p2align	8
	.type	_ZN9rocsparseL21csrmvn_general_kernelILj256ELj2EliDF16_DF16_ffEEvbT2_NS_24const_host_device_scalarIT6_EEPKT1_S7_PKS1_PKT3_PKT4_S4_PT5_21rocsparse_index_base_b,@function
_ZN9rocsparseL21csrmvn_general_kernelILj256ELj2EliDF16_DF16_ffEEvbT2_NS_24const_host_device_scalarIT6_EEPKT1_S7_PKS1_PKT3_PKT4_S4_PT5_21rocsparse_index_base_b: ; @_ZN9rocsparseL21csrmvn_general_kernelILj256ELj2EliDF16_DF16_ffEEvbT2_NS_24const_host_device_scalarIT6_EEPKT1_S7_PKS1_PKT3_PKT4_S4_PT5_21rocsparse_index_base_b
; %bb.0:
	s_load_dwordx2 s[20:21], s[4:5], 0x48
	s_load_dwordx4 s[16:19], s[4:5], 0x8
	s_load_dwordx2 s[22:23], s[4:5], 0x38
	s_waitcnt lgkmcnt(0)
	s_bitcmp1_b32 s21, 0
	s_cselect_b64 s[2:3], -1, 0
	s_xor_b64 s[0:1], s[2:3], -1
	s_and_b64 vcc, exec, s[2:3]
	s_cbranch_vccnz .LBB209_2
; %bb.1:
	s_load_dword s16, s[16:17], 0x0
.LBB209_2:
	s_andn2_b64 vcc, exec, s[0:1]
	s_cbranch_vccnz .LBB209_4
; %bb.3:
	s_load_dword s22, s[22:23], 0x0
.LBB209_4:
	s_waitcnt lgkmcnt(0)
	v_cmp_neq_f32_e64 s[0:1], s16, 0
	v_cmp_neq_f32_e64 s[2:3], s22, 1.0
	s_or_b64 s[0:1], s[0:1], s[2:3]
	s_andn2_b64 vcc, exec, s[0:1]
	s_cbranch_vccnz .LBB209_16
; %bb.5:
	s_load_dword s17, s[4:5], 0x4
	v_lshl_or_b32 v1, s6, 8, v0
	v_lshrrev_b32_e32 v2, 1, v1
	s_waitcnt lgkmcnt(0)
	v_cmp_gt_i32_e32 vcc, s17, v2
	s_and_saveexec_b64 s[0:1], vcc
	s_cbranch_execz .LBB209_16
; %bb.6:
	s_load_dword s0, s[4:5], 0x50
	s_load_dwordx2 s[6:7], s[4:5], 0x40
	s_load_dwordx8 s[8:15], s[4:5], 0x18
	v_and_b32_e32 v0, 1, v0
	v_subrev_co_u32_e32 v10, vcc, s20, v0
	s_waitcnt lgkmcnt(0)
	s_lshl_b32 s21, s0, 7
	v_subb_co_u32_e64 v11, s[0:1], 0, 0, vcc
	s_ashr_i32 s1, s20, 31
	s_mov_b32 s0, s20
	s_lshl_b64 s[0:1], s[0:1], 1
	s_sub_u32 s23, s14, s0
	s_mov_b32 s2, 0
	s_subb_u32 s3, s15, s1
	v_mov_b32_e32 v14, s2
	v_mov_b32_e32 v15, s3
	v_cmp_neq_f32_e64 s[2:3], s22, 0
	v_cmp_eq_u32_e64 s[0:1], 1, v0
	v_cndmask_b32_e64 v0, 0, 1, s[2:3]
	s_mov_b64 s[14:15], 0
	v_mov_b32_e32 v12, s19
	v_mov_b32_e32 v13, s9
	v_cmp_ne_u32_e64 s[2:3], 1, v0
	s_branch .LBB209_9
.LBB209_7:                              ;   in Loop: Header=BB209_9 Depth=1
	global_store_dword v[0:1], v4, off
.LBB209_8:                              ;   in Loop: Header=BB209_9 Depth=1
	s_or_b64 exec, exec, s[24:25]
	v_add_u32_e32 v2, s21, v2
	v_cmp_le_i32_e32 vcc, s17, v2
	s_or_b64 s[14:15], vcc, s[14:15]
	s_andn2_b64 exec, exec, s[14:15]
	s_cbranch_execz .LBB209_16
.LBB209_9:                              ; =>This Loop Header: Depth=1
                                        ;     Child Loop BB209_11 Depth 2
	v_ashrrev_i32_e32 v3, 31, v2
	v_lshlrev_b64 v[0:1], 3, v[2:3]
	v_add_co_u32_e32 v4, vcc, s8, v0
	v_addc_co_u32_e32 v5, vcc, v13, v1, vcc
	global_load_dwordx2 v[4:5], v[4:5], off
	v_add_co_u32_e32 v0, vcc, s18, v0
	v_addc_co_u32_e32 v1, vcc, v12, v1, vcc
	global_load_dwordx2 v[6:7], v[0:1], off
	v_mov_b32_e32 v16, 0
	s_waitcnt vmcnt(1)
	v_subrev_co_u32_e32 v0, vcc, s20, v4
	v_subb_co_u32_e32 v1, vcc, v5, v14, vcc
	s_waitcnt vmcnt(0)
	v_add_co_u32_e32 v4, vcc, v6, v10
	v_addc_co_u32_e32 v5, vcc, v7, v11, vcc
	v_cmp_lt_i64_e32 vcc, v[4:5], v[0:1]
	s_and_saveexec_b64 s[4:5], vcc
	s_cbranch_execz .LBB209_13
; %bb.10:                               ;   in Loop: Header=BB209_9 Depth=1
	v_lshlrev_b64 v[6:7], 1, v[4:5]
	v_mov_b32_e32 v8, s13
	v_add_co_u32_e32 v6, vcc, s12, v6
	v_addc_co_u32_e32 v7, vcc, v8, v7, vcc
	v_lshlrev_b64 v[8:9], 2, v[4:5]
	v_mov_b32_e32 v16, s11
	v_add_co_u32_e32 v8, vcc, s10, v8
	v_addc_co_u32_e32 v9, vcc, v16, v9, vcc
	s_mov_b64 s[24:25], 0
	v_mov_b32_e32 v16, 0
.LBB209_11:                             ;   Parent Loop BB209_9 Depth=1
                                        ; =>  This Inner Loop Header: Depth=2
	global_load_dword v18, v[8:9], off
	global_load_ushort v17, v[6:7], off
	s_waitcnt vmcnt(1)
	v_ashrrev_i32_e32 v19, 31, v18
	v_lshlrev_b64 v[18:19], 1, v[18:19]
	v_add_co_u32_e32 v18, vcc, s23, v18
	v_addc_co_u32_e32 v19, vcc, v15, v19, vcc
	global_load_ushort v18, v[18:19], off
	v_add_co_u32_e32 v4, vcc, 2, v4
	v_addc_co_u32_e32 v5, vcc, 0, v5, vcc
	v_add_co_u32_e32 v6, vcc, 4, v6
	s_waitcnt vmcnt(1)
	v_cvt_f32_f16_e32 v17, v17
	v_addc_co_u32_e32 v7, vcc, 0, v7, vcc
	v_add_co_u32_e32 v8, vcc, 8, v8
	v_addc_co_u32_e32 v9, vcc, 0, v9, vcc
	v_cmp_ge_i64_e32 vcc, v[4:5], v[0:1]
	v_mul_f32_e32 v17, s16, v17
	s_or_b64 s[24:25], vcc, s[24:25]
	s_waitcnt vmcnt(0)
	v_fma_mix_f32 v16, v17, v18, v16 op_sel_hi:[0,1,0]
	s_andn2_b64 exec, exec, s[24:25]
	s_cbranch_execnz .LBB209_11
; %bb.12:                               ;   in Loop: Header=BB209_9 Depth=1
	s_or_b64 exec, exec, s[24:25]
.LBB209_13:                             ;   in Loop: Header=BB209_9 Depth=1
	s_or_b64 exec, exec, s[4:5]
	v_mov_b32_dpp v0, v16 row_shr:1 row_mask:0xf bank_mask:0xf
	s_and_saveexec_b64 s[24:25], s[0:1]
	s_cbranch_execz .LBB209_8
; %bb.14:                               ;   in Loop: Header=BB209_9 Depth=1
	v_add_f32_e32 v4, v16, v0
	v_lshlrev_b64 v[0:1], 2, v[2:3]
	v_mov_b32_e32 v3, s7
	v_add_co_u32_e64 v0, s[4:5], s6, v0
	s_and_b64 vcc, exec, s[2:3]
	v_addc_co_u32_e64 v1, s[4:5], v3, v1, s[4:5]
	s_cbranch_vccnz .LBB209_7
; %bb.15:                               ;   in Loop: Header=BB209_9 Depth=1
	global_load_dword v3, v[0:1], off
	s_waitcnt vmcnt(0)
	v_fmac_f32_e32 v4, s22, v3
	s_branch .LBB209_7
.LBB209_16:
	s_endpgm
	.section	.rodata,"a",@progbits
	.p2align	6, 0x0
	.amdhsa_kernel _ZN9rocsparseL21csrmvn_general_kernelILj256ELj2EliDF16_DF16_ffEEvbT2_NS_24const_host_device_scalarIT6_EEPKT1_S7_PKS1_PKT3_PKT4_S4_PT5_21rocsparse_index_base_b
		.amdhsa_group_segment_fixed_size 0
		.amdhsa_private_segment_fixed_size 0
		.amdhsa_kernarg_size 336
		.amdhsa_user_sgpr_count 6
		.amdhsa_user_sgpr_private_segment_buffer 1
		.amdhsa_user_sgpr_dispatch_ptr 0
		.amdhsa_user_sgpr_queue_ptr 0
		.amdhsa_user_sgpr_kernarg_segment_ptr 1
		.amdhsa_user_sgpr_dispatch_id 0
		.amdhsa_user_sgpr_flat_scratch_init 0
		.amdhsa_user_sgpr_kernarg_preload_length 0
		.amdhsa_user_sgpr_kernarg_preload_offset 0
		.amdhsa_user_sgpr_private_segment_size 0
		.amdhsa_uses_dynamic_stack 0
		.amdhsa_system_sgpr_private_segment_wavefront_offset 0
		.amdhsa_system_sgpr_workgroup_id_x 1
		.amdhsa_system_sgpr_workgroup_id_y 0
		.amdhsa_system_sgpr_workgroup_id_z 0
		.amdhsa_system_sgpr_workgroup_info 0
		.amdhsa_system_vgpr_workitem_id 0
		.amdhsa_next_free_vgpr 20
		.amdhsa_next_free_sgpr 26
		.amdhsa_accum_offset 20
		.amdhsa_reserve_vcc 1
		.amdhsa_reserve_flat_scratch 0
		.amdhsa_float_round_mode_32 0
		.amdhsa_float_round_mode_16_64 0
		.amdhsa_float_denorm_mode_32 3
		.amdhsa_float_denorm_mode_16_64 3
		.amdhsa_dx10_clamp 1
		.amdhsa_ieee_mode 1
		.amdhsa_fp16_overflow 0
		.amdhsa_tg_split 0
		.amdhsa_exception_fp_ieee_invalid_op 0
		.amdhsa_exception_fp_denorm_src 0
		.amdhsa_exception_fp_ieee_div_zero 0
		.amdhsa_exception_fp_ieee_overflow 0
		.amdhsa_exception_fp_ieee_underflow 0
		.amdhsa_exception_fp_ieee_inexact 0
		.amdhsa_exception_int_div_zero 0
	.end_amdhsa_kernel
	.section	.text._ZN9rocsparseL21csrmvn_general_kernelILj256ELj2EliDF16_DF16_ffEEvbT2_NS_24const_host_device_scalarIT6_EEPKT1_S7_PKS1_PKT3_PKT4_S4_PT5_21rocsparse_index_base_b,"axG",@progbits,_ZN9rocsparseL21csrmvn_general_kernelILj256ELj2EliDF16_DF16_ffEEvbT2_NS_24const_host_device_scalarIT6_EEPKT1_S7_PKS1_PKT3_PKT4_S4_PT5_21rocsparse_index_base_b,comdat
.Lfunc_end209:
	.size	_ZN9rocsparseL21csrmvn_general_kernelILj256ELj2EliDF16_DF16_ffEEvbT2_NS_24const_host_device_scalarIT6_EEPKT1_S7_PKS1_PKT3_PKT4_S4_PT5_21rocsparse_index_base_b, .Lfunc_end209-_ZN9rocsparseL21csrmvn_general_kernelILj256ELj2EliDF16_DF16_ffEEvbT2_NS_24const_host_device_scalarIT6_EEPKT1_S7_PKS1_PKT3_PKT4_S4_PT5_21rocsparse_index_base_b
                                        ; -- End function
	.section	.AMDGPU.csdata,"",@progbits
; Kernel info:
; codeLenInByte = 632
; NumSgprs: 30
; NumVgprs: 20
; NumAgprs: 0
; TotalNumVgprs: 20
; ScratchSize: 0
; MemoryBound: 0
; FloatMode: 240
; IeeeMode: 1
; LDSByteSize: 0 bytes/workgroup (compile time only)
; SGPRBlocks: 3
; VGPRBlocks: 2
; NumSGPRsForWavesPerEU: 30
; NumVGPRsForWavesPerEU: 20
; AccumOffset: 20
; Occupancy: 8
; WaveLimiterHint : 1
; COMPUTE_PGM_RSRC2:SCRATCH_EN: 0
; COMPUTE_PGM_RSRC2:USER_SGPR: 6
; COMPUTE_PGM_RSRC2:TRAP_HANDLER: 0
; COMPUTE_PGM_RSRC2:TGID_X_EN: 1
; COMPUTE_PGM_RSRC2:TGID_Y_EN: 0
; COMPUTE_PGM_RSRC2:TGID_Z_EN: 0
; COMPUTE_PGM_RSRC2:TIDIG_COMP_CNT: 0
; COMPUTE_PGM_RSRC3_GFX90A:ACCUM_OFFSET: 4
; COMPUTE_PGM_RSRC3_GFX90A:TG_SPLIT: 0
	.section	.text._ZN9rocsparseL21csrmvn_general_kernelILj256ELj4EliDF16_DF16_ffEEvbT2_NS_24const_host_device_scalarIT6_EEPKT1_S7_PKS1_PKT3_PKT4_S4_PT5_21rocsparse_index_base_b,"axG",@progbits,_ZN9rocsparseL21csrmvn_general_kernelILj256ELj4EliDF16_DF16_ffEEvbT2_NS_24const_host_device_scalarIT6_EEPKT1_S7_PKS1_PKT3_PKT4_S4_PT5_21rocsparse_index_base_b,comdat
	.globl	_ZN9rocsparseL21csrmvn_general_kernelILj256ELj4EliDF16_DF16_ffEEvbT2_NS_24const_host_device_scalarIT6_EEPKT1_S7_PKS1_PKT3_PKT4_S4_PT5_21rocsparse_index_base_b ; -- Begin function _ZN9rocsparseL21csrmvn_general_kernelILj256ELj4EliDF16_DF16_ffEEvbT2_NS_24const_host_device_scalarIT6_EEPKT1_S7_PKS1_PKT3_PKT4_S4_PT5_21rocsparse_index_base_b
	.p2align	8
	.type	_ZN9rocsparseL21csrmvn_general_kernelILj256ELj4EliDF16_DF16_ffEEvbT2_NS_24const_host_device_scalarIT6_EEPKT1_S7_PKS1_PKT3_PKT4_S4_PT5_21rocsparse_index_base_b,@function
_ZN9rocsparseL21csrmvn_general_kernelILj256ELj4EliDF16_DF16_ffEEvbT2_NS_24const_host_device_scalarIT6_EEPKT1_S7_PKS1_PKT3_PKT4_S4_PT5_21rocsparse_index_base_b: ; @_ZN9rocsparseL21csrmvn_general_kernelILj256ELj4EliDF16_DF16_ffEEvbT2_NS_24const_host_device_scalarIT6_EEPKT1_S7_PKS1_PKT3_PKT4_S4_PT5_21rocsparse_index_base_b
; %bb.0:
	s_load_dwordx2 s[20:21], s[4:5], 0x48
	s_load_dwordx4 s[16:19], s[4:5], 0x8
	s_load_dwordx2 s[22:23], s[4:5], 0x38
	s_waitcnt lgkmcnt(0)
	s_bitcmp1_b32 s21, 0
	s_cselect_b64 s[2:3], -1, 0
	s_xor_b64 s[0:1], s[2:3], -1
	s_and_b64 vcc, exec, s[2:3]
	s_cbranch_vccnz .LBB210_2
; %bb.1:
	s_load_dword s16, s[16:17], 0x0
.LBB210_2:
	s_andn2_b64 vcc, exec, s[0:1]
	s_cbranch_vccnz .LBB210_4
; %bb.3:
	s_load_dword s22, s[22:23], 0x0
.LBB210_4:
	s_waitcnt lgkmcnt(0)
	v_cmp_neq_f32_e64 s[0:1], s16, 0
	v_cmp_neq_f32_e64 s[2:3], s22, 1.0
	s_or_b64 s[0:1], s[0:1], s[2:3]
	s_andn2_b64 vcc, exec, s[0:1]
	s_cbranch_vccnz .LBB210_16
; %bb.5:
	s_load_dword s17, s[4:5], 0x4
	v_lshl_or_b32 v1, s6, 8, v0
	v_lshrrev_b32_e32 v2, 2, v1
	s_waitcnt lgkmcnt(0)
	v_cmp_gt_i32_e32 vcc, s17, v2
	s_and_saveexec_b64 s[0:1], vcc
	s_cbranch_execz .LBB210_16
; %bb.6:
	s_load_dword s0, s[4:5], 0x50
	s_load_dwordx2 s[6:7], s[4:5], 0x40
	s_load_dwordx8 s[8:15], s[4:5], 0x18
	v_and_b32_e32 v0, 3, v0
	v_subrev_co_u32_e32 v10, vcc, s20, v0
	s_waitcnt lgkmcnt(0)
	s_lshl_b32 s21, s0, 6
	v_subb_co_u32_e64 v11, s[0:1], 0, 0, vcc
	s_ashr_i32 s1, s20, 31
	s_mov_b32 s0, s20
	s_lshl_b64 s[0:1], s[0:1], 1
	s_sub_u32 s23, s14, s0
	s_mov_b32 s2, 0
	s_subb_u32 s3, s15, s1
	v_mov_b32_e32 v14, s2
	v_mov_b32_e32 v15, s3
	v_cmp_neq_f32_e64 s[2:3], s22, 0
	v_cmp_eq_u32_e64 s[0:1], 3, v0
	v_cndmask_b32_e64 v0, 0, 1, s[2:3]
	s_mov_b64 s[14:15], 0
	v_mov_b32_e32 v12, s19
	v_mov_b32_e32 v13, s9
	v_cmp_ne_u32_e64 s[2:3], 1, v0
	s_branch .LBB210_9
.LBB210_7:                              ;   in Loop: Header=BB210_9 Depth=1
	global_store_dword v[0:1], v4, off
.LBB210_8:                              ;   in Loop: Header=BB210_9 Depth=1
	s_or_b64 exec, exec, s[24:25]
	v_add_u32_e32 v2, s21, v2
	v_cmp_le_i32_e32 vcc, s17, v2
	s_or_b64 s[14:15], vcc, s[14:15]
	s_andn2_b64 exec, exec, s[14:15]
	s_cbranch_execz .LBB210_16
.LBB210_9:                              ; =>This Loop Header: Depth=1
                                        ;     Child Loop BB210_11 Depth 2
	v_ashrrev_i32_e32 v3, 31, v2
	v_lshlrev_b64 v[0:1], 3, v[2:3]
	v_add_co_u32_e32 v4, vcc, s8, v0
	v_addc_co_u32_e32 v5, vcc, v13, v1, vcc
	global_load_dwordx2 v[4:5], v[4:5], off
	v_add_co_u32_e32 v0, vcc, s18, v0
	v_addc_co_u32_e32 v1, vcc, v12, v1, vcc
	global_load_dwordx2 v[6:7], v[0:1], off
	v_mov_b32_e32 v16, 0
	s_waitcnt vmcnt(1)
	v_subrev_co_u32_e32 v0, vcc, s20, v4
	v_subb_co_u32_e32 v1, vcc, v5, v14, vcc
	s_waitcnt vmcnt(0)
	v_add_co_u32_e32 v4, vcc, v6, v10
	v_addc_co_u32_e32 v5, vcc, v7, v11, vcc
	v_cmp_lt_i64_e32 vcc, v[4:5], v[0:1]
	s_and_saveexec_b64 s[4:5], vcc
	s_cbranch_execz .LBB210_13
; %bb.10:                               ;   in Loop: Header=BB210_9 Depth=1
	v_lshlrev_b64 v[6:7], 1, v[4:5]
	v_mov_b32_e32 v8, s13
	v_add_co_u32_e32 v6, vcc, s12, v6
	v_addc_co_u32_e32 v7, vcc, v8, v7, vcc
	v_lshlrev_b64 v[8:9], 2, v[4:5]
	v_mov_b32_e32 v16, s11
	v_add_co_u32_e32 v8, vcc, s10, v8
	v_addc_co_u32_e32 v9, vcc, v16, v9, vcc
	s_mov_b64 s[24:25], 0
	v_mov_b32_e32 v16, 0
.LBB210_11:                             ;   Parent Loop BB210_9 Depth=1
                                        ; =>  This Inner Loop Header: Depth=2
	global_load_dword v18, v[8:9], off
	global_load_ushort v17, v[6:7], off
	s_waitcnt vmcnt(1)
	v_ashrrev_i32_e32 v19, 31, v18
	v_lshlrev_b64 v[18:19], 1, v[18:19]
	v_add_co_u32_e32 v18, vcc, s23, v18
	v_addc_co_u32_e32 v19, vcc, v15, v19, vcc
	global_load_ushort v18, v[18:19], off
	v_add_co_u32_e32 v4, vcc, 4, v4
	v_addc_co_u32_e32 v5, vcc, 0, v5, vcc
	v_add_co_u32_e32 v6, vcc, 8, v6
	s_waitcnt vmcnt(1)
	v_cvt_f32_f16_e32 v17, v17
	v_addc_co_u32_e32 v7, vcc, 0, v7, vcc
	v_add_co_u32_e32 v8, vcc, 16, v8
	v_addc_co_u32_e32 v9, vcc, 0, v9, vcc
	v_cmp_ge_i64_e32 vcc, v[4:5], v[0:1]
	v_mul_f32_e32 v17, s16, v17
	s_or_b64 s[24:25], vcc, s[24:25]
	s_waitcnt vmcnt(0)
	v_fma_mix_f32 v16, v17, v18, v16 op_sel_hi:[0,1,0]
	s_andn2_b64 exec, exec, s[24:25]
	s_cbranch_execnz .LBB210_11
; %bb.12:                               ;   in Loop: Header=BB210_9 Depth=1
	s_or_b64 exec, exec, s[24:25]
.LBB210_13:                             ;   in Loop: Header=BB210_9 Depth=1
	s_or_b64 exec, exec, s[4:5]
	v_mov_b32_dpp v0, v16 row_shr:1 row_mask:0xf bank_mask:0xf
	v_add_f32_e32 v0, v16, v0
	s_nop 1
	v_mov_b32_dpp v1, v0 row_shr:2 row_mask:0xf bank_mask:0xf
	s_and_saveexec_b64 s[24:25], s[0:1]
	s_cbranch_execz .LBB210_8
; %bb.14:                               ;   in Loop: Header=BB210_9 Depth=1
	v_add_f32_e32 v4, v0, v1
	v_lshlrev_b64 v[0:1], 2, v[2:3]
	v_mov_b32_e32 v3, s7
	v_add_co_u32_e64 v0, s[4:5], s6, v0
	s_and_b64 vcc, exec, s[2:3]
	v_addc_co_u32_e64 v1, s[4:5], v3, v1, s[4:5]
	s_cbranch_vccnz .LBB210_7
; %bb.15:                               ;   in Loop: Header=BB210_9 Depth=1
	global_load_dword v3, v[0:1], off
	s_waitcnt vmcnt(0)
	v_fmac_f32_e32 v4, s22, v3
	s_branch .LBB210_7
.LBB210_16:
	s_endpgm
	.section	.rodata,"a",@progbits
	.p2align	6, 0x0
	.amdhsa_kernel _ZN9rocsparseL21csrmvn_general_kernelILj256ELj4EliDF16_DF16_ffEEvbT2_NS_24const_host_device_scalarIT6_EEPKT1_S7_PKS1_PKT3_PKT4_S4_PT5_21rocsparse_index_base_b
		.amdhsa_group_segment_fixed_size 0
		.amdhsa_private_segment_fixed_size 0
		.amdhsa_kernarg_size 336
		.amdhsa_user_sgpr_count 6
		.amdhsa_user_sgpr_private_segment_buffer 1
		.amdhsa_user_sgpr_dispatch_ptr 0
		.amdhsa_user_sgpr_queue_ptr 0
		.amdhsa_user_sgpr_kernarg_segment_ptr 1
		.amdhsa_user_sgpr_dispatch_id 0
		.amdhsa_user_sgpr_flat_scratch_init 0
		.amdhsa_user_sgpr_kernarg_preload_length 0
		.amdhsa_user_sgpr_kernarg_preload_offset 0
		.amdhsa_user_sgpr_private_segment_size 0
		.amdhsa_uses_dynamic_stack 0
		.amdhsa_system_sgpr_private_segment_wavefront_offset 0
		.amdhsa_system_sgpr_workgroup_id_x 1
		.amdhsa_system_sgpr_workgroup_id_y 0
		.amdhsa_system_sgpr_workgroup_id_z 0
		.amdhsa_system_sgpr_workgroup_info 0
		.amdhsa_system_vgpr_workitem_id 0
		.amdhsa_next_free_vgpr 20
		.amdhsa_next_free_sgpr 26
		.amdhsa_accum_offset 20
		.amdhsa_reserve_vcc 1
		.amdhsa_reserve_flat_scratch 0
		.amdhsa_float_round_mode_32 0
		.amdhsa_float_round_mode_16_64 0
		.amdhsa_float_denorm_mode_32 3
		.amdhsa_float_denorm_mode_16_64 3
		.amdhsa_dx10_clamp 1
		.amdhsa_ieee_mode 1
		.amdhsa_fp16_overflow 0
		.amdhsa_tg_split 0
		.amdhsa_exception_fp_ieee_invalid_op 0
		.amdhsa_exception_fp_denorm_src 0
		.amdhsa_exception_fp_ieee_div_zero 0
		.amdhsa_exception_fp_ieee_overflow 0
		.amdhsa_exception_fp_ieee_underflow 0
		.amdhsa_exception_fp_ieee_inexact 0
		.amdhsa_exception_int_div_zero 0
	.end_amdhsa_kernel
	.section	.text._ZN9rocsparseL21csrmvn_general_kernelILj256ELj4EliDF16_DF16_ffEEvbT2_NS_24const_host_device_scalarIT6_EEPKT1_S7_PKS1_PKT3_PKT4_S4_PT5_21rocsparse_index_base_b,"axG",@progbits,_ZN9rocsparseL21csrmvn_general_kernelILj256ELj4EliDF16_DF16_ffEEvbT2_NS_24const_host_device_scalarIT6_EEPKT1_S7_PKS1_PKT3_PKT4_S4_PT5_21rocsparse_index_base_b,comdat
.Lfunc_end210:
	.size	_ZN9rocsparseL21csrmvn_general_kernelILj256ELj4EliDF16_DF16_ffEEvbT2_NS_24const_host_device_scalarIT6_EEPKT1_S7_PKS1_PKT3_PKT4_S4_PT5_21rocsparse_index_base_b, .Lfunc_end210-_ZN9rocsparseL21csrmvn_general_kernelILj256ELj4EliDF16_DF16_ffEEvbT2_NS_24const_host_device_scalarIT6_EEPKT1_S7_PKS1_PKT3_PKT4_S4_PT5_21rocsparse_index_base_b
                                        ; -- End function
	.section	.AMDGPU.csdata,"",@progbits
; Kernel info:
; codeLenInByte = 648
; NumSgprs: 30
; NumVgprs: 20
; NumAgprs: 0
; TotalNumVgprs: 20
; ScratchSize: 0
; MemoryBound: 0
; FloatMode: 240
; IeeeMode: 1
; LDSByteSize: 0 bytes/workgroup (compile time only)
; SGPRBlocks: 3
; VGPRBlocks: 2
; NumSGPRsForWavesPerEU: 30
; NumVGPRsForWavesPerEU: 20
; AccumOffset: 20
; Occupancy: 8
; WaveLimiterHint : 1
; COMPUTE_PGM_RSRC2:SCRATCH_EN: 0
; COMPUTE_PGM_RSRC2:USER_SGPR: 6
; COMPUTE_PGM_RSRC2:TRAP_HANDLER: 0
; COMPUTE_PGM_RSRC2:TGID_X_EN: 1
; COMPUTE_PGM_RSRC2:TGID_Y_EN: 0
; COMPUTE_PGM_RSRC2:TGID_Z_EN: 0
; COMPUTE_PGM_RSRC2:TIDIG_COMP_CNT: 0
; COMPUTE_PGM_RSRC3_GFX90A:ACCUM_OFFSET: 4
; COMPUTE_PGM_RSRC3_GFX90A:TG_SPLIT: 0
	.section	.text._ZN9rocsparseL21csrmvn_general_kernelILj256ELj8EliDF16_DF16_ffEEvbT2_NS_24const_host_device_scalarIT6_EEPKT1_S7_PKS1_PKT3_PKT4_S4_PT5_21rocsparse_index_base_b,"axG",@progbits,_ZN9rocsparseL21csrmvn_general_kernelILj256ELj8EliDF16_DF16_ffEEvbT2_NS_24const_host_device_scalarIT6_EEPKT1_S7_PKS1_PKT3_PKT4_S4_PT5_21rocsparse_index_base_b,comdat
	.globl	_ZN9rocsparseL21csrmvn_general_kernelILj256ELj8EliDF16_DF16_ffEEvbT2_NS_24const_host_device_scalarIT6_EEPKT1_S7_PKS1_PKT3_PKT4_S4_PT5_21rocsparse_index_base_b ; -- Begin function _ZN9rocsparseL21csrmvn_general_kernelILj256ELj8EliDF16_DF16_ffEEvbT2_NS_24const_host_device_scalarIT6_EEPKT1_S7_PKS1_PKT3_PKT4_S4_PT5_21rocsparse_index_base_b
	.p2align	8
	.type	_ZN9rocsparseL21csrmvn_general_kernelILj256ELj8EliDF16_DF16_ffEEvbT2_NS_24const_host_device_scalarIT6_EEPKT1_S7_PKS1_PKT3_PKT4_S4_PT5_21rocsparse_index_base_b,@function
_ZN9rocsparseL21csrmvn_general_kernelILj256ELj8EliDF16_DF16_ffEEvbT2_NS_24const_host_device_scalarIT6_EEPKT1_S7_PKS1_PKT3_PKT4_S4_PT5_21rocsparse_index_base_b: ; @_ZN9rocsparseL21csrmvn_general_kernelILj256ELj8EliDF16_DF16_ffEEvbT2_NS_24const_host_device_scalarIT6_EEPKT1_S7_PKS1_PKT3_PKT4_S4_PT5_21rocsparse_index_base_b
; %bb.0:
	s_load_dwordx2 s[20:21], s[4:5], 0x48
	s_load_dwordx4 s[16:19], s[4:5], 0x8
	s_load_dwordx2 s[22:23], s[4:5], 0x38
	s_waitcnt lgkmcnt(0)
	s_bitcmp1_b32 s21, 0
	s_cselect_b64 s[2:3], -1, 0
	s_xor_b64 s[0:1], s[2:3], -1
	s_and_b64 vcc, exec, s[2:3]
	s_cbranch_vccnz .LBB211_2
; %bb.1:
	s_load_dword s16, s[16:17], 0x0
.LBB211_2:
	s_andn2_b64 vcc, exec, s[0:1]
	s_cbranch_vccnz .LBB211_4
; %bb.3:
	s_load_dword s22, s[22:23], 0x0
.LBB211_4:
	s_waitcnt lgkmcnt(0)
	v_cmp_neq_f32_e64 s[0:1], s16, 0
	v_cmp_neq_f32_e64 s[2:3], s22, 1.0
	s_or_b64 s[0:1], s[0:1], s[2:3]
	s_andn2_b64 vcc, exec, s[0:1]
	s_cbranch_vccnz .LBB211_16
; %bb.5:
	s_load_dword s17, s[4:5], 0x4
	v_lshl_or_b32 v1, s6, 8, v0
	v_lshrrev_b32_e32 v2, 3, v1
	s_waitcnt lgkmcnt(0)
	v_cmp_gt_i32_e32 vcc, s17, v2
	s_and_saveexec_b64 s[0:1], vcc
	s_cbranch_execz .LBB211_16
; %bb.6:
	s_load_dword s0, s[4:5], 0x50
	s_load_dwordx2 s[6:7], s[4:5], 0x40
	s_load_dwordx8 s[8:15], s[4:5], 0x18
	v_and_b32_e32 v0, 7, v0
	v_subrev_co_u32_e32 v10, vcc, s20, v0
	s_waitcnt lgkmcnt(0)
	s_lshl_b32 s21, s0, 5
	v_subb_co_u32_e64 v11, s[0:1], 0, 0, vcc
	s_ashr_i32 s1, s20, 31
	s_mov_b32 s0, s20
	s_lshl_b64 s[0:1], s[0:1], 1
	s_sub_u32 s23, s14, s0
	s_mov_b32 s2, 0
	s_subb_u32 s3, s15, s1
	v_mov_b32_e32 v14, s2
	v_mov_b32_e32 v15, s3
	v_cmp_neq_f32_e64 s[2:3], s22, 0
	v_cmp_eq_u32_e64 s[0:1], 7, v0
	v_cndmask_b32_e64 v0, 0, 1, s[2:3]
	s_mov_b64 s[14:15], 0
	v_mov_b32_e32 v12, s19
	v_mov_b32_e32 v13, s9
	v_cmp_ne_u32_e64 s[2:3], 1, v0
	s_branch .LBB211_9
.LBB211_7:                              ;   in Loop: Header=BB211_9 Depth=1
	global_store_dword v[0:1], v4, off
.LBB211_8:                              ;   in Loop: Header=BB211_9 Depth=1
	s_or_b64 exec, exec, s[24:25]
	v_add_u32_e32 v2, s21, v2
	v_cmp_le_i32_e32 vcc, s17, v2
	s_or_b64 s[14:15], vcc, s[14:15]
	s_andn2_b64 exec, exec, s[14:15]
	s_cbranch_execz .LBB211_16
.LBB211_9:                              ; =>This Loop Header: Depth=1
                                        ;     Child Loop BB211_11 Depth 2
	v_ashrrev_i32_e32 v3, 31, v2
	v_lshlrev_b64 v[0:1], 3, v[2:3]
	v_add_co_u32_e32 v4, vcc, s8, v0
	v_addc_co_u32_e32 v5, vcc, v13, v1, vcc
	global_load_dwordx2 v[4:5], v[4:5], off
	v_add_co_u32_e32 v0, vcc, s18, v0
	v_addc_co_u32_e32 v1, vcc, v12, v1, vcc
	global_load_dwordx2 v[6:7], v[0:1], off
	v_mov_b32_e32 v16, 0
	s_waitcnt vmcnt(1)
	v_subrev_co_u32_e32 v0, vcc, s20, v4
	v_subb_co_u32_e32 v1, vcc, v5, v14, vcc
	s_waitcnt vmcnt(0)
	v_add_co_u32_e32 v4, vcc, v6, v10
	v_addc_co_u32_e32 v5, vcc, v7, v11, vcc
	v_cmp_lt_i64_e32 vcc, v[4:5], v[0:1]
	s_and_saveexec_b64 s[4:5], vcc
	s_cbranch_execz .LBB211_13
; %bb.10:                               ;   in Loop: Header=BB211_9 Depth=1
	v_lshlrev_b64 v[6:7], 1, v[4:5]
	v_mov_b32_e32 v8, s13
	v_add_co_u32_e32 v6, vcc, s12, v6
	v_addc_co_u32_e32 v7, vcc, v8, v7, vcc
	v_lshlrev_b64 v[8:9], 2, v[4:5]
	v_mov_b32_e32 v16, s11
	v_add_co_u32_e32 v8, vcc, s10, v8
	v_addc_co_u32_e32 v9, vcc, v16, v9, vcc
	s_mov_b64 s[24:25], 0
	v_mov_b32_e32 v16, 0
.LBB211_11:                             ;   Parent Loop BB211_9 Depth=1
                                        ; =>  This Inner Loop Header: Depth=2
	global_load_dword v18, v[8:9], off
	global_load_ushort v17, v[6:7], off
	s_waitcnt vmcnt(1)
	v_ashrrev_i32_e32 v19, 31, v18
	v_lshlrev_b64 v[18:19], 1, v[18:19]
	v_add_co_u32_e32 v18, vcc, s23, v18
	v_addc_co_u32_e32 v19, vcc, v15, v19, vcc
	global_load_ushort v18, v[18:19], off
	v_add_co_u32_e32 v4, vcc, 8, v4
	v_addc_co_u32_e32 v5, vcc, 0, v5, vcc
	v_add_co_u32_e32 v6, vcc, 16, v6
	s_waitcnt vmcnt(1)
	v_cvt_f32_f16_e32 v17, v17
	v_addc_co_u32_e32 v7, vcc, 0, v7, vcc
	v_add_co_u32_e32 v8, vcc, 32, v8
	v_addc_co_u32_e32 v9, vcc, 0, v9, vcc
	v_cmp_ge_i64_e32 vcc, v[4:5], v[0:1]
	v_mul_f32_e32 v17, s16, v17
	s_or_b64 s[24:25], vcc, s[24:25]
	s_waitcnt vmcnt(0)
	v_fma_mix_f32 v16, v17, v18, v16 op_sel_hi:[0,1,0]
	s_andn2_b64 exec, exec, s[24:25]
	s_cbranch_execnz .LBB211_11
; %bb.12:                               ;   in Loop: Header=BB211_9 Depth=1
	s_or_b64 exec, exec, s[24:25]
.LBB211_13:                             ;   in Loop: Header=BB211_9 Depth=1
	s_or_b64 exec, exec, s[4:5]
	v_mov_b32_dpp v0, v16 row_shr:1 row_mask:0xf bank_mask:0xf
	v_add_f32_e32 v0, v16, v0
	s_nop 1
	v_mov_b32_dpp v1, v0 row_shr:2 row_mask:0xf bank_mask:0xf
	v_add_f32_e32 v0, v0, v1
	s_nop 1
	v_mov_b32_dpp v1, v0 row_shr:4 row_mask:0xf bank_mask:0xe
	s_and_saveexec_b64 s[24:25], s[0:1]
	s_cbranch_execz .LBB211_8
; %bb.14:                               ;   in Loop: Header=BB211_9 Depth=1
	v_add_f32_e32 v4, v0, v1
	v_lshlrev_b64 v[0:1], 2, v[2:3]
	v_mov_b32_e32 v3, s7
	v_add_co_u32_e64 v0, s[4:5], s6, v0
	s_and_b64 vcc, exec, s[2:3]
	v_addc_co_u32_e64 v1, s[4:5], v3, v1, s[4:5]
	s_cbranch_vccnz .LBB211_7
; %bb.15:                               ;   in Loop: Header=BB211_9 Depth=1
	global_load_dword v3, v[0:1], off
	s_waitcnt vmcnt(0)
	v_fmac_f32_e32 v4, s22, v3
	s_branch .LBB211_7
.LBB211_16:
	s_endpgm
	.section	.rodata,"a",@progbits
	.p2align	6, 0x0
	.amdhsa_kernel _ZN9rocsparseL21csrmvn_general_kernelILj256ELj8EliDF16_DF16_ffEEvbT2_NS_24const_host_device_scalarIT6_EEPKT1_S7_PKS1_PKT3_PKT4_S4_PT5_21rocsparse_index_base_b
		.amdhsa_group_segment_fixed_size 0
		.amdhsa_private_segment_fixed_size 0
		.amdhsa_kernarg_size 336
		.amdhsa_user_sgpr_count 6
		.amdhsa_user_sgpr_private_segment_buffer 1
		.amdhsa_user_sgpr_dispatch_ptr 0
		.amdhsa_user_sgpr_queue_ptr 0
		.amdhsa_user_sgpr_kernarg_segment_ptr 1
		.amdhsa_user_sgpr_dispatch_id 0
		.amdhsa_user_sgpr_flat_scratch_init 0
		.amdhsa_user_sgpr_kernarg_preload_length 0
		.amdhsa_user_sgpr_kernarg_preload_offset 0
		.amdhsa_user_sgpr_private_segment_size 0
		.amdhsa_uses_dynamic_stack 0
		.amdhsa_system_sgpr_private_segment_wavefront_offset 0
		.amdhsa_system_sgpr_workgroup_id_x 1
		.amdhsa_system_sgpr_workgroup_id_y 0
		.amdhsa_system_sgpr_workgroup_id_z 0
		.amdhsa_system_sgpr_workgroup_info 0
		.amdhsa_system_vgpr_workitem_id 0
		.amdhsa_next_free_vgpr 20
		.amdhsa_next_free_sgpr 26
		.amdhsa_accum_offset 20
		.amdhsa_reserve_vcc 1
		.amdhsa_reserve_flat_scratch 0
		.amdhsa_float_round_mode_32 0
		.amdhsa_float_round_mode_16_64 0
		.amdhsa_float_denorm_mode_32 3
		.amdhsa_float_denorm_mode_16_64 3
		.amdhsa_dx10_clamp 1
		.amdhsa_ieee_mode 1
		.amdhsa_fp16_overflow 0
		.amdhsa_tg_split 0
		.amdhsa_exception_fp_ieee_invalid_op 0
		.amdhsa_exception_fp_denorm_src 0
		.amdhsa_exception_fp_ieee_div_zero 0
		.amdhsa_exception_fp_ieee_overflow 0
		.amdhsa_exception_fp_ieee_underflow 0
		.amdhsa_exception_fp_ieee_inexact 0
		.amdhsa_exception_int_div_zero 0
	.end_amdhsa_kernel
	.section	.text._ZN9rocsparseL21csrmvn_general_kernelILj256ELj8EliDF16_DF16_ffEEvbT2_NS_24const_host_device_scalarIT6_EEPKT1_S7_PKS1_PKT3_PKT4_S4_PT5_21rocsparse_index_base_b,"axG",@progbits,_ZN9rocsparseL21csrmvn_general_kernelILj256ELj8EliDF16_DF16_ffEEvbT2_NS_24const_host_device_scalarIT6_EEPKT1_S7_PKS1_PKT3_PKT4_S4_PT5_21rocsparse_index_base_b,comdat
.Lfunc_end211:
	.size	_ZN9rocsparseL21csrmvn_general_kernelILj256ELj8EliDF16_DF16_ffEEvbT2_NS_24const_host_device_scalarIT6_EEPKT1_S7_PKS1_PKT3_PKT4_S4_PT5_21rocsparse_index_base_b, .Lfunc_end211-_ZN9rocsparseL21csrmvn_general_kernelILj256ELj8EliDF16_DF16_ffEEvbT2_NS_24const_host_device_scalarIT6_EEPKT1_S7_PKS1_PKT3_PKT4_S4_PT5_21rocsparse_index_base_b
                                        ; -- End function
	.section	.AMDGPU.csdata,"",@progbits
; Kernel info:
; codeLenInByte = 664
; NumSgprs: 30
; NumVgprs: 20
; NumAgprs: 0
; TotalNumVgprs: 20
; ScratchSize: 0
; MemoryBound: 0
; FloatMode: 240
; IeeeMode: 1
; LDSByteSize: 0 bytes/workgroup (compile time only)
; SGPRBlocks: 3
; VGPRBlocks: 2
; NumSGPRsForWavesPerEU: 30
; NumVGPRsForWavesPerEU: 20
; AccumOffset: 20
; Occupancy: 8
; WaveLimiterHint : 1
; COMPUTE_PGM_RSRC2:SCRATCH_EN: 0
; COMPUTE_PGM_RSRC2:USER_SGPR: 6
; COMPUTE_PGM_RSRC2:TRAP_HANDLER: 0
; COMPUTE_PGM_RSRC2:TGID_X_EN: 1
; COMPUTE_PGM_RSRC2:TGID_Y_EN: 0
; COMPUTE_PGM_RSRC2:TGID_Z_EN: 0
; COMPUTE_PGM_RSRC2:TIDIG_COMP_CNT: 0
; COMPUTE_PGM_RSRC3_GFX90A:ACCUM_OFFSET: 4
; COMPUTE_PGM_RSRC3_GFX90A:TG_SPLIT: 0
	.section	.text._ZN9rocsparseL21csrmvn_general_kernelILj256ELj16EliDF16_DF16_ffEEvbT2_NS_24const_host_device_scalarIT6_EEPKT1_S7_PKS1_PKT3_PKT4_S4_PT5_21rocsparse_index_base_b,"axG",@progbits,_ZN9rocsparseL21csrmvn_general_kernelILj256ELj16EliDF16_DF16_ffEEvbT2_NS_24const_host_device_scalarIT6_EEPKT1_S7_PKS1_PKT3_PKT4_S4_PT5_21rocsparse_index_base_b,comdat
	.globl	_ZN9rocsparseL21csrmvn_general_kernelILj256ELj16EliDF16_DF16_ffEEvbT2_NS_24const_host_device_scalarIT6_EEPKT1_S7_PKS1_PKT3_PKT4_S4_PT5_21rocsparse_index_base_b ; -- Begin function _ZN9rocsparseL21csrmvn_general_kernelILj256ELj16EliDF16_DF16_ffEEvbT2_NS_24const_host_device_scalarIT6_EEPKT1_S7_PKS1_PKT3_PKT4_S4_PT5_21rocsparse_index_base_b
	.p2align	8
	.type	_ZN9rocsparseL21csrmvn_general_kernelILj256ELj16EliDF16_DF16_ffEEvbT2_NS_24const_host_device_scalarIT6_EEPKT1_S7_PKS1_PKT3_PKT4_S4_PT5_21rocsparse_index_base_b,@function
_ZN9rocsparseL21csrmvn_general_kernelILj256ELj16EliDF16_DF16_ffEEvbT2_NS_24const_host_device_scalarIT6_EEPKT1_S7_PKS1_PKT3_PKT4_S4_PT5_21rocsparse_index_base_b: ; @_ZN9rocsparseL21csrmvn_general_kernelILj256ELj16EliDF16_DF16_ffEEvbT2_NS_24const_host_device_scalarIT6_EEPKT1_S7_PKS1_PKT3_PKT4_S4_PT5_21rocsparse_index_base_b
; %bb.0:
	s_load_dwordx2 s[20:21], s[4:5], 0x48
	s_load_dwordx4 s[16:19], s[4:5], 0x8
	s_load_dwordx2 s[22:23], s[4:5], 0x38
	s_waitcnt lgkmcnt(0)
	s_bitcmp1_b32 s21, 0
	s_cselect_b64 s[2:3], -1, 0
	s_xor_b64 s[0:1], s[2:3], -1
	s_and_b64 vcc, exec, s[2:3]
	s_cbranch_vccnz .LBB212_2
; %bb.1:
	s_load_dword s16, s[16:17], 0x0
.LBB212_2:
	s_andn2_b64 vcc, exec, s[0:1]
	s_cbranch_vccnz .LBB212_4
; %bb.3:
	s_load_dword s22, s[22:23], 0x0
.LBB212_4:
	s_waitcnt lgkmcnt(0)
	v_cmp_neq_f32_e64 s[0:1], s16, 0
	v_cmp_neq_f32_e64 s[2:3], s22, 1.0
	s_or_b64 s[0:1], s[0:1], s[2:3]
	s_andn2_b64 vcc, exec, s[0:1]
	s_cbranch_vccnz .LBB212_16
; %bb.5:
	s_load_dword s17, s[4:5], 0x4
	v_lshl_or_b32 v1, s6, 8, v0
	v_lshrrev_b32_e32 v2, 4, v1
	s_waitcnt lgkmcnt(0)
	v_cmp_gt_i32_e32 vcc, s17, v2
	s_and_saveexec_b64 s[0:1], vcc
	s_cbranch_execz .LBB212_16
; %bb.6:
	s_load_dword s0, s[4:5], 0x50
	s_load_dwordx2 s[6:7], s[4:5], 0x40
	s_load_dwordx8 s[8:15], s[4:5], 0x18
	v_and_b32_e32 v0, 15, v0
	v_subrev_co_u32_e32 v10, vcc, s20, v0
	s_waitcnt lgkmcnt(0)
	s_lshl_b32 s21, s0, 4
	v_subb_co_u32_e64 v11, s[0:1], 0, 0, vcc
	s_ashr_i32 s1, s20, 31
	s_mov_b32 s0, s20
	s_lshl_b64 s[0:1], s[0:1], 1
	s_sub_u32 s23, s14, s0
	s_mov_b32 s2, 0
	s_subb_u32 s3, s15, s1
	v_mov_b32_e32 v14, s2
	v_mov_b32_e32 v15, s3
	v_cmp_neq_f32_e64 s[2:3], s22, 0
	v_cmp_eq_u32_e64 s[0:1], 15, v0
	v_cndmask_b32_e64 v0, 0, 1, s[2:3]
	s_mov_b64 s[14:15], 0
	v_mov_b32_e32 v12, s19
	v_mov_b32_e32 v13, s9
	v_cmp_ne_u32_e64 s[2:3], 1, v0
	s_branch .LBB212_9
.LBB212_7:                              ;   in Loop: Header=BB212_9 Depth=1
	global_store_dword v[0:1], v4, off
.LBB212_8:                              ;   in Loop: Header=BB212_9 Depth=1
	s_or_b64 exec, exec, s[24:25]
	v_add_u32_e32 v2, s21, v2
	v_cmp_le_i32_e32 vcc, s17, v2
	s_or_b64 s[14:15], vcc, s[14:15]
	s_andn2_b64 exec, exec, s[14:15]
	s_cbranch_execz .LBB212_16
.LBB212_9:                              ; =>This Loop Header: Depth=1
                                        ;     Child Loop BB212_11 Depth 2
	v_ashrrev_i32_e32 v3, 31, v2
	v_lshlrev_b64 v[0:1], 3, v[2:3]
	v_add_co_u32_e32 v4, vcc, s8, v0
	v_addc_co_u32_e32 v5, vcc, v13, v1, vcc
	global_load_dwordx2 v[4:5], v[4:5], off
	v_add_co_u32_e32 v0, vcc, s18, v0
	v_addc_co_u32_e32 v1, vcc, v12, v1, vcc
	global_load_dwordx2 v[6:7], v[0:1], off
	v_mov_b32_e32 v16, 0
	s_waitcnt vmcnt(1)
	v_subrev_co_u32_e32 v0, vcc, s20, v4
	v_subb_co_u32_e32 v1, vcc, v5, v14, vcc
	s_waitcnt vmcnt(0)
	v_add_co_u32_e32 v4, vcc, v6, v10
	v_addc_co_u32_e32 v5, vcc, v7, v11, vcc
	v_cmp_lt_i64_e32 vcc, v[4:5], v[0:1]
	s_and_saveexec_b64 s[4:5], vcc
	s_cbranch_execz .LBB212_13
; %bb.10:                               ;   in Loop: Header=BB212_9 Depth=1
	v_lshlrev_b64 v[6:7], 1, v[4:5]
	v_mov_b32_e32 v8, s13
	v_add_co_u32_e32 v6, vcc, s12, v6
	v_addc_co_u32_e32 v7, vcc, v8, v7, vcc
	v_lshlrev_b64 v[8:9], 2, v[4:5]
	v_mov_b32_e32 v16, s11
	v_add_co_u32_e32 v8, vcc, s10, v8
	v_addc_co_u32_e32 v9, vcc, v16, v9, vcc
	s_mov_b64 s[24:25], 0
	v_mov_b32_e32 v16, 0
.LBB212_11:                             ;   Parent Loop BB212_9 Depth=1
                                        ; =>  This Inner Loop Header: Depth=2
	global_load_dword v18, v[8:9], off
	global_load_ushort v17, v[6:7], off
	s_waitcnt vmcnt(1)
	v_ashrrev_i32_e32 v19, 31, v18
	v_lshlrev_b64 v[18:19], 1, v[18:19]
	v_add_co_u32_e32 v18, vcc, s23, v18
	v_addc_co_u32_e32 v19, vcc, v15, v19, vcc
	global_load_ushort v18, v[18:19], off
	v_add_co_u32_e32 v4, vcc, 16, v4
	v_addc_co_u32_e32 v5, vcc, 0, v5, vcc
	v_add_co_u32_e32 v6, vcc, 32, v6
	s_waitcnt vmcnt(1)
	v_cvt_f32_f16_e32 v17, v17
	v_addc_co_u32_e32 v7, vcc, 0, v7, vcc
	v_add_co_u32_e32 v8, vcc, 64, v8
	v_addc_co_u32_e32 v9, vcc, 0, v9, vcc
	v_cmp_ge_i64_e32 vcc, v[4:5], v[0:1]
	v_mul_f32_e32 v17, s16, v17
	s_or_b64 s[24:25], vcc, s[24:25]
	s_waitcnt vmcnt(0)
	v_fma_mix_f32 v16, v17, v18, v16 op_sel_hi:[0,1,0]
	s_andn2_b64 exec, exec, s[24:25]
	s_cbranch_execnz .LBB212_11
; %bb.12:                               ;   in Loop: Header=BB212_9 Depth=1
	s_or_b64 exec, exec, s[24:25]
.LBB212_13:                             ;   in Loop: Header=BB212_9 Depth=1
	s_or_b64 exec, exec, s[4:5]
	v_mov_b32_dpp v0, v16 row_shr:1 row_mask:0xf bank_mask:0xf
	v_add_f32_e32 v0, v16, v0
	s_nop 1
	v_mov_b32_dpp v1, v0 row_shr:2 row_mask:0xf bank_mask:0xf
	v_add_f32_e32 v0, v0, v1
	s_nop 1
	;; [unrolled: 3-line block ×3, first 2 shown]
	v_mov_b32_dpp v1, v0 row_shr:8 row_mask:0xf bank_mask:0xc
	s_and_saveexec_b64 s[24:25], s[0:1]
	s_cbranch_execz .LBB212_8
; %bb.14:                               ;   in Loop: Header=BB212_9 Depth=1
	v_add_f32_e32 v4, v0, v1
	v_lshlrev_b64 v[0:1], 2, v[2:3]
	v_mov_b32_e32 v3, s7
	v_add_co_u32_e64 v0, s[4:5], s6, v0
	s_and_b64 vcc, exec, s[2:3]
	v_addc_co_u32_e64 v1, s[4:5], v3, v1, s[4:5]
	s_cbranch_vccnz .LBB212_7
; %bb.15:                               ;   in Loop: Header=BB212_9 Depth=1
	global_load_dword v3, v[0:1], off
	s_waitcnt vmcnt(0)
	v_fmac_f32_e32 v4, s22, v3
	s_branch .LBB212_7
.LBB212_16:
	s_endpgm
	.section	.rodata,"a",@progbits
	.p2align	6, 0x0
	.amdhsa_kernel _ZN9rocsparseL21csrmvn_general_kernelILj256ELj16EliDF16_DF16_ffEEvbT2_NS_24const_host_device_scalarIT6_EEPKT1_S7_PKS1_PKT3_PKT4_S4_PT5_21rocsparse_index_base_b
		.amdhsa_group_segment_fixed_size 0
		.amdhsa_private_segment_fixed_size 0
		.amdhsa_kernarg_size 336
		.amdhsa_user_sgpr_count 6
		.amdhsa_user_sgpr_private_segment_buffer 1
		.amdhsa_user_sgpr_dispatch_ptr 0
		.amdhsa_user_sgpr_queue_ptr 0
		.amdhsa_user_sgpr_kernarg_segment_ptr 1
		.amdhsa_user_sgpr_dispatch_id 0
		.amdhsa_user_sgpr_flat_scratch_init 0
		.amdhsa_user_sgpr_kernarg_preload_length 0
		.amdhsa_user_sgpr_kernarg_preload_offset 0
		.amdhsa_user_sgpr_private_segment_size 0
		.amdhsa_uses_dynamic_stack 0
		.amdhsa_system_sgpr_private_segment_wavefront_offset 0
		.amdhsa_system_sgpr_workgroup_id_x 1
		.amdhsa_system_sgpr_workgroup_id_y 0
		.amdhsa_system_sgpr_workgroup_id_z 0
		.amdhsa_system_sgpr_workgroup_info 0
		.amdhsa_system_vgpr_workitem_id 0
		.amdhsa_next_free_vgpr 20
		.amdhsa_next_free_sgpr 26
		.amdhsa_accum_offset 20
		.amdhsa_reserve_vcc 1
		.amdhsa_reserve_flat_scratch 0
		.amdhsa_float_round_mode_32 0
		.amdhsa_float_round_mode_16_64 0
		.amdhsa_float_denorm_mode_32 3
		.amdhsa_float_denorm_mode_16_64 3
		.amdhsa_dx10_clamp 1
		.amdhsa_ieee_mode 1
		.amdhsa_fp16_overflow 0
		.amdhsa_tg_split 0
		.amdhsa_exception_fp_ieee_invalid_op 0
		.amdhsa_exception_fp_denorm_src 0
		.amdhsa_exception_fp_ieee_div_zero 0
		.amdhsa_exception_fp_ieee_overflow 0
		.amdhsa_exception_fp_ieee_underflow 0
		.amdhsa_exception_fp_ieee_inexact 0
		.amdhsa_exception_int_div_zero 0
	.end_amdhsa_kernel
	.section	.text._ZN9rocsparseL21csrmvn_general_kernelILj256ELj16EliDF16_DF16_ffEEvbT2_NS_24const_host_device_scalarIT6_EEPKT1_S7_PKS1_PKT3_PKT4_S4_PT5_21rocsparse_index_base_b,"axG",@progbits,_ZN9rocsparseL21csrmvn_general_kernelILj256ELj16EliDF16_DF16_ffEEvbT2_NS_24const_host_device_scalarIT6_EEPKT1_S7_PKS1_PKT3_PKT4_S4_PT5_21rocsparse_index_base_b,comdat
.Lfunc_end212:
	.size	_ZN9rocsparseL21csrmvn_general_kernelILj256ELj16EliDF16_DF16_ffEEvbT2_NS_24const_host_device_scalarIT6_EEPKT1_S7_PKS1_PKT3_PKT4_S4_PT5_21rocsparse_index_base_b, .Lfunc_end212-_ZN9rocsparseL21csrmvn_general_kernelILj256ELj16EliDF16_DF16_ffEEvbT2_NS_24const_host_device_scalarIT6_EEPKT1_S7_PKS1_PKT3_PKT4_S4_PT5_21rocsparse_index_base_b
                                        ; -- End function
	.section	.AMDGPU.csdata,"",@progbits
; Kernel info:
; codeLenInByte = 680
; NumSgprs: 30
; NumVgprs: 20
; NumAgprs: 0
; TotalNumVgprs: 20
; ScratchSize: 0
; MemoryBound: 0
; FloatMode: 240
; IeeeMode: 1
; LDSByteSize: 0 bytes/workgroup (compile time only)
; SGPRBlocks: 3
; VGPRBlocks: 2
; NumSGPRsForWavesPerEU: 30
; NumVGPRsForWavesPerEU: 20
; AccumOffset: 20
; Occupancy: 8
; WaveLimiterHint : 1
; COMPUTE_PGM_RSRC2:SCRATCH_EN: 0
; COMPUTE_PGM_RSRC2:USER_SGPR: 6
; COMPUTE_PGM_RSRC2:TRAP_HANDLER: 0
; COMPUTE_PGM_RSRC2:TGID_X_EN: 1
; COMPUTE_PGM_RSRC2:TGID_Y_EN: 0
; COMPUTE_PGM_RSRC2:TGID_Z_EN: 0
; COMPUTE_PGM_RSRC2:TIDIG_COMP_CNT: 0
; COMPUTE_PGM_RSRC3_GFX90A:ACCUM_OFFSET: 4
; COMPUTE_PGM_RSRC3_GFX90A:TG_SPLIT: 0
	.section	.text._ZN9rocsparseL21csrmvn_general_kernelILj256ELj32EliDF16_DF16_ffEEvbT2_NS_24const_host_device_scalarIT6_EEPKT1_S7_PKS1_PKT3_PKT4_S4_PT5_21rocsparse_index_base_b,"axG",@progbits,_ZN9rocsparseL21csrmvn_general_kernelILj256ELj32EliDF16_DF16_ffEEvbT2_NS_24const_host_device_scalarIT6_EEPKT1_S7_PKS1_PKT3_PKT4_S4_PT5_21rocsparse_index_base_b,comdat
	.globl	_ZN9rocsparseL21csrmvn_general_kernelILj256ELj32EliDF16_DF16_ffEEvbT2_NS_24const_host_device_scalarIT6_EEPKT1_S7_PKS1_PKT3_PKT4_S4_PT5_21rocsparse_index_base_b ; -- Begin function _ZN9rocsparseL21csrmvn_general_kernelILj256ELj32EliDF16_DF16_ffEEvbT2_NS_24const_host_device_scalarIT6_EEPKT1_S7_PKS1_PKT3_PKT4_S4_PT5_21rocsparse_index_base_b
	.p2align	8
	.type	_ZN9rocsparseL21csrmvn_general_kernelILj256ELj32EliDF16_DF16_ffEEvbT2_NS_24const_host_device_scalarIT6_EEPKT1_S7_PKS1_PKT3_PKT4_S4_PT5_21rocsparse_index_base_b,@function
_ZN9rocsparseL21csrmvn_general_kernelILj256ELj32EliDF16_DF16_ffEEvbT2_NS_24const_host_device_scalarIT6_EEPKT1_S7_PKS1_PKT3_PKT4_S4_PT5_21rocsparse_index_base_b: ; @_ZN9rocsparseL21csrmvn_general_kernelILj256ELj32EliDF16_DF16_ffEEvbT2_NS_24const_host_device_scalarIT6_EEPKT1_S7_PKS1_PKT3_PKT4_S4_PT5_21rocsparse_index_base_b
; %bb.0:
	s_load_dwordx2 s[20:21], s[4:5], 0x48
	s_load_dwordx4 s[16:19], s[4:5], 0x8
	s_load_dwordx2 s[22:23], s[4:5], 0x38
	s_waitcnt lgkmcnt(0)
	s_bitcmp1_b32 s21, 0
	s_cselect_b64 s[2:3], -1, 0
	s_xor_b64 s[0:1], s[2:3], -1
	s_and_b64 vcc, exec, s[2:3]
	s_cbranch_vccnz .LBB213_2
; %bb.1:
	s_load_dword s16, s[16:17], 0x0
.LBB213_2:
	s_andn2_b64 vcc, exec, s[0:1]
	s_cbranch_vccnz .LBB213_4
; %bb.3:
	s_load_dword s22, s[22:23], 0x0
.LBB213_4:
	s_waitcnt lgkmcnt(0)
	v_cmp_neq_f32_e64 s[0:1], s16, 0
	v_cmp_neq_f32_e64 s[2:3], s22, 1.0
	s_or_b64 s[0:1], s[0:1], s[2:3]
	s_andn2_b64 vcc, exec, s[0:1]
	s_cbranch_vccnz .LBB213_16
; %bb.5:
	s_load_dword s17, s[4:5], 0x4
	v_lshl_or_b32 v1, s6, 8, v0
	v_lshrrev_b32_e32 v2, 5, v1
	s_waitcnt lgkmcnt(0)
	v_cmp_gt_i32_e32 vcc, s17, v2
	s_and_saveexec_b64 s[0:1], vcc
	s_cbranch_execz .LBB213_16
; %bb.6:
	s_load_dword s0, s[4:5], 0x50
	s_load_dwordx2 s[6:7], s[4:5], 0x40
	s_load_dwordx8 s[8:15], s[4:5], 0x18
	v_and_b32_e32 v0, 31, v0
	v_subrev_co_u32_e32 v10, vcc, s20, v0
	s_waitcnt lgkmcnt(0)
	s_lshl_b32 s21, s0, 3
	v_subb_co_u32_e64 v11, s[0:1], 0, 0, vcc
	s_ashr_i32 s1, s20, 31
	s_mov_b32 s0, s20
	s_lshl_b64 s[0:1], s[0:1], 1
	s_sub_u32 s23, s14, s0
	s_mov_b32 s2, 0
	s_subb_u32 s3, s15, s1
	v_mov_b32_e32 v14, s2
	v_mov_b32_e32 v15, s3
	v_cmp_neq_f32_e64 s[2:3], s22, 0
	v_cmp_eq_u32_e64 s[0:1], 31, v0
	v_cndmask_b32_e64 v0, 0, 1, s[2:3]
	s_mov_b64 s[14:15], 0
	v_mov_b32_e32 v12, s19
	v_mov_b32_e32 v13, s9
	v_cmp_ne_u32_e64 s[2:3], 1, v0
	s_branch .LBB213_9
.LBB213_7:                              ;   in Loop: Header=BB213_9 Depth=1
	global_store_dword v[0:1], v4, off
.LBB213_8:                              ;   in Loop: Header=BB213_9 Depth=1
	s_or_b64 exec, exec, s[24:25]
	v_add_u32_e32 v2, s21, v2
	v_cmp_le_i32_e32 vcc, s17, v2
	s_or_b64 s[14:15], vcc, s[14:15]
	s_andn2_b64 exec, exec, s[14:15]
	s_cbranch_execz .LBB213_16
.LBB213_9:                              ; =>This Loop Header: Depth=1
                                        ;     Child Loop BB213_11 Depth 2
	v_ashrrev_i32_e32 v3, 31, v2
	v_lshlrev_b64 v[0:1], 3, v[2:3]
	v_add_co_u32_e32 v4, vcc, s8, v0
	v_addc_co_u32_e32 v5, vcc, v13, v1, vcc
	global_load_dwordx2 v[4:5], v[4:5], off
	v_add_co_u32_e32 v0, vcc, s18, v0
	v_addc_co_u32_e32 v1, vcc, v12, v1, vcc
	global_load_dwordx2 v[6:7], v[0:1], off
	v_mov_b32_e32 v16, 0
	s_waitcnt vmcnt(1)
	v_subrev_co_u32_e32 v0, vcc, s20, v4
	v_subb_co_u32_e32 v1, vcc, v5, v14, vcc
	s_waitcnt vmcnt(0)
	v_add_co_u32_e32 v4, vcc, v6, v10
	v_addc_co_u32_e32 v5, vcc, v7, v11, vcc
	v_cmp_lt_i64_e32 vcc, v[4:5], v[0:1]
	s_and_saveexec_b64 s[4:5], vcc
	s_cbranch_execz .LBB213_13
; %bb.10:                               ;   in Loop: Header=BB213_9 Depth=1
	v_lshlrev_b64 v[6:7], 1, v[4:5]
	v_mov_b32_e32 v8, s13
	v_add_co_u32_e32 v6, vcc, s12, v6
	v_addc_co_u32_e32 v7, vcc, v8, v7, vcc
	v_lshlrev_b64 v[8:9], 2, v[4:5]
	v_mov_b32_e32 v16, s11
	v_add_co_u32_e32 v8, vcc, s10, v8
	v_addc_co_u32_e32 v9, vcc, v16, v9, vcc
	s_mov_b64 s[24:25], 0
	v_mov_b32_e32 v16, 0
.LBB213_11:                             ;   Parent Loop BB213_9 Depth=1
                                        ; =>  This Inner Loop Header: Depth=2
	global_load_dword v18, v[8:9], off
	global_load_ushort v17, v[6:7], off
	s_waitcnt vmcnt(1)
	v_ashrrev_i32_e32 v19, 31, v18
	v_lshlrev_b64 v[18:19], 1, v[18:19]
	v_add_co_u32_e32 v18, vcc, s23, v18
	v_addc_co_u32_e32 v19, vcc, v15, v19, vcc
	global_load_ushort v18, v[18:19], off
	v_add_co_u32_e32 v4, vcc, 32, v4
	v_addc_co_u32_e32 v5, vcc, 0, v5, vcc
	v_add_co_u32_e32 v6, vcc, 64, v6
	s_waitcnt vmcnt(1)
	v_cvt_f32_f16_e32 v17, v17
	v_addc_co_u32_e32 v7, vcc, 0, v7, vcc
	v_add_co_u32_e32 v8, vcc, 0x80, v8
	v_addc_co_u32_e32 v9, vcc, 0, v9, vcc
	v_cmp_ge_i64_e32 vcc, v[4:5], v[0:1]
	v_mul_f32_e32 v17, s16, v17
	s_or_b64 s[24:25], vcc, s[24:25]
	s_waitcnt vmcnt(0)
	v_fma_mix_f32 v16, v17, v18, v16 op_sel_hi:[0,1,0]
	s_andn2_b64 exec, exec, s[24:25]
	s_cbranch_execnz .LBB213_11
; %bb.12:                               ;   in Loop: Header=BB213_9 Depth=1
	s_or_b64 exec, exec, s[24:25]
.LBB213_13:                             ;   in Loop: Header=BB213_9 Depth=1
	s_or_b64 exec, exec, s[4:5]
	v_mov_b32_dpp v0, v16 row_shr:1 row_mask:0xf bank_mask:0xf
	v_add_f32_e32 v0, v16, v0
	s_nop 1
	v_mov_b32_dpp v1, v0 row_shr:2 row_mask:0xf bank_mask:0xf
	v_add_f32_e32 v0, v0, v1
	s_nop 1
	;; [unrolled: 3-line block ×4, first 2 shown]
	v_mov_b32_dpp v1, v0 row_bcast:15 row_mask:0xa bank_mask:0xf
	s_and_saveexec_b64 s[24:25], s[0:1]
	s_cbranch_execz .LBB213_8
; %bb.14:                               ;   in Loop: Header=BB213_9 Depth=1
	v_add_f32_e32 v4, v0, v1
	v_lshlrev_b64 v[0:1], 2, v[2:3]
	v_mov_b32_e32 v3, s7
	v_add_co_u32_e64 v0, s[4:5], s6, v0
	s_and_b64 vcc, exec, s[2:3]
	v_addc_co_u32_e64 v1, s[4:5], v3, v1, s[4:5]
	s_cbranch_vccnz .LBB213_7
; %bb.15:                               ;   in Loop: Header=BB213_9 Depth=1
	global_load_dword v3, v[0:1], off
	s_waitcnt vmcnt(0)
	v_fmac_f32_e32 v4, s22, v3
	s_branch .LBB213_7
.LBB213_16:
	s_endpgm
	.section	.rodata,"a",@progbits
	.p2align	6, 0x0
	.amdhsa_kernel _ZN9rocsparseL21csrmvn_general_kernelILj256ELj32EliDF16_DF16_ffEEvbT2_NS_24const_host_device_scalarIT6_EEPKT1_S7_PKS1_PKT3_PKT4_S4_PT5_21rocsparse_index_base_b
		.amdhsa_group_segment_fixed_size 0
		.amdhsa_private_segment_fixed_size 0
		.amdhsa_kernarg_size 336
		.amdhsa_user_sgpr_count 6
		.amdhsa_user_sgpr_private_segment_buffer 1
		.amdhsa_user_sgpr_dispatch_ptr 0
		.amdhsa_user_sgpr_queue_ptr 0
		.amdhsa_user_sgpr_kernarg_segment_ptr 1
		.amdhsa_user_sgpr_dispatch_id 0
		.amdhsa_user_sgpr_flat_scratch_init 0
		.amdhsa_user_sgpr_kernarg_preload_length 0
		.amdhsa_user_sgpr_kernarg_preload_offset 0
		.amdhsa_user_sgpr_private_segment_size 0
		.amdhsa_uses_dynamic_stack 0
		.amdhsa_system_sgpr_private_segment_wavefront_offset 0
		.amdhsa_system_sgpr_workgroup_id_x 1
		.amdhsa_system_sgpr_workgroup_id_y 0
		.amdhsa_system_sgpr_workgroup_id_z 0
		.amdhsa_system_sgpr_workgroup_info 0
		.amdhsa_system_vgpr_workitem_id 0
		.amdhsa_next_free_vgpr 20
		.amdhsa_next_free_sgpr 26
		.amdhsa_accum_offset 20
		.amdhsa_reserve_vcc 1
		.amdhsa_reserve_flat_scratch 0
		.amdhsa_float_round_mode_32 0
		.amdhsa_float_round_mode_16_64 0
		.amdhsa_float_denorm_mode_32 3
		.amdhsa_float_denorm_mode_16_64 3
		.amdhsa_dx10_clamp 1
		.amdhsa_ieee_mode 1
		.amdhsa_fp16_overflow 0
		.amdhsa_tg_split 0
		.amdhsa_exception_fp_ieee_invalid_op 0
		.amdhsa_exception_fp_denorm_src 0
		.amdhsa_exception_fp_ieee_div_zero 0
		.amdhsa_exception_fp_ieee_overflow 0
		.amdhsa_exception_fp_ieee_underflow 0
		.amdhsa_exception_fp_ieee_inexact 0
		.amdhsa_exception_int_div_zero 0
	.end_amdhsa_kernel
	.section	.text._ZN9rocsparseL21csrmvn_general_kernelILj256ELj32EliDF16_DF16_ffEEvbT2_NS_24const_host_device_scalarIT6_EEPKT1_S7_PKS1_PKT3_PKT4_S4_PT5_21rocsparse_index_base_b,"axG",@progbits,_ZN9rocsparseL21csrmvn_general_kernelILj256ELj32EliDF16_DF16_ffEEvbT2_NS_24const_host_device_scalarIT6_EEPKT1_S7_PKS1_PKT3_PKT4_S4_PT5_21rocsparse_index_base_b,comdat
.Lfunc_end213:
	.size	_ZN9rocsparseL21csrmvn_general_kernelILj256ELj32EliDF16_DF16_ffEEvbT2_NS_24const_host_device_scalarIT6_EEPKT1_S7_PKS1_PKT3_PKT4_S4_PT5_21rocsparse_index_base_b, .Lfunc_end213-_ZN9rocsparseL21csrmvn_general_kernelILj256ELj32EliDF16_DF16_ffEEvbT2_NS_24const_host_device_scalarIT6_EEPKT1_S7_PKS1_PKT3_PKT4_S4_PT5_21rocsparse_index_base_b
                                        ; -- End function
	.section	.AMDGPU.csdata,"",@progbits
; Kernel info:
; codeLenInByte = 700
; NumSgprs: 30
; NumVgprs: 20
; NumAgprs: 0
; TotalNumVgprs: 20
; ScratchSize: 0
; MemoryBound: 0
; FloatMode: 240
; IeeeMode: 1
; LDSByteSize: 0 bytes/workgroup (compile time only)
; SGPRBlocks: 3
; VGPRBlocks: 2
; NumSGPRsForWavesPerEU: 30
; NumVGPRsForWavesPerEU: 20
; AccumOffset: 20
; Occupancy: 8
; WaveLimiterHint : 1
; COMPUTE_PGM_RSRC2:SCRATCH_EN: 0
; COMPUTE_PGM_RSRC2:USER_SGPR: 6
; COMPUTE_PGM_RSRC2:TRAP_HANDLER: 0
; COMPUTE_PGM_RSRC2:TGID_X_EN: 1
; COMPUTE_PGM_RSRC2:TGID_Y_EN: 0
; COMPUTE_PGM_RSRC2:TGID_Z_EN: 0
; COMPUTE_PGM_RSRC2:TIDIG_COMP_CNT: 0
; COMPUTE_PGM_RSRC3_GFX90A:ACCUM_OFFSET: 4
; COMPUTE_PGM_RSRC3_GFX90A:TG_SPLIT: 0
	.section	.text._ZN9rocsparseL21csrmvn_general_kernelILj256ELj64EliDF16_DF16_ffEEvbT2_NS_24const_host_device_scalarIT6_EEPKT1_S7_PKS1_PKT3_PKT4_S4_PT5_21rocsparse_index_base_b,"axG",@progbits,_ZN9rocsparseL21csrmvn_general_kernelILj256ELj64EliDF16_DF16_ffEEvbT2_NS_24const_host_device_scalarIT6_EEPKT1_S7_PKS1_PKT3_PKT4_S4_PT5_21rocsparse_index_base_b,comdat
	.globl	_ZN9rocsparseL21csrmvn_general_kernelILj256ELj64EliDF16_DF16_ffEEvbT2_NS_24const_host_device_scalarIT6_EEPKT1_S7_PKS1_PKT3_PKT4_S4_PT5_21rocsparse_index_base_b ; -- Begin function _ZN9rocsparseL21csrmvn_general_kernelILj256ELj64EliDF16_DF16_ffEEvbT2_NS_24const_host_device_scalarIT6_EEPKT1_S7_PKS1_PKT3_PKT4_S4_PT5_21rocsparse_index_base_b
	.p2align	8
	.type	_ZN9rocsparseL21csrmvn_general_kernelILj256ELj64EliDF16_DF16_ffEEvbT2_NS_24const_host_device_scalarIT6_EEPKT1_S7_PKS1_PKT3_PKT4_S4_PT5_21rocsparse_index_base_b,@function
_ZN9rocsparseL21csrmvn_general_kernelILj256ELj64EliDF16_DF16_ffEEvbT2_NS_24const_host_device_scalarIT6_EEPKT1_S7_PKS1_PKT3_PKT4_S4_PT5_21rocsparse_index_base_b: ; @_ZN9rocsparseL21csrmvn_general_kernelILj256ELj64EliDF16_DF16_ffEEvbT2_NS_24const_host_device_scalarIT6_EEPKT1_S7_PKS1_PKT3_PKT4_S4_PT5_21rocsparse_index_base_b
; %bb.0:
	s_load_dwordx2 s[20:21], s[4:5], 0x48
	s_load_dwordx4 s[16:19], s[4:5], 0x8
	s_load_dwordx2 s[22:23], s[4:5], 0x38
	s_waitcnt lgkmcnt(0)
	s_bitcmp1_b32 s21, 0
	s_cselect_b64 s[2:3], -1, 0
	s_xor_b64 s[0:1], s[2:3], -1
	s_and_b64 vcc, exec, s[2:3]
	s_cbranch_vccnz .LBB214_2
; %bb.1:
	s_load_dword s16, s[16:17], 0x0
.LBB214_2:
	s_andn2_b64 vcc, exec, s[0:1]
	s_cbranch_vccnz .LBB214_4
; %bb.3:
	s_load_dword s22, s[22:23], 0x0
.LBB214_4:
	s_waitcnt lgkmcnt(0)
	v_cmp_neq_f32_e64 s[0:1], s16, 0
	v_cmp_neq_f32_e64 s[2:3], s22, 1.0
	s_or_b64 s[0:1], s[0:1], s[2:3]
	s_andn2_b64 vcc, exec, s[0:1]
	s_cbranch_vccnz .LBB214_16
; %bb.5:
	s_load_dword s17, s[4:5], 0x4
	v_lshl_or_b32 v1, s6, 8, v0
	v_lshrrev_b32_e32 v2, 6, v1
	s_waitcnt lgkmcnt(0)
	v_cmp_gt_i32_e32 vcc, s17, v2
	s_and_saveexec_b64 s[0:1], vcc
	s_cbranch_execz .LBB214_16
; %bb.6:
	s_load_dword s0, s[4:5], 0x50
	s_load_dwordx2 s[6:7], s[4:5], 0x40
	s_load_dwordx8 s[8:15], s[4:5], 0x18
	v_and_b32_e32 v0, 63, v0
	v_subrev_co_u32_e32 v10, vcc, s20, v0
	s_waitcnt lgkmcnt(0)
	s_lshl_b32 s21, s0, 2
	v_subb_co_u32_e64 v11, s[0:1], 0, 0, vcc
	s_ashr_i32 s1, s20, 31
	s_mov_b32 s0, s20
	s_lshl_b64 s[0:1], s[0:1], 1
	s_sub_u32 s23, s14, s0
	s_mov_b32 s2, 0
	s_subb_u32 s3, s15, s1
	v_cmp_eq_u32_e64 s[0:1], 63, v0
	v_cmp_neq_f32_e64 s[4:5], s22, 0
	s_mov_b64 s[14:15], 0
	v_mov_b32_e32 v12, s19
	v_mov_b32_e32 v13, s9
	;; [unrolled: 1-line block ×4, first 2 shown]
	s_branch .LBB214_9
.LBB214_7:                              ;   in Loop: Header=BB214_9 Depth=1
	global_store_dword v[0:1], v4, off
.LBB214_8:                              ;   in Loop: Header=BB214_9 Depth=1
	s_or_b64 exec, exec, s[24:25]
	v_add_u32_e32 v2, s21, v2
	v_cmp_le_i32_e32 vcc, s17, v2
	s_or_b64 s[14:15], vcc, s[14:15]
	s_andn2_b64 exec, exec, s[14:15]
	s_cbranch_execz .LBB214_16
.LBB214_9:                              ; =>This Loop Header: Depth=1
                                        ;     Child Loop BB214_11 Depth 2
	v_ashrrev_i32_e32 v3, 31, v2
	v_lshlrev_b64 v[0:1], 3, v[2:3]
	v_add_co_u32_e32 v4, vcc, s8, v0
	v_addc_co_u32_e32 v5, vcc, v13, v1, vcc
	global_load_dwordx2 v[4:5], v[4:5], off
	v_add_co_u32_e32 v0, vcc, s18, v0
	v_addc_co_u32_e32 v1, vcc, v12, v1, vcc
	global_load_dwordx2 v[6:7], v[0:1], off
	v_mov_b32_e32 v16, 0
	s_waitcnt vmcnt(1)
	v_subrev_co_u32_e32 v0, vcc, s20, v4
	v_subb_co_u32_e32 v1, vcc, v5, v14, vcc
	s_waitcnt vmcnt(0)
	v_add_co_u32_e32 v4, vcc, v6, v10
	v_addc_co_u32_e32 v5, vcc, v7, v11, vcc
	v_cmp_lt_i64_e32 vcc, v[4:5], v[0:1]
	s_and_saveexec_b64 s[24:25], vcc
	s_cbranch_execz .LBB214_13
; %bb.10:                               ;   in Loop: Header=BB214_9 Depth=1
	v_lshlrev_b64 v[6:7], 1, v[4:5]
	v_mov_b32_e32 v8, s13
	v_add_co_u32_e32 v6, vcc, s12, v6
	v_addc_co_u32_e32 v7, vcc, v8, v7, vcc
	v_lshlrev_b64 v[8:9], 2, v[4:5]
	v_mov_b32_e32 v16, s11
	v_add_co_u32_e32 v8, vcc, s10, v8
	v_addc_co_u32_e32 v9, vcc, v16, v9, vcc
	s_mov_b64 s[26:27], 0
	v_mov_b32_e32 v16, 0
.LBB214_11:                             ;   Parent Loop BB214_9 Depth=1
                                        ; =>  This Inner Loop Header: Depth=2
	global_load_dword v18, v[8:9], off
	global_load_ushort v17, v[6:7], off
	s_waitcnt vmcnt(1)
	v_ashrrev_i32_e32 v19, 31, v18
	v_lshlrev_b64 v[18:19], 1, v[18:19]
	v_add_co_u32_e32 v18, vcc, s23, v18
	v_addc_co_u32_e32 v19, vcc, v15, v19, vcc
	global_load_ushort v18, v[18:19], off
	v_add_co_u32_e32 v4, vcc, 64, v4
	s_waitcnt vmcnt(1)
	v_cvt_f32_f16_e32 v17, v17
	v_addc_co_u32_e32 v5, vcc, 0, v5, vcc
	v_add_co_u32_e32 v6, vcc, 0x80, v6
	v_addc_co_u32_e32 v7, vcc, 0, v7, vcc
	v_add_co_u32_e32 v8, vcc, 0x100, v8
	v_cmp_ge_i64_e64 s[2:3], v[4:5], v[0:1]
	v_mul_f32_e32 v17, s16, v17
	v_addc_co_u32_e32 v9, vcc, 0, v9, vcc
	s_or_b64 s[26:27], s[2:3], s[26:27]
	s_waitcnt vmcnt(0)
	v_fma_mix_f32 v16, v17, v18, v16 op_sel_hi:[0,1,0]
	s_andn2_b64 exec, exec, s[26:27]
	s_cbranch_execnz .LBB214_11
; %bb.12:                               ;   in Loop: Header=BB214_9 Depth=1
	s_or_b64 exec, exec, s[26:27]
.LBB214_13:                             ;   in Loop: Header=BB214_9 Depth=1
	s_or_b64 exec, exec, s[24:25]
	v_mov_b32_dpp v0, v16 row_shr:1 row_mask:0xf bank_mask:0xf
	v_add_f32_e32 v0, v16, v0
	s_nop 1
	v_mov_b32_dpp v1, v0 row_shr:2 row_mask:0xf bank_mask:0xf
	v_add_f32_e32 v0, v0, v1
	s_nop 1
	v_mov_b32_dpp v1, v0 row_shr:4 row_mask:0xf bank_mask:0xe
	v_add_f32_e32 v0, v0, v1
	s_nop 1
	v_mov_b32_dpp v1, v0 row_shr:8 row_mask:0xf bank_mask:0xc
	v_add_f32_e32 v0, v0, v1
	s_nop 1
	v_mov_b32_dpp v1, v0 row_bcast:15 row_mask:0xa bank_mask:0xf
	v_add_f32_e32 v0, v0, v1
	s_nop 1
	v_mov_b32_dpp v1, v0 row_bcast:31 row_mask:0xc bank_mask:0xf
	s_and_saveexec_b64 s[24:25], s[0:1]
	s_cbranch_execz .LBB214_8
; %bb.14:                               ;   in Loop: Header=BB214_9 Depth=1
	v_add_f32_e32 v4, v0, v1
	v_lshlrev_b64 v[0:1], 2, v[2:3]
	v_mov_b32_e32 v3, s7
	v_add_co_u32_e64 v0, s[2:3], s6, v0
	s_andn2_b64 vcc, exec, s[4:5]
	v_addc_co_u32_e64 v1, s[2:3], v3, v1, s[2:3]
	s_cbranch_vccnz .LBB214_7
; %bb.15:                               ;   in Loop: Header=BB214_9 Depth=1
	global_load_dword v3, v[0:1], off
	s_waitcnt vmcnt(0)
	v_fmac_f32_e32 v4, s22, v3
	s_branch .LBB214_7
.LBB214_16:
	s_endpgm
	.section	.rodata,"a",@progbits
	.p2align	6, 0x0
	.amdhsa_kernel _ZN9rocsparseL21csrmvn_general_kernelILj256ELj64EliDF16_DF16_ffEEvbT2_NS_24const_host_device_scalarIT6_EEPKT1_S7_PKS1_PKT3_PKT4_S4_PT5_21rocsparse_index_base_b
		.amdhsa_group_segment_fixed_size 0
		.amdhsa_private_segment_fixed_size 0
		.amdhsa_kernarg_size 336
		.amdhsa_user_sgpr_count 6
		.amdhsa_user_sgpr_private_segment_buffer 1
		.amdhsa_user_sgpr_dispatch_ptr 0
		.amdhsa_user_sgpr_queue_ptr 0
		.amdhsa_user_sgpr_kernarg_segment_ptr 1
		.amdhsa_user_sgpr_dispatch_id 0
		.amdhsa_user_sgpr_flat_scratch_init 0
		.amdhsa_user_sgpr_kernarg_preload_length 0
		.amdhsa_user_sgpr_kernarg_preload_offset 0
		.amdhsa_user_sgpr_private_segment_size 0
		.amdhsa_uses_dynamic_stack 0
		.amdhsa_system_sgpr_private_segment_wavefront_offset 0
		.amdhsa_system_sgpr_workgroup_id_x 1
		.amdhsa_system_sgpr_workgroup_id_y 0
		.amdhsa_system_sgpr_workgroup_id_z 0
		.amdhsa_system_sgpr_workgroup_info 0
		.amdhsa_system_vgpr_workitem_id 0
		.amdhsa_next_free_vgpr 20
		.amdhsa_next_free_sgpr 28
		.amdhsa_accum_offset 20
		.amdhsa_reserve_vcc 1
		.amdhsa_reserve_flat_scratch 0
		.amdhsa_float_round_mode_32 0
		.amdhsa_float_round_mode_16_64 0
		.amdhsa_float_denorm_mode_32 3
		.amdhsa_float_denorm_mode_16_64 3
		.amdhsa_dx10_clamp 1
		.amdhsa_ieee_mode 1
		.amdhsa_fp16_overflow 0
		.amdhsa_tg_split 0
		.amdhsa_exception_fp_ieee_invalid_op 0
		.amdhsa_exception_fp_denorm_src 0
		.amdhsa_exception_fp_ieee_div_zero 0
		.amdhsa_exception_fp_ieee_overflow 0
		.amdhsa_exception_fp_ieee_underflow 0
		.amdhsa_exception_fp_ieee_inexact 0
		.amdhsa_exception_int_div_zero 0
	.end_amdhsa_kernel
	.section	.text._ZN9rocsparseL21csrmvn_general_kernelILj256ELj64EliDF16_DF16_ffEEvbT2_NS_24const_host_device_scalarIT6_EEPKT1_S7_PKS1_PKT3_PKT4_S4_PT5_21rocsparse_index_base_b,"axG",@progbits,_ZN9rocsparseL21csrmvn_general_kernelILj256ELj64EliDF16_DF16_ffEEvbT2_NS_24const_host_device_scalarIT6_EEPKT1_S7_PKS1_PKT3_PKT4_S4_PT5_21rocsparse_index_base_b,comdat
.Lfunc_end214:
	.size	_ZN9rocsparseL21csrmvn_general_kernelILj256ELj64EliDF16_DF16_ffEEvbT2_NS_24const_host_device_scalarIT6_EEPKT1_S7_PKS1_PKT3_PKT4_S4_PT5_21rocsparse_index_base_b, .Lfunc_end214-_ZN9rocsparseL21csrmvn_general_kernelILj256ELj64EliDF16_DF16_ffEEvbT2_NS_24const_host_device_scalarIT6_EEPKT1_S7_PKS1_PKT3_PKT4_S4_PT5_21rocsparse_index_base_b
                                        ; -- End function
	.section	.AMDGPU.csdata,"",@progbits
; Kernel info:
; codeLenInByte = 708
; NumSgprs: 32
; NumVgprs: 20
; NumAgprs: 0
; TotalNumVgprs: 20
; ScratchSize: 0
; MemoryBound: 0
; FloatMode: 240
; IeeeMode: 1
; LDSByteSize: 0 bytes/workgroup (compile time only)
; SGPRBlocks: 3
; VGPRBlocks: 2
; NumSGPRsForWavesPerEU: 32
; NumVGPRsForWavesPerEU: 20
; AccumOffset: 20
; Occupancy: 8
; WaveLimiterHint : 1
; COMPUTE_PGM_RSRC2:SCRATCH_EN: 0
; COMPUTE_PGM_RSRC2:USER_SGPR: 6
; COMPUTE_PGM_RSRC2:TRAP_HANDLER: 0
; COMPUTE_PGM_RSRC2:TGID_X_EN: 1
; COMPUTE_PGM_RSRC2:TGID_Y_EN: 0
; COMPUTE_PGM_RSRC2:TGID_Z_EN: 0
; COMPUTE_PGM_RSRC2:TIDIG_COMP_CNT: 0
; COMPUTE_PGM_RSRC3_GFX90A:ACCUM_OFFSET: 4
; COMPUTE_PGM_RSRC3_GFX90A:TG_SPLIT: 0
	.section	.text._ZN9rocsparseL21csrmvt_general_kernelILj256ELj4EliDF16_DF16_ffEEvbbT2_NS_24const_host_device_scalarIT6_EEPKT1_S7_PKS1_PKT3_PKT4_PT5_21rocsparse_index_base_b,"axG",@progbits,_ZN9rocsparseL21csrmvt_general_kernelILj256ELj4EliDF16_DF16_ffEEvbbT2_NS_24const_host_device_scalarIT6_EEPKT1_S7_PKS1_PKT3_PKT4_PT5_21rocsparse_index_base_b,comdat
	.globl	_ZN9rocsparseL21csrmvt_general_kernelILj256ELj4EliDF16_DF16_ffEEvbbT2_NS_24const_host_device_scalarIT6_EEPKT1_S7_PKS1_PKT3_PKT4_PT5_21rocsparse_index_base_b ; -- Begin function _ZN9rocsparseL21csrmvt_general_kernelILj256ELj4EliDF16_DF16_ffEEvbbT2_NS_24const_host_device_scalarIT6_EEPKT1_S7_PKS1_PKT3_PKT4_PT5_21rocsparse_index_base_b
	.p2align	8
	.type	_ZN9rocsparseL21csrmvt_general_kernelILj256ELj4EliDF16_DF16_ffEEvbbT2_NS_24const_host_device_scalarIT6_EEPKT1_S7_PKS1_PKT3_PKT4_PT5_21rocsparse_index_base_b,@function
_ZN9rocsparseL21csrmvt_general_kernelILj256ELj4EliDF16_DF16_ffEEvbbT2_NS_24const_host_device_scalarIT6_EEPKT1_S7_PKS1_PKT3_PKT4_PT5_21rocsparse_index_base_b: ; @_ZN9rocsparseL21csrmvt_general_kernelILj256ELj4EliDF16_DF16_ffEEvbbT2_NS_24const_host_device_scalarIT6_EEPKT1_S7_PKS1_PKT3_PKT4_PT5_21rocsparse_index_base_b
; %bb.0:
	s_load_dwordx2 s[2:3], s[4:5], 0x40
	s_load_dwordx4 s[16:19], s[4:5], 0x8
	s_waitcnt lgkmcnt(0)
	s_bitcmp1_b32 s3, 0
	s_cselect_b64 s[0:1], -1, 0
	s_and_b64 vcc, exec, s[0:1]
	s_cbranch_vccnz .LBB215_2
; %bb.1:
	s_load_dword s16, s[16:17], 0x0
.LBB215_2:
	s_waitcnt lgkmcnt(0)
	v_cmp_eq_f32_e64 s[0:1], s16, 0
	s_and_b64 vcc, exec, s[0:1]
	s_cbranch_vccnz .LBB215_23
; %bb.3:
	s_load_dwordx2 s[20:21], s[4:5], 0x0
	s_load_dword s0, s[4:5], 0x48
	s_load_dwordx2 s[22:23], s[4:5], 0x38
	s_load_dwordx8 s[8:15], s[4:5], 0x18
	v_and_b32_e32 v1, 3, v0
	v_lshl_or_b32 v0, s6, 8, v0
	s_waitcnt lgkmcnt(0)
	s_and_b32 s1, s20, 1
	s_lshl_b32 s3, s0, 6
	v_lshrrev_b32_e32 v0, 2, v0
	s_cmp_eq_u32 s1, 0
	v_cmp_gt_i32_e64 s[0:1], s21, v0
	s_mov_b64 s[4:5], -1
	s_cbranch_scc0 .LBB215_13
; %bb.4:
	s_and_saveexec_b64 s[4:5], s[0:1]
	s_cbranch_execz .LBB215_12
; %bb.5:
	v_subrev_co_u32_e32 v12, vcc, s2, v1
	s_mov_b32 s17, 0
	v_subb_co_u32_e64 v13, s[6:7], 0, 0, vcc
	s_mov_b64 s[6:7], 0
	v_mov_b32_e32 v14, s19
	v_mov_b32_e32 v15, s9
	;; [unrolled: 1-line block ×4, first 2 shown]
	s_branch .LBB215_7
.LBB215_6:                              ;   in Loop: Header=BB215_7 Depth=1
	s_or_b64 exec, exec, s[24:25]
	v_add_u32_e32 v2, s3, v2
	v_cmp_le_i32_e32 vcc, s21, v2
	s_or_b64 s[6:7], vcc, s[6:7]
	s_andn2_b64 exec, exec, s[6:7]
	s_cbranch_execz .LBB215_12
.LBB215_7:                              ; =>This Loop Header: Depth=1
                                        ;     Child Loop BB215_9 Depth 2
                                        ;       Child Loop BB215_10 Depth 3
	v_ashrrev_i32_e32 v3, 31, v2
	v_lshlrev_b64 v[4:5], 3, v[2:3]
	v_add_co_u32_e32 v6, vcc, s8, v4
	v_addc_co_u32_e32 v7, vcc, v15, v5, vcc
	global_load_dwordx2 v[6:7], v[6:7], off
	v_add_co_u32_e32 v4, vcc, s18, v4
	v_addc_co_u32_e32 v5, vcc, v14, v5, vcc
	global_load_dwordx2 v[8:9], v[4:5], off
	s_waitcnt vmcnt(1)
	v_subrev_co_u32_e32 v4, vcc, s2, v6
	v_subb_co_u32_e32 v5, vcc, v7, v16, vcc
	s_waitcnt vmcnt(0)
	v_add_co_u32_e32 v6, vcc, v8, v12
	v_addc_co_u32_e32 v7, vcc, v9, v13, vcc
	v_cmp_lt_i64_e32 vcc, v[6:7], v[4:5]
	s_and_saveexec_b64 s[24:25], vcc
	s_cbranch_execz .LBB215_6
; %bb.8:                                ;   in Loop: Header=BB215_7 Depth=1
	v_lshlrev_b64 v[8:9], 1, v[2:3]
	v_mov_b32_e32 v3, s15
	v_add_co_u32_e32 v8, vcc, s14, v8
	v_addc_co_u32_e32 v9, vcc, v3, v9, vcc
	global_load_ushort v3, v[8:9], off
	s_mov_b64 s[26:27], 0
	s_waitcnt vmcnt(0)
	v_cvt_f32_f16_e32 v3, v3
	v_mul_f32_e32 v3, s16, v3
.LBB215_9:                              ;   Parent Loop BB215_7 Depth=1
                                        ; =>  This Loop Header: Depth=2
                                        ;       Child Loop BB215_10 Depth 3
	v_lshlrev_b64 v[8:9], 2, v[6:7]
	v_mov_b32_e32 v10, s11
	v_add_co_u32_e32 v8, vcc, s10, v8
	v_addc_co_u32_e32 v9, vcc, v10, v9, vcc
	global_load_dword v10, v[8:9], off
	v_lshlrev_b64 v[8:9], 1, v[6:7]
	v_mov_b32_e32 v11, s13
	v_add_co_u32_e32 v8, vcc, s12, v8
	v_addc_co_u32_e32 v9, vcc, v11, v9, vcc
	global_load_ushort v18, v[8:9], off
	v_mov_b32_e32 v17, s23
	s_mov_b64 s[28:29], 0
	s_waitcnt vmcnt(1)
	v_subrev_u32_e32 v8, s2, v10
	v_ashrrev_i32_e32 v9, 31, v8
	v_lshlrev_b64 v[8:9], 2, v[8:9]
	v_add_co_u32_e32 v8, vcc, s22, v8
	v_addc_co_u32_e32 v9, vcc, v17, v9, vcc
	global_load_dword v11, v[8:9], off
	s_waitcnt vmcnt(1)
	v_cvt_f32_f16_e32 v10, v18
	v_mul_f32_e32 v17, v3, v10
.LBB215_10:                             ;   Parent Loop BB215_7 Depth=1
                                        ;     Parent Loop BB215_9 Depth=2
                                        ; =>    This Inner Loop Header: Depth=3
	s_waitcnt vmcnt(0)
	v_add_f32_e32 v10, v11, v17
	global_atomic_cmpswap v10, v[8:9], v[10:11], off glc
	s_waitcnt vmcnt(0)
	v_cmp_eq_u32_e32 vcc, v10, v11
	s_or_b64 s[28:29], vcc, s[28:29]
	v_mov_b32_e32 v11, v10
	s_andn2_b64 exec, exec, s[28:29]
	s_cbranch_execnz .LBB215_10
; %bb.11:                               ;   in Loop: Header=BB215_9 Depth=2
	s_or_b64 exec, exec, s[28:29]
	v_add_co_u32_e32 v6, vcc, 4, v6
	v_addc_co_u32_e32 v7, vcc, 0, v7, vcc
	v_cmp_ge_i64_e32 vcc, v[6:7], v[4:5]
	s_or_b64 s[26:27], vcc, s[26:27]
	s_andn2_b64 exec, exec, s[26:27]
	s_cbranch_execnz .LBB215_9
	s_branch .LBB215_6
.LBB215_12:
	s_or_b64 exec, exec, s[4:5]
	s_mov_b64 s[4:5], 0
.LBB215_13:
	s_andn2_b64 vcc, exec, s[4:5]
	s_cbranch_vccnz .LBB215_23
; %bb.14:
	s_and_saveexec_b64 s[4:5], s[0:1]
	s_cbranch_execz .LBB215_23
; %bb.15:
	v_subrev_co_u32_e32 v10, vcc, s2, v1
	s_mov_b32 s4, 0
	v_subb_co_u32_e64 v11, s[0:1], 0, 0, vcc
	s_mov_b64 s[0:1], 0
	v_mov_b32_e32 v12, s19
	v_mov_b32_e32 v13, s9
	;; [unrolled: 1-line block ×3, first 2 shown]
	s_branch .LBB215_17
.LBB215_16:                             ;   in Loop: Header=BB215_17 Depth=1
	s_or_b64 exec, exec, s[4:5]
	v_add_u32_e32 v0, s3, v0
	v_cmp_le_i32_e32 vcc, s21, v0
	s_or_b64 s[0:1], vcc, s[0:1]
	s_andn2_b64 exec, exec, s[0:1]
	s_cbranch_execz .LBB215_23
.LBB215_17:                             ; =>This Loop Header: Depth=1
                                        ;     Child Loop BB215_20 Depth 2
                                        ;       Child Loop BB215_22 Depth 3
	v_ashrrev_i32_e32 v1, 31, v0
	v_lshlrev_b64 v[2:3], 3, v[0:1]
	v_add_co_u32_e32 v4, vcc, s8, v2
	v_addc_co_u32_e32 v5, vcc, v13, v3, vcc
	global_load_dwordx2 v[4:5], v[4:5], off
	v_add_co_u32_e32 v2, vcc, s18, v2
	v_addc_co_u32_e32 v3, vcc, v12, v3, vcc
	global_load_dwordx2 v[6:7], v[2:3], off
	s_waitcnt vmcnt(1)
	v_subrev_co_u32_e32 v2, vcc, s2, v4
	v_subb_co_u32_e32 v3, vcc, v5, v14, vcc
	s_waitcnt vmcnt(0)
	v_add_co_u32_e32 v4, vcc, v6, v10
	v_addc_co_u32_e32 v5, vcc, v7, v11, vcc
	v_cmp_lt_i64_e32 vcc, v[4:5], v[2:3]
	s_and_saveexec_b64 s[4:5], vcc
	s_cbranch_execz .LBB215_16
; %bb.18:                               ;   in Loop: Header=BB215_17 Depth=1
	v_lshlrev_b64 v[6:7], 1, v[0:1]
	v_mov_b32_e32 v1, s15
	v_add_co_u32_e32 v6, vcc, s14, v6
	v_addc_co_u32_e32 v7, vcc, v1, v7, vcc
	global_load_ushort v1, v[6:7], off
	s_mov_b64 s[6:7], 0
	s_waitcnt vmcnt(0)
	v_cvt_f32_f16_e32 v1, v1
	v_mul_f32_e32 v1, s16, v1
	s_branch .LBB215_20
.LBB215_19:                             ;   in Loop: Header=BB215_20 Depth=2
	s_or_b64 exec, exec, s[24:25]
	v_add_co_u32_e32 v4, vcc, 4, v4
	v_addc_co_u32_e32 v5, vcc, 0, v5, vcc
	v_cmp_ge_i64_e32 vcc, v[4:5], v[2:3]
	s_or_b64 s[6:7], vcc, s[6:7]
	s_andn2_b64 exec, exec, s[6:7]
	s_cbranch_execz .LBB215_16
.LBB215_20:                             ;   Parent Loop BB215_17 Depth=1
                                        ; =>  This Loop Header: Depth=2
                                        ;       Child Loop BB215_22 Depth 3
	v_lshlrev_b64 v[6:7], 2, v[4:5]
	v_mov_b32_e32 v8, s11
	v_add_co_u32_e32 v6, vcc, s10, v6
	v_addc_co_u32_e32 v7, vcc, v8, v7, vcc
	global_load_dword v6, v[6:7], off
	s_waitcnt vmcnt(0)
	v_subrev_u32_e32 v6, s2, v6
	v_cmp_ne_u32_e32 vcc, v6, v0
	s_and_saveexec_b64 s[24:25], vcc
	s_cbranch_execz .LBB215_19
; %bb.21:                               ;   in Loop: Header=BB215_20 Depth=2
	v_lshlrev_b64 v[8:9], 1, v[4:5]
	v_mov_b32_e32 v7, s13
	v_add_co_u32_e32 v8, vcc, s12, v8
	v_addc_co_u32_e32 v9, vcc, v7, v9, vcc
	global_load_ushort v8, v[8:9], off
	v_ashrrev_i32_e32 v7, 31, v6
	v_lshlrev_b64 v[6:7], 2, v[6:7]
	v_mov_b32_e32 v9, s23
	v_add_co_u32_e32 v6, vcc, s22, v6
	v_addc_co_u32_e32 v7, vcc, v9, v7, vcc
	global_load_dword v9, v[6:7], off
	s_mov_b64 s[26:27], 0
	s_waitcnt vmcnt(1)
	v_cvt_f32_f16_e32 v8, v8
	v_mul_f32_e32 v15, v1, v8
.LBB215_22:                             ;   Parent Loop BB215_17 Depth=1
                                        ;     Parent Loop BB215_20 Depth=2
                                        ; =>    This Inner Loop Header: Depth=3
	s_waitcnt vmcnt(0)
	v_add_f32_e32 v8, v9, v15
	global_atomic_cmpswap v8, v[6:7], v[8:9], off glc
	s_waitcnt vmcnt(0)
	v_cmp_eq_u32_e32 vcc, v8, v9
	s_or_b64 s[26:27], vcc, s[26:27]
	v_mov_b32_e32 v9, v8
	s_andn2_b64 exec, exec, s[26:27]
	s_cbranch_execnz .LBB215_22
	s_branch .LBB215_19
.LBB215_23:
	s_endpgm
	.section	.rodata,"a",@progbits
	.p2align	6, 0x0
	.amdhsa_kernel _ZN9rocsparseL21csrmvt_general_kernelILj256ELj4EliDF16_DF16_ffEEvbbT2_NS_24const_host_device_scalarIT6_EEPKT1_S7_PKS1_PKT3_PKT4_PT5_21rocsparse_index_base_b
		.amdhsa_group_segment_fixed_size 0
		.amdhsa_private_segment_fixed_size 0
		.amdhsa_kernarg_size 328
		.amdhsa_user_sgpr_count 6
		.amdhsa_user_sgpr_private_segment_buffer 1
		.amdhsa_user_sgpr_dispatch_ptr 0
		.amdhsa_user_sgpr_queue_ptr 0
		.amdhsa_user_sgpr_kernarg_segment_ptr 1
		.amdhsa_user_sgpr_dispatch_id 0
		.amdhsa_user_sgpr_flat_scratch_init 0
		.amdhsa_user_sgpr_kernarg_preload_length 0
		.amdhsa_user_sgpr_kernarg_preload_offset 0
		.amdhsa_user_sgpr_private_segment_size 0
		.amdhsa_uses_dynamic_stack 0
		.amdhsa_system_sgpr_private_segment_wavefront_offset 0
		.amdhsa_system_sgpr_workgroup_id_x 1
		.amdhsa_system_sgpr_workgroup_id_y 0
		.amdhsa_system_sgpr_workgroup_id_z 0
		.amdhsa_system_sgpr_workgroup_info 0
		.amdhsa_system_vgpr_workitem_id 0
		.amdhsa_next_free_vgpr 19
		.amdhsa_next_free_sgpr 30
		.amdhsa_accum_offset 20
		.amdhsa_reserve_vcc 1
		.amdhsa_reserve_flat_scratch 0
		.amdhsa_float_round_mode_32 0
		.amdhsa_float_round_mode_16_64 0
		.amdhsa_float_denorm_mode_32 3
		.amdhsa_float_denorm_mode_16_64 3
		.amdhsa_dx10_clamp 1
		.amdhsa_ieee_mode 1
		.amdhsa_fp16_overflow 0
		.amdhsa_tg_split 0
		.amdhsa_exception_fp_ieee_invalid_op 0
		.amdhsa_exception_fp_denorm_src 0
		.amdhsa_exception_fp_ieee_div_zero 0
		.amdhsa_exception_fp_ieee_overflow 0
		.amdhsa_exception_fp_ieee_underflow 0
		.amdhsa_exception_fp_ieee_inexact 0
		.amdhsa_exception_int_div_zero 0
	.end_amdhsa_kernel
	.section	.text._ZN9rocsparseL21csrmvt_general_kernelILj256ELj4EliDF16_DF16_ffEEvbbT2_NS_24const_host_device_scalarIT6_EEPKT1_S7_PKS1_PKT3_PKT4_PT5_21rocsparse_index_base_b,"axG",@progbits,_ZN9rocsparseL21csrmvt_general_kernelILj256ELj4EliDF16_DF16_ffEEvbbT2_NS_24const_host_device_scalarIT6_EEPKT1_S7_PKS1_PKT3_PKT4_PT5_21rocsparse_index_base_b,comdat
.Lfunc_end215:
	.size	_ZN9rocsparseL21csrmvt_general_kernelILj256ELj4EliDF16_DF16_ffEEvbbT2_NS_24const_host_device_scalarIT6_EEPKT1_S7_PKS1_PKT3_PKT4_PT5_21rocsparse_index_base_b, .Lfunc_end215-_ZN9rocsparseL21csrmvt_general_kernelILj256ELj4EliDF16_DF16_ffEEvbbT2_NS_24const_host_device_scalarIT6_EEPKT1_S7_PKS1_PKT3_PKT4_PT5_21rocsparse_index_base_b
                                        ; -- End function
	.section	.AMDGPU.csdata,"",@progbits
; Kernel info:
; codeLenInByte = 936
; NumSgprs: 34
; NumVgprs: 19
; NumAgprs: 0
; TotalNumVgprs: 19
; ScratchSize: 0
; MemoryBound: 0
; FloatMode: 240
; IeeeMode: 1
; LDSByteSize: 0 bytes/workgroup (compile time only)
; SGPRBlocks: 4
; VGPRBlocks: 2
; NumSGPRsForWavesPerEU: 34
; NumVGPRsForWavesPerEU: 19
; AccumOffset: 20
; Occupancy: 8
; WaveLimiterHint : 1
; COMPUTE_PGM_RSRC2:SCRATCH_EN: 0
; COMPUTE_PGM_RSRC2:USER_SGPR: 6
; COMPUTE_PGM_RSRC2:TRAP_HANDLER: 0
; COMPUTE_PGM_RSRC2:TGID_X_EN: 1
; COMPUTE_PGM_RSRC2:TGID_Y_EN: 0
; COMPUTE_PGM_RSRC2:TGID_Z_EN: 0
; COMPUTE_PGM_RSRC2:TIDIG_COMP_CNT: 0
; COMPUTE_PGM_RSRC3_GFX90A:ACCUM_OFFSET: 4
; COMPUTE_PGM_RSRC3_GFX90A:TG_SPLIT: 0
	.section	.text._ZN9rocsparseL21csrmvt_general_kernelILj256ELj8EliDF16_DF16_ffEEvbbT2_NS_24const_host_device_scalarIT6_EEPKT1_S7_PKS1_PKT3_PKT4_PT5_21rocsparse_index_base_b,"axG",@progbits,_ZN9rocsparseL21csrmvt_general_kernelILj256ELj8EliDF16_DF16_ffEEvbbT2_NS_24const_host_device_scalarIT6_EEPKT1_S7_PKS1_PKT3_PKT4_PT5_21rocsparse_index_base_b,comdat
	.globl	_ZN9rocsparseL21csrmvt_general_kernelILj256ELj8EliDF16_DF16_ffEEvbbT2_NS_24const_host_device_scalarIT6_EEPKT1_S7_PKS1_PKT3_PKT4_PT5_21rocsparse_index_base_b ; -- Begin function _ZN9rocsparseL21csrmvt_general_kernelILj256ELj8EliDF16_DF16_ffEEvbbT2_NS_24const_host_device_scalarIT6_EEPKT1_S7_PKS1_PKT3_PKT4_PT5_21rocsparse_index_base_b
	.p2align	8
	.type	_ZN9rocsparseL21csrmvt_general_kernelILj256ELj8EliDF16_DF16_ffEEvbbT2_NS_24const_host_device_scalarIT6_EEPKT1_S7_PKS1_PKT3_PKT4_PT5_21rocsparse_index_base_b,@function
_ZN9rocsparseL21csrmvt_general_kernelILj256ELj8EliDF16_DF16_ffEEvbbT2_NS_24const_host_device_scalarIT6_EEPKT1_S7_PKS1_PKT3_PKT4_PT5_21rocsparse_index_base_b: ; @_ZN9rocsparseL21csrmvt_general_kernelILj256ELj8EliDF16_DF16_ffEEvbbT2_NS_24const_host_device_scalarIT6_EEPKT1_S7_PKS1_PKT3_PKT4_PT5_21rocsparse_index_base_b
; %bb.0:
	s_load_dwordx2 s[2:3], s[4:5], 0x40
	s_load_dwordx4 s[16:19], s[4:5], 0x8
	s_waitcnt lgkmcnt(0)
	s_bitcmp1_b32 s3, 0
	s_cselect_b64 s[0:1], -1, 0
	s_and_b64 vcc, exec, s[0:1]
	s_cbranch_vccnz .LBB216_2
; %bb.1:
	s_load_dword s16, s[16:17], 0x0
.LBB216_2:
	s_waitcnt lgkmcnt(0)
	v_cmp_eq_f32_e64 s[0:1], s16, 0
	s_and_b64 vcc, exec, s[0:1]
	s_cbranch_vccnz .LBB216_23
; %bb.3:
	s_load_dwordx2 s[20:21], s[4:5], 0x0
	s_load_dword s0, s[4:5], 0x48
	s_load_dwordx2 s[22:23], s[4:5], 0x38
	s_load_dwordx8 s[8:15], s[4:5], 0x18
	v_and_b32_e32 v1, 7, v0
	v_lshl_or_b32 v0, s6, 8, v0
	s_waitcnt lgkmcnt(0)
	s_and_b32 s1, s20, 1
	s_lshl_b32 s3, s0, 5
	v_lshrrev_b32_e32 v0, 3, v0
	s_cmp_eq_u32 s1, 0
	v_cmp_gt_i32_e64 s[0:1], s21, v0
	s_mov_b64 s[4:5], -1
	s_cbranch_scc0 .LBB216_13
; %bb.4:
	s_and_saveexec_b64 s[4:5], s[0:1]
	s_cbranch_execz .LBB216_12
; %bb.5:
	v_subrev_co_u32_e32 v12, vcc, s2, v1
	s_mov_b32 s17, 0
	v_subb_co_u32_e64 v13, s[6:7], 0, 0, vcc
	s_mov_b64 s[6:7], 0
	v_mov_b32_e32 v14, s19
	v_mov_b32_e32 v15, s9
	;; [unrolled: 1-line block ×4, first 2 shown]
	s_branch .LBB216_7
.LBB216_6:                              ;   in Loop: Header=BB216_7 Depth=1
	s_or_b64 exec, exec, s[24:25]
	v_add_u32_e32 v2, s3, v2
	v_cmp_le_i32_e32 vcc, s21, v2
	s_or_b64 s[6:7], vcc, s[6:7]
	s_andn2_b64 exec, exec, s[6:7]
	s_cbranch_execz .LBB216_12
.LBB216_7:                              ; =>This Loop Header: Depth=1
                                        ;     Child Loop BB216_9 Depth 2
                                        ;       Child Loop BB216_10 Depth 3
	v_ashrrev_i32_e32 v3, 31, v2
	v_lshlrev_b64 v[4:5], 3, v[2:3]
	v_add_co_u32_e32 v6, vcc, s8, v4
	v_addc_co_u32_e32 v7, vcc, v15, v5, vcc
	global_load_dwordx2 v[6:7], v[6:7], off
	v_add_co_u32_e32 v4, vcc, s18, v4
	v_addc_co_u32_e32 v5, vcc, v14, v5, vcc
	global_load_dwordx2 v[8:9], v[4:5], off
	s_waitcnt vmcnt(1)
	v_subrev_co_u32_e32 v4, vcc, s2, v6
	v_subb_co_u32_e32 v5, vcc, v7, v16, vcc
	s_waitcnt vmcnt(0)
	v_add_co_u32_e32 v6, vcc, v8, v12
	v_addc_co_u32_e32 v7, vcc, v9, v13, vcc
	v_cmp_lt_i64_e32 vcc, v[6:7], v[4:5]
	s_and_saveexec_b64 s[24:25], vcc
	s_cbranch_execz .LBB216_6
; %bb.8:                                ;   in Loop: Header=BB216_7 Depth=1
	v_lshlrev_b64 v[8:9], 1, v[2:3]
	v_mov_b32_e32 v3, s15
	v_add_co_u32_e32 v8, vcc, s14, v8
	v_addc_co_u32_e32 v9, vcc, v3, v9, vcc
	global_load_ushort v3, v[8:9], off
	s_mov_b64 s[26:27], 0
	s_waitcnt vmcnt(0)
	v_cvt_f32_f16_e32 v3, v3
	v_mul_f32_e32 v3, s16, v3
.LBB216_9:                              ;   Parent Loop BB216_7 Depth=1
                                        ; =>  This Loop Header: Depth=2
                                        ;       Child Loop BB216_10 Depth 3
	v_lshlrev_b64 v[8:9], 2, v[6:7]
	v_mov_b32_e32 v10, s11
	v_add_co_u32_e32 v8, vcc, s10, v8
	v_addc_co_u32_e32 v9, vcc, v10, v9, vcc
	global_load_dword v10, v[8:9], off
	v_lshlrev_b64 v[8:9], 1, v[6:7]
	v_mov_b32_e32 v11, s13
	v_add_co_u32_e32 v8, vcc, s12, v8
	v_addc_co_u32_e32 v9, vcc, v11, v9, vcc
	global_load_ushort v18, v[8:9], off
	v_mov_b32_e32 v17, s23
	s_mov_b64 s[28:29], 0
	s_waitcnt vmcnt(1)
	v_subrev_u32_e32 v8, s2, v10
	v_ashrrev_i32_e32 v9, 31, v8
	v_lshlrev_b64 v[8:9], 2, v[8:9]
	v_add_co_u32_e32 v8, vcc, s22, v8
	v_addc_co_u32_e32 v9, vcc, v17, v9, vcc
	global_load_dword v11, v[8:9], off
	s_waitcnt vmcnt(1)
	v_cvt_f32_f16_e32 v10, v18
	v_mul_f32_e32 v17, v3, v10
.LBB216_10:                             ;   Parent Loop BB216_7 Depth=1
                                        ;     Parent Loop BB216_9 Depth=2
                                        ; =>    This Inner Loop Header: Depth=3
	s_waitcnt vmcnt(0)
	v_add_f32_e32 v10, v11, v17
	global_atomic_cmpswap v10, v[8:9], v[10:11], off glc
	s_waitcnt vmcnt(0)
	v_cmp_eq_u32_e32 vcc, v10, v11
	s_or_b64 s[28:29], vcc, s[28:29]
	v_mov_b32_e32 v11, v10
	s_andn2_b64 exec, exec, s[28:29]
	s_cbranch_execnz .LBB216_10
; %bb.11:                               ;   in Loop: Header=BB216_9 Depth=2
	s_or_b64 exec, exec, s[28:29]
	v_add_co_u32_e32 v6, vcc, 8, v6
	v_addc_co_u32_e32 v7, vcc, 0, v7, vcc
	v_cmp_ge_i64_e32 vcc, v[6:7], v[4:5]
	s_or_b64 s[26:27], vcc, s[26:27]
	s_andn2_b64 exec, exec, s[26:27]
	s_cbranch_execnz .LBB216_9
	s_branch .LBB216_6
.LBB216_12:
	s_or_b64 exec, exec, s[4:5]
	s_mov_b64 s[4:5], 0
.LBB216_13:
	s_andn2_b64 vcc, exec, s[4:5]
	s_cbranch_vccnz .LBB216_23
; %bb.14:
	s_and_saveexec_b64 s[4:5], s[0:1]
	s_cbranch_execz .LBB216_23
; %bb.15:
	v_subrev_co_u32_e32 v10, vcc, s2, v1
	s_mov_b32 s4, 0
	v_subb_co_u32_e64 v11, s[0:1], 0, 0, vcc
	s_mov_b64 s[0:1], 0
	v_mov_b32_e32 v12, s19
	v_mov_b32_e32 v13, s9
	;; [unrolled: 1-line block ×3, first 2 shown]
	s_branch .LBB216_17
.LBB216_16:                             ;   in Loop: Header=BB216_17 Depth=1
	s_or_b64 exec, exec, s[4:5]
	v_add_u32_e32 v0, s3, v0
	v_cmp_le_i32_e32 vcc, s21, v0
	s_or_b64 s[0:1], vcc, s[0:1]
	s_andn2_b64 exec, exec, s[0:1]
	s_cbranch_execz .LBB216_23
.LBB216_17:                             ; =>This Loop Header: Depth=1
                                        ;     Child Loop BB216_20 Depth 2
                                        ;       Child Loop BB216_22 Depth 3
	v_ashrrev_i32_e32 v1, 31, v0
	v_lshlrev_b64 v[2:3], 3, v[0:1]
	v_add_co_u32_e32 v4, vcc, s8, v2
	v_addc_co_u32_e32 v5, vcc, v13, v3, vcc
	global_load_dwordx2 v[4:5], v[4:5], off
	v_add_co_u32_e32 v2, vcc, s18, v2
	v_addc_co_u32_e32 v3, vcc, v12, v3, vcc
	global_load_dwordx2 v[6:7], v[2:3], off
	s_waitcnt vmcnt(1)
	v_subrev_co_u32_e32 v2, vcc, s2, v4
	v_subb_co_u32_e32 v3, vcc, v5, v14, vcc
	s_waitcnt vmcnt(0)
	v_add_co_u32_e32 v4, vcc, v6, v10
	v_addc_co_u32_e32 v5, vcc, v7, v11, vcc
	v_cmp_lt_i64_e32 vcc, v[4:5], v[2:3]
	s_and_saveexec_b64 s[4:5], vcc
	s_cbranch_execz .LBB216_16
; %bb.18:                               ;   in Loop: Header=BB216_17 Depth=1
	v_lshlrev_b64 v[6:7], 1, v[0:1]
	v_mov_b32_e32 v1, s15
	v_add_co_u32_e32 v6, vcc, s14, v6
	v_addc_co_u32_e32 v7, vcc, v1, v7, vcc
	global_load_ushort v1, v[6:7], off
	s_mov_b64 s[6:7], 0
	s_waitcnt vmcnt(0)
	v_cvt_f32_f16_e32 v1, v1
	v_mul_f32_e32 v1, s16, v1
	s_branch .LBB216_20
.LBB216_19:                             ;   in Loop: Header=BB216_20 Depth=2
	s_or_b64 exec, exec, s[24:25]
	v_add_co_u32_e32 v4, vcc, 8, v4
	v_addc_co_u32_e32 v5, vcc, 0, v5, vcc
	v_cmp_ge_i64_e32 vcc, v[4:5], v[2:3]
	s_or_b64 s[6:7], vcc, s[6:7]
	s_andn2_b64 exec, exec, s[6:7]
	s_cbranch_execz .LBB216_16
.LBB216_20:                             ;   Parent Loop BB216_17 Depth=1
                                        ; =>  This Loop Header: Depth=2
                                        ;       Child Loop BB216_22 Depth 3
	v_lshlrev_b64 v[6:7], 2, v[4:5]
	v_mov_b32_e32 v8, s11
	v_add_co_u32_e32 v6, vcc, s10, v6
	v_addc_co_u32_e32 v7, vcc, v8, v7, vcc
	global_load_dword v6, v[6:7], off
	s_waitcnt vmcnt(0)
	v_subrev_u32_e32 v6, s2, v6
	v_cmp_ne_u32_e32 vcc, v6, v0
	s_and_saveexec_b64 s[24:25], vcc
	s_cbranch_execz .LBB216_19
; %bb.21:                               ;   in Loop: Header=BB216_20 Depth=2
	v_lshlrev_b64 v[8:9], 1, v[4:5]
	v_mov_b32_e32 v7, s13
	v_add_co_u32_e32 v8, vcc, s12, v8
	v_addc_co_u32_e32 v9, vcc, v7, v9, vcc
	global_load_ushort v8, v[8:9], off
	v_ashrrev_i32_e32 v7, 31, v6
	v_lshlrev_b64 v[6:7], 2, v[6:7]
	v_mov_b32_e32 v9, s23
	v_add_co_u32_e32 v6, vcc, s22, v6
	v_addc_co_u32_e32 v7, vcc, v9, v7, vcc
	global_load_dword v9, v[6:7], off
	s_mov_b64 s[26:27], 0
	s_waitcnt vmcnt(1)
	v_cvt_f32_f16_e32 v8, v8
	v_mul_f32_e32 v15, v1, v8
.LBB216_22:                             ;   Parent Loop BB216_17 Depth=1
                                        ;     Parent Loop BB216_20 Depth=2
                                        ; =>    This Inner Loop Header: Depth=3
	s_waitcnt vmcnt(0)
	v_add_f32_e32 v8, v9, v15
	global_atomic_cmpswap v8, v[6:7], v[8:9], off glc
	s_waitcnt vmcnt(0)
	v_cmp_eq_u32_e32 vcc, v8, v9
	s_or_b64 s[26:27], vcc, s[26:27]
	v_mov_b32_e32 v9, v8
	s_andn2_b64 exec, exec, s[26:27]
	s_cbranch_execnz .LBB216_22
	s_branch .LBB216_19
.LBB216_23:
	s_endpgm
	.section	.rodata,"a",@progbits
	.p2align	6, 0x0
	.amdhsa_kernel _ZN9rocsparseL21csrmvt_general_kernelILj256ELj8EliDF16_DF16_ffEEvbbT2_NS_24const_host_device_scalarIT6_EEPKT1_S7_PKS1_PKT3_PKT4_PT5_21rocsparse_index_base_b
		.amdhsa_group_segment_fixed_size 0
		.amdhsa_private_segment_fixed_size 0
		.amdhsa_kernarg_size 328
		.amdhsa_user_sgpr_count 6
		.amdhsa_user_sgpr_private_segment_buffer 1
		.amdhsa_user_sgpr_dispatch_ptr 0
		.amdhsa_user_sgpr_queue_ptr 0
		.amdhsa_user_sgpr_kernarg_segment_ptr 1
		.amdhsa_user_sgpr_dispatch_id 0
		.amdhsa_user_sgpr_flat_scratch_init 0
		.amdhsa_user_sgpr_kernarg_preload_length 0
		.amdhsa_user_sgpr_kernarg_preload_offset 0
		.amdhsa_user_sgpr_private_segment_size 0
		.amdhsa_uses_dynamic_stack 0
		.amdhsa_system_sgpr_private_segment_wavefront_offset 0
		.amdhsa_system_sgpr_workgroup_id_x 1
		.amdhsa_system_sgpr_workgroup_id_y 0
		.amdhsa_system_sgpr_workgroup_id_z 0
		.amdhsa_system_sgpr_workgroup_info 0
		.amdhsa_system_vgpr_workitem_id 0
		.amdhsa_next_free_vgpr 19
		.amdhsa_next_free_sgpr 30
		.amdhsa_accum_offset 20
		.amdhsa_reserve_vcc 1
		.amdhsa_reserve_flat_scratch 0
		.amdhsa_float_round_mode_32 0
		.amdhsa_float_round_mode_16_64 0
		.amdhsa_float_denorm_mode_32 3
		.amdhsa_float_denorm_mode_16_64 3
		.amdhsa_dx10_clamp 1
		.amdhsa_ieee_mode 1
		.amdhsa_fp16_overflow 0
		.amdhsa_tg_split 0
		.amdhsa_exception_fp_ieee_invalid_op 0
		.amdhsa_exception_fp_denorm_src 0
		.amdhsa_exception_fp_ieee_div_zero 0
		.amdhsa_exception_fp_ieee_overflow 0
		.amdhsa_exception_fp_ieee_underflow 0
		.amdhsa_exception_fp_ieee_inexact 0
		.amdhsa_exception_int_div_zero 0
	.end_amdhsa_kernel
	.section	.text._ZN9rocsparseL21csrmvt_general_kernelILj256ELj8EliDF16_DF16_ffEEvbbT2_NS_24const_host_device_scalarIT6_EEPKT1_S7_PKS1_PKT3_PKT4_PT5_21rocsparse_index_base_b,"axG",@progbits,_ZN9rocsparseL21csrmvt_general_kernelILj256ELj8EliDF16_DF16_ffEEvbbT2_NS_24const_host_device_scalarIT6_EEPKT1_S7_PKS1_PKT3_PKT4_PT5_21rocsparse_index_base_b,comdat
.Lfunc_end216:
	.size	_ZN9rocsparseL21csrmvt_general_kernelILj256ELj8EliDF16_DF16_ffEEvbbT2_NS_24const_host_device_scalarIT6_EEPKT1_S7_PKS1_PKT3_PKT4_PT5_21rocsparse_index_base_b, .Lfunc_end216-_ZN9rocsparseL21csrmvt_general_kernelILj256ELj8EliDF16_DF16_ffEEvbbT2_NS_24const_host_device_scalarIT6_EEPKT1_S7_PKS1_PKT3_PKT4_PT5_21rocsparse_index_base_b
                                        ; -- End function
	.section	.AMDGPU.csdata,"",@progbits
; Kernel info:
; codeLenInByte = 936
; NumSgprs: 34
; NumVgprs: 19
; NumAgprs: 0
; TotalNumVgprs: 19
; ScratchSize: 0
; MemoryBound: 0
; FloatMode: 240
; IeeeMode: 1
; LDSByteSize: 0 bytes/workgroup (compile time only)
; SGPRBlocks: 4
; VGPRBlocks: 2
; NumSGPRsForWavesPerEU: 34
; NumVGPRsForWavesPerEU: 19
; AccumOffset: 20
; Occupancy: 8
; WaveLimiterHint : 1
; COMPUTE_PGM_RSRC2:SCRATCH_EN: 0
; COMPUTE_PGM_RSRC2:USER_SGPR: 6
; COMPUTE_PGM_RSRC2:TRAP_HANDLER: 0
; COMPUTE_PGM_RSRC2:TGID_X_EN: 1
; COMPUTE_PGM_RSRC2:TGID_Y_EN: 0
; COMPUTE_PGM_RSRC2:TGID_Z_EN: 0
; COMPUTE_PGM_RSRC2:TIDIG_COMP_CNT: 0
; COMPUTE_PGM_RSRC3_GFX90A:ACCUM_OFFSET: 4
; COMPUTE_PGM_RSRC3_GFX90A:TG_SPLIT: 0
	.section	.text._ZN9rocsparseL21csrmvt_general_kernelILj256ELj16EliDF16_DF16_ffEEvbbT2_NS_24const_host_device_scalarIT6_EEPKT1_S7_PKS1_PKT3_PKT4_PT5_21rocsparse_index_base_b,"axG",@progbits,_ZN9rocsparseL21csrmvt_general_kernelILj256ELj16EliDF16_DF16_ffEEvbbT2_NS_24const_host_device_scalarIT6_EEPKT1_S7_PKS1_PKT3_PKT4_PT5_21rocsparse_index_base_b,comdat
	.globl	_ZN9rocsparseL21csrmvt_general_kernelILj256ELj16EliDF16_DF16_ffEEvbbT2_NS_24const_host_device_scalarIT6_EEPKT1_S7_PKS1_PKT3_PKT4_PT5_21rocsparse_index_base_b ; -- Begin function _ZN9rocsparseL21csrmvt_general_kernelILj256ELj16EliDF16_DF16_ffEEvbbT2_NS_24const_host_device_scalarIT6_EEPKT1_S7_PKS1_PKT3_PKT4_PT5_21rocsparse_index_base_b
	.p2align	8
	.type	_ZN9rocsparseL21csrmvt_general_kernelILj256ELj16EliDF16_DF16_ffEEvbbT2_NS_24const_host_device_scalarIT6_EEPKT1_S7_PKS1_PKT3_PKT4_PT5_21rocsparse_index_base_b,@function
_ZN9rocsparseL21csrmvt_general_kernelILj256ELj16EliDF16_DF16_ffEEvbbT2_NS_24const_host_device_scalarIT6_EEPKT1_S7_PKS1_PKT3_PKT4_PT5_21rocsparse_index_base_b: ; @_ZN9rocsparseL21csrmvt_general_kernelILj256ELj16EliDF16_DF16_ffEEvbbT2_NS_24const_host_device_scalarIT6_EEPKT1_S7_PKS1_PKT3_PKT4_PT5_21rocsparse_index_base_b
; %bb.0:
	s_load_dwordx2 s[2:3], s[4:5], 0x40
	s_load_dwordx4 s[16:19], s[4:5], 0x8
	s_waitcnt lgkmcnt(0)
	s_bitcmp1_b32 s3, 0
	s_cselect_b64 s[0:1], -1, 0
	s_and_b64 vcc, exec, s[0:1]
	s_cbranch_vccnz .LBB217_2
; %bb.1:
	s_load_dword s16, s[16:17], 0x0
.LBB217_2:
	s_waitcnt lgkmcnt(0)
	v_cmp_eq_f32_e64 s[0:1], s16, 0
	s_and_b64 vcc, exec, s[0:1]
	s_cbranch_vccnz .LBB217_23
; %bb.3:
	s_load_dwordx2 s[20:21], s[4:5], 0x0
	s_load_dword s0, s[4:5], 0x48
	s_load_dwordx2 s[22:23], s[4:5], 0x38
	s_load_dwordx8 s[8:15], s[4:5], 0x18
	v_and_b32_e32 v1, 15, v0
	v_lshl_or_b32 v0, s6, 8, v0
	s_waitcnt lgkmcnt(0)
	s_and_b32 s1, s20, 1
	s_lshl_b32 s3, s0, 4
	v_lshrrev_b32_e32 v0, 4, v0
	s_cmp_eq_u32 s1, 0
	v_cmp_gt_i32_e64 s[0:1], s21, v0
	s_mov_b64 s[4:5], -1
	s_cbranch_scc0 .LBB217_13
; %bb.4:
	s_and_saveexec_b64 s[4:5], s[0:1]
	s_cbranch_execz .LBB217_12
; %bb.5:
	v_subrev_co_u32_e32 v12, vcc, s2, v1
	s_mov_b32 s17, 0
	v_subb_co_u32_e64 v13, s[6:7], 0, 0, vcc
	s_mov_b64 s[6:7], 0
	v_mov_b32_e32 v14, s19
	v_mov_b32_e32 v15, s9
	;; [unrolled: 1-line block ×4, first 2 shown]
	s_branch .LBB217_7
.LBB217_6:                              ;   in Loop: Header=BB217_7 Depth=1
	s_or_b64 exec, exec, s[24:25]
	v_add_u32_e32 v2, s3, v2
	v_cmp_le_i32_e32 vcc, s21, v2
	s_or_b64 s[6:7], vcc, s[6:7]
	s_andn2_b64 exec, exec, s[6:7]
	s_cbranch_execz .LBB217_12
.LBB217_7:                              ; =>This Loop Header: Depth=1
                                        ;     Child Loop BB217_9 Depth 2
                                        ;       Child Loop BB217_10 Depth 3
	v_ashrrev_i32_e32 v3, 31, v2
	v_lshlrev_b64 v[4:5], 3, v[2:3]
	v_add_co_u32_e32 v6, vcc, s8, v4
	v_addc_co_u32_e32 v7, vcc, v15, v5, vcc
	global_load_dwordx2 v[6:7], v[6:7], off
	v_add_co_u32_e32 v4, vcc, s18, v4
	v_addc_co_u32_e32 v5, vcc, v14, v5, vcc
	global_load_dwordx2 v[8:9], v[4:5], off
	s_waitcnt vmcnt(1)
	v_subrev_co_u32_e32 v4, vcc, s2, v6
	v_subb_co_u32_e32 v5, vcc, v7, v16, vcc
	s_waitcnt vmcnt(0)
	v_add_co_u32_e32 v6, vcc, v8, v12
	v_addc_co_u32_e32 v7, vcc, v9, v13, vcc
	v_cmp_lt_i64_e32 vcc, v[6:7], v[4:5]
	s_and_saveexec_b64 s[24:25], vcc
	s_cbranch_execz .LBB217_6
; %bb.8:                                ;   in Loop: Header=BB217_7 Depth=1
	v_lshlrev_b64 v[8:9], 1, v[2:3]
	v_mov_b32_e32 v3, s15
	v_add_co_u32_e32 v8, vcc, s14, v8
	v_addc_co_u32_e32 v9, vcc, v3, v9, vcc
	global_load_ushort v3, v[8:9], off
	s_mov_b64 s[26:27], 0
	s_waitcnt vmcnt(0)
	v_cvt_f32_f16_e32 v3, v3
	v_mul_f32_e32 v3, s16, v3
.LBB217_9:                              ;   Parent Loop BB217_7 Depth=1
                                        ; =>  This Loop Header: Depth=2
                                        ;       Child Loop BB217_10 Depth 3
	v_lshlrev_b64 v[8:9], 2, v[6:7]
	v_mov_b32_e32 v10, s11
	v_add_co_u32_e32 v8, vcc, s10, v8
	v_addc_co_u32_e32 v9, vcc, v10, v9, vcc
	global_load_dword v10, v[8:9], off
	v_lshlrev_b64 v[8:9], 1, v[6:7]
	v_mov_b32_e32 v11, s13
	v_add_co_u32_e32 v8, vcc, s12, v8
	v_addc_co_u32_e32 v9, vcc, v11, v9, vcc
	global_load_ushort v18, v[8:9], off
	v_mov_b32_e32 v17, s23
	s_mov_b64 s[28:29], 0
	s_waitcnt vmcnt(1)
	v_subrev_u32_e32 v8, s2, v10
	v_ashrrev_i32_e32 v9, 31, v8
	v_lshlrev_b64 v[8:9], 2, v[8:9]
	v_add_co_u32_e32 v8, vcc, s22, v8
	v_addc_co_u32_e32 v9, vcc, v17, v9, vcc
	global_load_dword v11, v[8:9], off
	s_waitcnt vmcnt(1)
	v_cvt_f32_f16_e32 v10, v18
	v_mul_f32_e32 v17, v3, v10
.LBB217_10:                             ;   Parent Loop BB217_7 Depth=1
                                        ;     Parent Loop BB217_9 Depth=2
                                        ; =>    This Inner Loop Header: Depth=3
	s_waitcnt vmcnt(0)
	v_add_f32_e32 v10, v11, v17
	global_atomic_cmpswap v10, v[8:9], v[10:11], off glc
	s_waitcnt vmcnt(0)
	v_cmp_eq_u32_e32 vcc, v10, v11
	s_or_b64 s[28:29], vcc, s[28:29]
	v_mov_b32_e32 v11, v10
	s_andn2_b64 exec, exec, s[28:29]
	s_cbranch_execnz .LBB217_10
; %bb.11:                               ;   in Loop: Header=BB217_9 Depth=2
	s_or_b64 exec, exec, s[28:29]
	v_add_co_u32_e32 v6, vcc, 16, v6
	v_addc_co_u32_e32 v7, vcc, 0, v7, vcc
	v_cmp_ge_i64_e32 vcc, v[6:7], v[4:5]
	s_or_b64 s[26:27], vcc, s[26:27]
	s_andn2_b64 exec, exec, s[26:27]
	s_cbranch_execnz .LBB217_9
	s_branch .LBB217_6
.LBB217_12:
	s_or_b64 exec, exec, s[4:5]
	s_mov_b64 s[4:5], 0
.LBB217_13:
	s_andn2_b64 vcc, exec, s[4:5]
	s_cbranch_vccnz .LBB217_23
; %bb.14:
	s_and_saveexec_b64 s[4:5], s[0:1]
	s_cbranch_execz .LBB217_23
; %bb.15:
	v_subrev_co_u32_e32 v10, vcc, s2, v1
	s_mov_b32 s4, 0
	v_subb_co_u32_e64 v11, s[0:1], 0, 0, vcc
	s_mov_b64 s[0:1], 0
	v_mov_b32_e32 v12, s19
	v_mov_b32_e32 v13, s9
	;; [unrolled: 1-line block ×3, first 2 shown]
	s_branch .LBB217_17
.LBB217_16:                             ;   in Loop: Header=BB217_17 Depth=1
	s_or_b64 exec, exec, s[4:5]
	v_add_u32_e32 v0, s3, v0
	v_cmp_le_i32_e32 vcc, s21, v0
	s_or_b64 s[0:1], vcc, s[0:1]
	s_andn2_b64 exec, exec, s[0:1]
	s_cbranch_execz .LBB217_23
.LBB217_17:                             ; =>This Loop Header: Depth=1
                                        ;     Child Loop BB217_20 Depth 2
                                        ;       Child Loop BB217_22 Depth 3
	v_ashrrev_i32_e32 v1, 31, v0
	v_lshlrev_b64 v[2:3], 3, v[0:1]
	v_add_co_u32_e32 v4, vcc, s8, v2
	v_addc_co_u32_e32 v5, vcc, v13, v3, vcc
	global_load_dwordx2 v[4:5], v[4:5], off
	v_add_co_u32_e32 v2, vcc, s18, v2
	v_addc_co_u32_e32 v3, vcc, v12, v3, vcc
	global_load_dwordx2 v[6:7], v[2:3], off
	s_waitcnt vmcnt(1)
	v_subrev_co_u32_e32 v2, vcc, s2, v4
	v_subb_co_u32_e32 v3, vcc, v5, v14, vcc
	s_waitcnt vmcnt(0)
	v_add_co_u32_e32 v4, vcc, v6, v10
	v_addc_co_u32_e32 v5, vcc, v7, v11, vcc
	v_cmp_lt_i64_e32 vcc, v[4:5], v[2:3]
	s_and_saveexec_b64 s[4:5], vcc
	s_cbranch_execz .LBB217_16
; %bb.18:                               ;   in Loop: Header=BB217_17 Depth=1
	v_lshlrev_b64 v[6:7], 1, v[0:1]
	v_mov_b32_e32 v1, s15
	v_add_co_u32_e32 v6, vcc, s14, v6
	v_addc_co_u32_e32 v7, vcc, v1, v7, vcc
	global_load_ushort v1, v[6:7], off
	s_mov_b64 s[6:7], 0
	s_waitcnt vmcnt(0)
	v_cvt_f32_f16_e32 v1, v1
	v_mul_f32_e32 v1, s16, v1
	s_branch .LBB217_20
.LBB217_19:                             ;   in Loop: Header=BB217_20 Depth=2
	s_or_b64 exec, exec, s[24:25]
	v_add_co_u32_e32 v4, vcc, 16, v4
	v_addc_co_u32_e32 v5, vcc, 0, v5, vcc
	v_cmp_ge_i64_e32 vcc, v[4:5], v[2:3]
	s_or_b64 s[6:7], vcc, s[6:7]
	s_andn2_b64 exec, exec, s[6:7]
	s_cbranch_execz .LBB217_16
.LBB217_20:                             ;   Parent Loop BB217_17 Depth=1
                                        ; =>  This Loop Header: Depth=2
                                        ;       Child Loop BB217_22 Depth 3
	v_lshlrev_b64 v[6:7], 2, v[4:5]
	v_mov_b32_e32 v8, s11
	v_add_co_u32_e32 v6, vcc, s10, v6
	v_addc_co_u32_e32 v7, vcc, v8, v7, vcc
	global_load_dword v6, v[6:7], off
	s_waitcnt vmcnt(0)
	v_subrev_u32_e32 v6, s2, v6
	v_cmp_ne_u32_e32 vcc, v6, v0
	s_and_saveexec_b64 s[24:25], vcc
	s_cbranch_execz .LBB217_19
; %bb.21:                               ;   in Loop: Header=BB217_20 Depth=2
	v_lshlrev_b64 v[8:9], 1, v[4:5]
	v_mov_b32_e32 v7, s13
	v_add_co_u32_e32 v8, vcc, s12, v8
	v_addc_co_u32_e32 v9, vcc, v7, v9, vcc
	global_load_ushort v8, v[8:9], off
	v_ashrrev_i32_e32 v7, 31, v6
	v_lshlrev_b64 v[6:7], 2, v[6:7]
	v_mov_b32_e32 v9, s23
	v_add_co_u32_e32 v6, vcc, s22, v6
	v_addc_co_u32_e32 v7, vcc, v9, v7, vcc
	global_load_dword v9, v[6:7], off
	s_mov_b64 s[26:27], 0
	s_waitcnt vmcnt(1)
	v_cvt_f32_f16_e32 v8, v8
	v_mul_f32_e32 v15, v1, v8
.LBB217_22:                             ;   Parent Loop BB217_17 Depth=1
                                        ;     Parent Loop BB217_20 Depth=2
                                        ; =>    This Inner Loop Header: Depth=3
	s_waitcnt vmcnt(0)
	v_add_f32_e32 v8, v9, v15
	global_atomic_cmpswap v8, v[6:7], v[8:9], off glc
	s_waitcnt vmcnt(0)
	v_cmp_eq_u32_e32 vcc, v8, v9
	s_or_b64 s[26:27], vcc, s[26:27]
	v_mov_b32_e32 v9, v8
	s_andn2_b64 exec, exec, s[26:27]
	s_cbranch_execnz .LBB217_22
	s_branch .LBB217_19
.LBB217_23:
	s_endpgm
	.section	.rodata,"a",@progbits
	.p2align	6, 0x0
	.amdhsa_kernel _ZN9rocsparseL21csrmvt_general_kernelILj256ELj16EliDF16_DF16_ffEEvbbT2_NS_24const_host_device_scalarIT6_EEPKT1_S7_PKS1_PKT3_PKT4_PT5_21rocsparse_index_base_b
		.amdhsa_group_segment_fixed_size 0
		.amdhsa_private_segment_fixed_size 0
		.amdhsa_kernarg_size 328
		.amdhsa_user_sgpr_count 6
		.amdhsa_user_sgpr_private_segment_buffer 1
		.amdhsa_user_sgpr_dispatch_ptr 0
		.amdhsa_user_sgpr_queue_ptr 0
		.amdhsa_user_sgpr_kernarg_segment_ptr 1
		.amdhsa_user_sgpr_dispatch_id 0
		.amdhsa_user_sgpr_flat_scratch_init 0
		.amdhsa_user_sgpr_kernarg_preload_length 0
		.amdhsa_user_sgpr_kernarg_preload_offset 0
		.amdhsa_user_sgpr_private_segment_size 0
		.amdhsa_uses_dynamic_stack 0
		.amdhsa_system_sgpr_private_segment_wavefront_offset 0
		.amdhsa_system_sgpr_workgroup_id_x 1
		.amdhsa_system_sgpr_workgroup_id_y 0
		.amdhsa_system_sgpr_workgroup_id_z 0
		.amdhsa_system_sgpr_workgroup_info 0
		.amdhsa_system_vgpr_workitem_id 0
		.amdhsa_next_free_vgpr 19
		.amdhsa_next_free_sgpr 30
		.amdhsa_accum_offset 20
		.amdhsa_reserve_vcc 1
		.amdhsa_reserve_flat_scratch 0
		.amdhsa_float_round_mode_32 0
		.amdhsa_float_round_mode_16_64 0
		.amdhsa_float_denorm_mode_32 3
		.amdhsa_float_denorm_mode_16_64 3
		.amdhsa_dx10_clamp 1
		.amdhsa_ieee_mode 1
		.amdhsa_fp16_overflow 0
		.amdhsa_tg_split 0
		.amdhsa_exception_fp_ieee_invalid_op 0
		.amdhsa_exception_fp_denorm_src 0
		.amdhsa_exception_fp_ieee_div_zero 0
		.amdhsa_exception_fp_ieee_overflow 0
		.amdhsa_exception_fp_ieee_underflow 0
		.amdhsa_exception_fp_ieee_inexact 0
		.amdhsa_exception_int_div_zero 0
	.end_amdhsa_kernel
	.section	.text._ZN9rocsparseL21csrmvt_general_kernelILj256ELj16EliDF16_DF16_ffEEvbbT2_NS_24const_host_device_scalarIT6_EEPKT1_S7_PKS1_PKT3_PKT4_PT5_21rocsparse_index_base_b,"axG",@progbits,_ZN9rocsparseL21csrmvt_general_kernelILj256ELj16EliDF16_DF16_ffEEvbbT2_NS_24const_host_device_scalarIT6_EEPKT1_S7_PKS1_PKT3_PKT4_PT5_21rocsparse_index_base_b,comdat
.Lfunc_end217:
	.size	_ZN9rocsparseL21csrmvt_general_kernelILj256ELj16EliDF16_DF16_ffEEvbbT2_NS_24const_host_device_scalarIT6_EEPKT1_S7_PKS1_PKT3_PKT4_PT5_21rocsparse_index_base_b, .Lfunc_end217-_ZN9rocsparseL21csrmvt_general_kernelILj256ELj16EliDF16_DF16_ffEEvbbT2_NS_24const_host_device_scalarIT6_EEPKT1_S7_PKS1_PKT3_PKT4_PT5_21rocsparse_index_base_b
                                        ; -- End function
	.section	.AMDGPU.csdata,"",@progbits
; Kernel info:
; codeLenInByte = 936
; NumSgprs: 34
; NumVgprs: 19
; NumAgprs: 0
; TotalNumVgprs: 19
; ScratchSize: 0
; MemoryBound: 0
; FloatMode: 240
; IeeeMode: 1
; LDSByteSize: 0 bytes/workgroup (compile time only)
; SGPRBlocks: 4
; VGPRBlocks: 2
; NumSGPRsForWavesPerEU: 34
; NumVGPRsForWavesPerEU: 19
; AccumOffset: 20
; Occupancy: 8
; WaveLimiterHint : 1
; COMPUTE_PGM_RSRC2:SCRATCH_EN: 0
; COMPUTE_PGM_RSRC2:USER_SGPR: 6
; COMPUTE_PGM_RSRC2:TRAP_HANDLER: 0
; COMPUTE_PGM_RSRC2:TGID_X_EN: 1
; COMPUTE_PGM_RSRC2:TGID_Y_EN: 0
; COMPUTE_PGM_RSRC2:TGID_Z_EN: 0
; COMPUTE_PGM_RSRC2:TIDIG_COMP_CNT: 0
; COMPUTE_PGM_RSRC3_GFX90A:ACCUM_OFFSET: 4
; COMPUTE_PGM_RSRC3_GFX90A:TG_SPLIT: 0
	.section	.text._ZN9rocsparseL21csrmvt_general_kernelILj256ELj32EliDF16_DF16_ffEEvbbT2_NS_24const_host_device_scalarIT6_EEPKT1_S7_PKS1_PKT3_PKT4_PT5_21rocsparse_index_base_b,"axG",@progbits,_ZN9rocsparseL21csrmvt_general_kernelILj256ELj32EliDF16_DF16_ffEEvbbT2_NS_24const_host_device_scalarIT6_EEPKT1_S7_PKS1_PKT3_PKT4_PT5_21rocsparse_index_base_b,comdat
	.globl	_ZN9rocsparseL21csrmvt_general_kernelILj256ELj32EliDF16_DF16_ffEEvbbT2_NS_24const_host_device_scalarIT6_EEPKT1_S7_PKS1_PKT3_PKT4_PT5_21rocsparse_index_base_b ; -- Begin function _ZN9rocsparseL21csrmvt_general_kernelILj256ELj32EliDF16_DF16_ffEEvbbT2_NS_24const_host_device_scalarIT6_EEPKT1_S7_PKS1_PKT3_PKT4_PT5_21rocsparse_index_base_b
	.p2align	8
	.type	_ZN9rocsparseL21csrmvt_general_kernelILj256ELj32EliDF16_DF16_ffEEvbbT2_NS_24const_host_device_scalarIT6_EEPKT1_S7_PKS1_PKT3_PKT4_PT5_21rocsparse_index_base_b,@function
_ZN9rocsparseL21csrmvt_general_kernelILj256ELj32EliDF16_DF16_ffEEvbbT2_NS_24const_host_device_scalarIT6_EEPKT1_S7_PKS1_PKT3_PKT4_PT5_21rocsparse_index_base_b: ; @_ZN9rocsparseL21csrmvt_general_kernelILj256ELj32EliDF16_DF16_ffEEvbbT2_NS_24const_host_device_scalarIT6_EEPKT1_S7_PKS1_PKT3_PKT4_PT5_21rocsparse_index_base_b
; %bb.0:
	s_load_dwordx2 s[2:3], s[4:5], 0x40
	s_load_dwordx4 s[16:19], s[4:5], 0x8
	s_waitcnt lgkmcnt(0)
	s_bitcmp1_b32 s3, 0
	s_cselect_b64 s[0:1], -1, 0
	s_and_b64 vcc, exec, s[0:1]
	s_cbranch_vccnz .LBB218_2
; %bb.1:
	s_load_dword s16, s[16:17], 0x0
.LBB218_2:
	s_waitcnt lgkmcnt(0)
	v_cmp_eq_f32_e64 s[0:1], s16, 0
	s_and_b64 vcc, exec, s[0:1]
	s_cbranch_vccnz .LBB218_23
; %bb.3:
	s_load_dwordx2 s[20:21], s[4:5], 0x0
	s_load_dword s0, s[4:5], 0x48
	s_load_dwordx2 s[22:23], s[4:5], 0x38
	s_load_dwordx8 s[8:15], s[4:5], 0x18
	v_and_b32_e32 v1, 31, v0
	v_lshl_or_b32 v0, s6, 8, v0
	s_waitcnt lgkmcnt(0)
	s_and_b32 s1, s20, 1
	s_lshl_b32 s3, s0, 3
	v_lshrrev_b32_e32 v0, 5, v0
	s_cmp_eq_u32 s1, 0
	v_cmp_gt_i32_e64 s[0:1], s21, v0
	s_mov_b64 s[4:5], -1
	s_cbranch_scc0 .LBB218_13
; %bb.4:
	s_and_saveexec_b64 s[4:5], s[0:1]
	s_cbranch_execz .LBB218_12
; %bb.5:
	v_subrev_co_u32_e32 v12, vcc, s2, v1
	s_mov_b32 s17, 0
	v_subb_co_u32_e64 v13, s[6:7], 0, 0, vcc
	s_mov_b64 s[6:7], 0
	v_mov_b32_e32 v14, s19
	v_mov_b32_e32 v15, s9
	;; [unrolled: 1-line block ×4, first 2 shown]
	s_branch .LBB218_7
.LBB218_6:                              ;   in Loop: Header=BB218_7 Depth=1
	s_or_b64 exec, exec, s[24:25]
	v_add_u32_e32 v2, s3, v2
	v_cmp_le_i32_e32 vcc, s21, v2
	s_or_b64 s[6:7], vcc, s[6:7]
	s_andn2_b64 exec, exec, s[6:7]
	s_cbranch_execz .LBB218_12
.LBB218_7:                              ; =>This Loop Header: Depth=1
                                        ;     Child Loop BB218_9 Depth 2
                                        ;       Child Loop BB218_10 Depth 3
	v_ashrrev_i32_e32 v3, 31, v2
	v_lshlrev_b64 v[4:5], 3, v[2:3]
	v_add_co_u32_e32 v6, vcc, s8, v4
	v_addc_co_u32_e32 v7, vcc, v15, v5, vcc
	global_load_dwordx2 v[6:7], v[6:7], off
	v_add_co_u32_e32 v4, vcc, s18, v4
	v_addc_co_u32_e32 v5, vcc, v14, v5, vcc
	global_load_dwordx2 v[8:9], v[4:5], off
	s_waitcnt vmcnt(1)
	v_subrev_co_u32_e32 v4, vcc, s2, v6
	v_subb_co_u32_e32 v5, vcc, v7, v16, vcc
	s_waitcnt vmcnt(0)
	v_add_co_u32_e32 v6, vcc, v8, v12
	v_addc_co_u32_e32 v7, vcc, v9, v13, vcc
	v_cmp_lt_i64_e32 vcc, v[6:7], v[4:5]
	s_and_saveexec_b64 s[24:25], vcc
	s_cbranch_execz .LBB218_6
; %bb.8:                                ;   in Loop: Header=BB218_7 Depth=1
	v_lshlrev_b64 v[8:9], 1, v[2:3]
	v_mov_b32_e32 v3, s15
	v_add_co_u32_e32 v8, vcc, s14, v8
	v_addc_co_u32_e32 v9, vcc, v3, v9, vcc
	global_load_ushort v3, v[8:9], off
	s_mov_b64 s[26:27], 0
	s_waitcnt vmcnt(0)
	v_cvt_f32_f16_e32 v3, v3
	v_mul_f32_e32 v3, s16, v3
.LBB218_9:                              ;   Parent Loop BB218_7 Depth=1
                                        ; =>  This Loop Header: Depth=2
                                        ;       Child Loop BB218_10 Depth 3
	v_lshlrev_b64 v[8:9], 2, v[6:7]
	v_mov_b32_e32 v10, s11
	v_add_co_u32_e32 v8, vcc, s10, v8
	v_addc_co_u32_e32 v9, vcc, v10, v9, vcc
	global_load_dword v10, v[8:9], off
	v_lshlrev_b64 v[8:9], 1, v[6:7]
	v_mov_b32_e32 v11, s13
	v_add_co_u32_e32 v8, vcc, s12, v8
	v_addc_co_u32_e32 v9, vcc, v11, v9, vcc
	global_load_ushort v18, v[8:9], off
	v_mov_b32_e32 v17, s23
	s_mov_b64 s[28:29], 0
	s_waitcnt vmcnt(1)
	v_subrev_u32_e32 v8, s2, v10
	v_ashrrev_i32_e32 v9, 31, v8
	v_lshlrev_b64 v[8:9], 2, v[8:9]
	v_add_co_u32_e32 v8, vcc, s22, v8
	v_addc_co_u32_e32 v9, vcc, v17, v9, vcc
	global_load_dword v11, v[8:9], off
	s_waitcnt vmcnt(1)
	v_cvt_f32_f16_e32 v10, v18
	v_mul_f32_e32 v17, v3, v10
.LBB218_10:                             ;   Parent Loop BB218_7 Depth=1
                                        ;     Parent Loop BB218_9 Depth=2
                                        ; =>    This Inner Loop Header: Depth=3
	s_waitcnt vmcnt(0)
	v_add_f32_e32 v10, v11, v17
	global_atomic_cmpswap v10, v[8:9], v[10:11], off glc
	s_waitcnt vmcnt(0)
	v_cmp_eq_u32_e32 vcc, v10, v11
	s_or_b64 s[28:29], vcc, s[28:29]
	v_mov_b32_e32 v11, v10
	s_andn2_b64 exec, exec, s[28:29]
	s_cbranch_execnz .LBB218_10
; %bb.11:                               ;   in Loop: Header=BB218_9 Depth=2
	s_or_b64 exec, exec, s[28:29]
	v_add_co_u32_e32 v6, vcc, 32, v6
	v_addc_co_u32_e32 v7, vcc, 0, v7, vcc
	v_cmp_ge_i64_e32 vcc, v[6:7], v[4:5]
	s_or_b64 s[26:27], vcc, s[26:27]
	s_andn2_b64 exec, exec, s[26:27]
	s_cbranch_execnz .LBB218_9
	s_branch .LBB218_6
.LBB218_12:
	s_or_b64 exec, exec, s[4:5]
	s_mov_b64 s[4:5], 0
.LBB218_13:
	s_andn2_b64 vcc, exec, s[4:5]
	s_cbranch_vccnz .LBB218_23
; %bb.14:
	s_and_saveexec_b64 s[4:5], s[0:1]
	s_cbranch_execz .LBB218_23
; %bb.15:
	v_subrev_co_u32_e32 v10, vcc, s2, v1
	s_mov_b32 s4, 0
	v_subb_co_u32_e64 v11, s[0:1], 0, 0, vcc
	s_mov_b64 s[0:1], 0
	v_mov_b32_e32 v12, s19
	v_mov_b32_e32 v13, s9
	;; [unrolled: 1-line block ×3, first 2 shown]
	s_branch .LBB218_17
.LBB218_16:                             ;   in Loop: Header=BB218_17 Depth=1
	s_or_b64 exec, exec, s[4:5]
	v_add_u32_e32 v0, s3, v0
	v_cmp_le_i32_e32 vcc, s21, v0
	s_or_b64 s[0:1], vcc, s[0:1]
	s_andn2_b64 exec, exec, s[0:1]
	s_cbranch_execz .LBB218_23
.LBB218_17:                             ; =>This Loop Header: Depth=1
                                        ;     Child Loop BB218_20 Depth 2
                                        ;       Child Loop BB218_22 Depth 3
	v_ashrrev_i32_e32 v1, 31, v0
	v_lshlrev_b64 v[2:3], 3, v[0:1]
	v_add_co_u32_e32 v4, vcc, s8, v2
	v_addc_co_u32_e32 v5, vcc, v13, v3, vcc
	global_load_dwordx2 v[4:5], v[4:5], off
	v_add_co_u32_e32 v2, vcc, s18, v2
	v_addc_co_u32_e32 v3, vcc, v12, v3, vcc
	global_load_dwordx2 v[6:7], v[2:3], off
	s_waitcnt vmcnt(1)
	v_subrev_co_u32_e32 v2, vcc, s2, v4
	v_subb_co_u32_e32 v3, vcc, v5, v14, vcc
	s_waitcnt vmcnt(0)
	v_add_co_u32_e32 v4, vcc, v6, v10
	v_addc_co_u32_e32 v5, vcc, v7, v11, vcc
	v_cmp_lt_i64_e32 vcc, v[4:5], v[2:3]
	s_and_saveexec_b64 s[4:5], vcc
	s_cbranch_execz .LBB218_16
; %bb.18:                               ;   in Loop: Header=BB218_17 Depth=1
	v_lshlrev_b64 v[6:7], 1, v[0:1]
	v_mov_b32_e32 v1, s15
	v_add_co_u32_e32 v6, vcc, s14, v6
	v_addc_co_u32_e32 v7, vcc, v1, v7, vcc
	global_load_ushort v1, v[6:7], off
	s_mov_b64 s[6:7], 0
	s_waitcnt vmcnt(0)
	v_cvt_f32_f16_e32 v1, v1
	v_mul_f32_e32 v1, s16, v1
	s_branch .LBB218_20
.LBB218_19:                             ;   in Loop: Header=BB218_20 Depth=2
	s_or_b64 exec, exec, s[24:25]
	v_add_co_u32_e32 v4, vcc, 32, v4
	v_addc_co_u32_e32 v5, vcc, 0, v5, vcc
	v_cmp_ge_i64_e32 vcc, v[4:5], v[2:3]
	s_or_b64 s[6:7], vcc, s[6:7]
	s_andn2_b64 exec, exec, s[6:7]
	s_cbranch_execz .LBB218_16
.LBB218_20:                             ;   Parent Loop BB218_17 Depth=1
                                        ; =>  This Loop Header: Depth=2
                                        ;       Child Loop BB218_22 Depth 3
	v_lshlrev_b64 v[6:7], 2, v[4:5]
	v_mov_b32_e32 v8, s11
	v_add_co_u32_e32 v6, vcc, s10, v6
	v_addc_co_u32_e32 v7, vcc, v8, v7, vcc
	global_load_dword v6, v[6:7], off
	s_waitcnt vmcnt(0)
	v_subrev_u32_e32 v6, s2, v6
	v_cmp_ne_u32_e32 vcc, v6, v0
	s_and_saveexec_b64 s[24:25], vcc
	s_cbranch_execz .LBB218_19
; %bb.21:                               ;   in Loop: Header=BB218_20 Depth=2
	v_lshlrev_b64 v[8:9], 1, v[4:5]
	v_mov_b32_e32 v7, s13
	v_add_co_u32_e32 v8, vcc, s12, v8
	v_addc_co_u32_e32 v9, vcc, v7, v9, vcc
	global_load_ushort v8, v[8:9], off
	v_ashrrev_i32_e32 v7, 31, v6
	v_lshlrev_b64 v[6:7], 2, v[6:7]
	v_mov_b32_e32 v9, s23
	v_add_co_u32_e32 v6, vcc, s22, v6
	v_addc_co_u32_e32 v7, vcc, v9, v7, vcc
	global_load_dword v9, v[6:7], off
	s_mov_b64 s[26:27], 0
	s_waitcnt vmcnt(1)
	v_cvt_f32_f16_e32 v8, v8
	v_mul_f32_e32 v15, v1, v8
.LBB218_22:                             ;   Parent Loop BB218_17 Depth=1
                                        ;     Parent Loop BB218_20 Depth=2
                                        ; =>    This Inner Loop Header: Depth=3
	s_waitcnt vmcnt(0)
	v_add_f32_e32 v8, v9, v15
	global_atomic_cmpswap v8, v[6:7], v[8:9], off glc
	s_waitcnt vmcnt(0)
	v_cmp_eq_u32_e32 vcc, v8, v9
	s_or_b64 s[26:27], vcc, s[26:27]
	v_mov_b32_e32 v9, v8
	s_andn2_b64 exec, exec, s[26:27]
	s_cbranch_execnz .LBB218_22
	s_branch .LBB218_19
.LBB218_23:
	s_endpgm
	.section	.rodata,"a",@progbits
	.p2align	6, 0x0
	.amdhsa_kernel _ZN9rocsparseL21csrmvt_general_kernelILj256ELj32EliDF16_DF16_ffEEvbbT2_NS_24const_host_device_scalarIT6_EEPKT1_S7_PKS1_PKT3_PKT4_PT5_21rocsparse_index_base_b
		.amdhsa_group_segment_fixed_size 0
		.amdhsa_private_segment_fixed_size 0
		.amdhsa_kernarg_size 328
		.amdhsa_user_sgpr_count 6
		.amdhsa_user_sgpr_private_segment_buffer 1
		.amdhsa_user_sgpr_dispatch_ptr 0
		.amdhsa_user_sgpr_queue_ptr 0
		.amdhsa_user_sgpr_kernarg_segment_ptr 1
		.amdhsa_user_sgpr_dispatch_id 0
		.amdhsa_user_sgpr_flat_scratch_init 0
		.amdhsa_user_sgpr_kernarg_preload_length 0
		.amdhsa_user_sgpr_kernarg_preload_offset 0
		.amdhsa_user_sgpr_private_segment_size 0
		.amdhsa_uses_dynamic_stack 0
		.amdhsa_system_sgpr_private_segment_wavefront_offset 0
		.amdhsa_system_sgpr_workgroup_id_x 1
		.amdhsa_system_sgpr_workgroup_id_y 0
		.amdhsa_system_sgpr_workgroup_id_z 0
		.amdhsa_system_sgpr_workgroup_info 0
		.amdhsa_system_vgpr_workitem_id 0
		.amdhsa_next_free_vgpr 19
		.amdhsa_next_free_sgpr 30
		.amdhsa_accum_offset 20
		.amdhsa_reserve_vcc 1
		.amdhsa_reserve_flat_scratch 0
		.amdhsa_float_round_mode_32 0
		.amdhsa_float_round_mode_16_64 0
		.amdhsa_float_denorm_mode_32 3
		.amdhsa_float_denorm_mode_16_64 3
		.amdhsa_dx10_clamp 1
		.amdhsa_ieee_mode 1
		.amdhsa_fp16_overflow 0
		.amdhsa_tg_split 0
		.amdhsa_exception_fp_ieee_invalid_op 0
		.amdhsa_exception_fp_denorm_src 0
		.amdhsa_exception_fp_ieee_div_zero 0
		.amdhsa_exception_fp_ieee_overflow 0
		.amdhsa_exception_fp_ieee_underflow 0
		.amdhsa_exception_fp_ieee_inexact 0
		.amdhsa_exception_int_div_zero 0
	.end_amdhsa_kernel
	.section	.text._ZN9rocsparseL21csrmvt_general_kernelILj256ELj32EliDF16_DF16_ffEEvbbT2_NS_24const_host_device_scalarIT6_EEPKT1_S7_PKS1_PKT3_PKT4_PT5_21rocsparse_index_base_b,"axG",@progbits,_ZN9rocsparseL21csrmvt_general_kernelILj256ELj32EliDF16_DF16_ffEEvbbT2_NS_24const_host_device_scalarIT6_EEPKT1_S7_PKS1_PKT3_PKT4_PT5_21rocsparse_index_base_b,comdat
.Lfunc_end218:
	.size	_ZN9rocsparseL21csrmvt_general_kernelILj256ELj32EliDF16_DF16_ffEEvbbT2_NS_24const_host_device_scalarIT6_EEPKT1_S7_PKS1_PKT3_PKT4_PT5_21rocsparse_index_base_b, .Lfunc_end218-_ZN9rocsparseL21csrmvt_general_kernelILj256ELj32EliDF16_DF16_ffEEvbbT2_NS_24const_host_device_scalarIT6_EEPKT1_S7_PKS1_PKT3_PKT4_PT5_21rocsparse_index_base_b
                                        ; -- End function
	.section	.AMDGPU.csdata,"",@progbits
; Kernel info:
; codeLenInByte = 936
; NumSgprs: 34
; NumVgprs: 19
; NumAgprs: 0
; TotalNumVgprs: 19
; ScratchSize: 0
; MemoryBound: 0
; FloatMode: 240
; IeeeMode: 1
; LDSByteSize: 0 bytes/workgroup (compile time only)
; SGPRBlocks: 4
; VGPRBlocks: 2
; NumSGPRsForWavesPerEU: 34
; NumVGPRsForWavesPerEU: 19
; AccumOffset: 20
; Occupancy: 8
; WaveLimiterHint : 1
; COMPUTE_PGM_RSRC2:SCRATCH_EN: 0
; COMPUTE_PGM_RSRC2:USER_SGPR: 6
; COMPUTE_PGM_RSRC2:TRAP_HANDLER: 0
; COMPUTE_PGM_RSRC2:TGID_X_EN: 1
; COMPUTE_PGM_RSRC2:TGID_Y_EN: 0
; COMPUTE_PGM_RSRC2:TGID_Z_EN: 0
; COMPUTE_PGM_RSRC2:TIDIG_COMP_CNT: 0
; COMPUTE_PGM_RSRC3_GFX90A:ACCUM_OFFSET: 4
; COMPUTE_PGM_RSRC3_GFX90A:TG_SPLIT: 0
	.section	.text._ZN9rocsparseL21csrmvt_general_kernelILj256ELj64EliDF16_DF16_ffEEvbbT2_NS_24const_host_device_scalarIT6_EEPKT1_S7_PKS1_PKT3_PKT4_PT5_21rocsparse_index_base_b,"axG",@progbits,_ZN9rocsparseL21csrmvt_general_kernelILj256ELj64EliDF16_DF16_ffEEvbbT2_NS_24const_host_device_scalarIT6_EEPKT1_S7_PKS1_PKT3_PKT4_PT5_21rocsparse_index_base_b,comdat
	.globl	_ZN9rocsparseL21csrmvt_general_kernelILj256ELj64EliDF16_DF16_ffEEvbbT2_NS_24const_host_device_scalarIT6_EEPKT1_S7_PKS1_PKT3_PKT4_PT5_21rocsparse_index_base_b ; -- Begin function _ZN9rocsparseL21csrmvt_general_kernelILj256ELj64EliDF16_DF16_ffEEvbbT2_NS_24const_host_device_scalarIT6_EEPKT1_S7_PKS1_PKT3_PKT4_PT5_21rocsparse_index_base_b
	.p2align	8
	.type	_ZN9rocsparseL21csrmvt_general_kernelILj256ELj64EliDF16_DF16_ffEEvbbT2_NS_24const_host_device_scalarIT6_EEPKT1_S7_PKS1_PKT3_PKT4_PT5_21rocsparse_index_base_b,@function
_ZN9rocsparseL21csrmvt_general_kernelILj256ELj64EliDF16_DF16_ffEEvbbT2_NS_24const_host_device_scalarIT6_EEPKT1_S7_PKS1_PKT3_PKT4_PT5_21rocsparse_index_base_b: ; @_ZN9rocsparseL21csrmvt_general_kernelILj256ELj64EliDF16_DF16_ffEEvbbT2_NS_24const_host_device_scalarIT6_EEPKT1_S7_PKS1_PKT3_PKT4_PT5_21rocsparse_index_base_b
; %bb.0:
	s_load_dwordx2 s[2:3], s[4:5], 0x40
	s_load_dwordx4 s[16:19], s[4:5], 0x8
	s_waitcnt lgkmcnt(0)
	s_bitcmp1_b32 s3, 0
	s_cselect_b64 s[0:1], -1, 0
	s_and_b64 vcc, exec, s[0:1]
	s_cbranch_vccnz .LBB219_2
; %bb.1:
	s_load_dword s16, s[16:17], 0x0
.LBB219_2:
	s_waitcnt lgkmcnt(0)
	v_cmp_eq_f32_e64 s[0:1], s16, 0
	s_and_b64 vcc, exec, s[0:1]
	s_cbranch_vccnz .LBB219_23
; %bb.3:
	s_load_dwordx2 s[20:21], s[4:5], 0x0
	s_load_dword s0, s[4:5], 0x48
	s_load_dwordx2 s[22:23], s[4:5], 0x38
	s_load_dwordx8 s[8:15], s[4:5], 0x18
	v_and_b32_e32 v1, 63, v0
	v_lshl_or_b32 v0, s6, 8, v0
	s_waitcnt lgkmcnt(0)
	s_and_b32 s1, s20, 1
	s_lshl_b32 s3, s0, 2
	v_lshrrev_b32_e32 v0, 6, v0
	s_cmp_eq_u32 s1, 0
	v_cmp_gt_i32_e64 s[0:1], s21, v0
	s_mov_b64 s[4:5], -1
	s_cbranch_scc0 .LBB219_13
; %bb.4:
	s_and_saveexec_b64 s[4:5], s[0:1]
	s_cbranch_execz .LBB219_12
; %bb.5:
	v_subrev_co_u32_e32 v12, vcc, s2, v1
	s_mov_b32 s17, 0
	v_subb_co_u32_e64 v13, s[6:7], 0, 0, vcc
	s_mov_b64 s[6:7], 0
	v_mov_b32_e32 v14, s19
	v_mov_b32_e32 v15, s9
	;; [unrolled: 1-line block ×4, first 2 shown]
	s_branch .LBB219_7
.LBB219_6:                              ;   in Loop: Header=BB219_7 Depth=1
	s_or_b64 exec, exec, s[24:25]
	v_add_u32_e32 v2, s3, v2
	v_cmp_le_i32_e32 vcc, s21, v2
	s_or_b64 s[6:7], vcc, s[6:7]
	s_andn2_b64 exec, exec, s[6:7]
	s_cbranch_execz .LBB219_12
.LBB219_7:                              ; =>This Loop Header: Depth=1
                                        ;     Child Loop BB219_9 Depth 2
                                        ;       Child Loop BB219_10 Depth 3
	v_ashrrev_i32_e32 v3, 31, v2
	v_lshlrev_b64 v[4:5], 3, v[2:3]
	v_add_co_u32_e32 v6, vcc, s8, v4
	v_addc_co_u32_e32 v7, vcc, v15, v5, vcc
	global_load_dwordx2 v[6:7], v[6:7], off
	v_add_co_u32_e32 v4, vcc, s18, v4
	v_addc_co_u32_e32 v5, vcc, v14, v5, vcc
	global_load_dwordx2 v[8:9], v[4:5], off
	s_waitcnt vmcnt(1)
	v_subrev_co_u32_e32 v4, vcc, s2, v6
	v_subb_co_u32_e32 v5, vcc, v7, v16, vcc
	s_waitcnt vmcnt(0)
	v_add_co_u32_e32 v6, vcc, v8, v12
	v_addc_co_u32_e32 v7, vcc, v9, v13, vcc
	v_cmp_lt_i64_e32 vcc, v[6:7], v[4:5]
	s_and_saveexec_b64 s[24:25], vcc
	s_cbranch_execz .LBB219_6
; %bb.8:                                ;   in Loop: Header=BB219_7 Depth=1
	v_lshlrev_b64 v[8:9], 1, v[2:3]
	v_mov_b32_e32 v3, s15
	v_add_co_u32_e32 v8, vcc, s14, v8
	v_addc_co_u32_e32 v9, vcc, v3, v9, vcc
	global_load_ushort v3, v[8:9], off
	s_mov_b64 s[26:27], 0
	s_waitcnt vmcnt(0)
	v_cvt_f32_f16_e32 v3, v3
	v_mul_f32_e32 v3, s16, v3
.LBB219_9:                              ;   Parent Loop BB219_7 Depth=1
                                        ; =>  This Loop Header: Depth=2
                                        ;       Child Loop BB219_10 Depth 3
	v_lshlrev_b64 v[8:9], 2, v[6:7]
	v_mov_b32_e32 v10, s11
	v_add_co_u32_e32 v8, vcc, s10, v8
	v_addc_co_u32_e32 v9, vcc, v10, v9, vcc
	global_load_dword v10, v[8:9], off
	v_lshlrev_b64 v[8:9], 1, v[6:7]
	v_mov_b32_e32 v11, s13
	v_add_co_u32_e32 v8, vcc, s12, v8
	v_addc_co_u32_e32 v9, vcc, v11, v9, vcc
	global_load_ushort v18, v[8:9], off
	v_mov_b32_e32 v17, s23
	s_mov_b64 s[28:29], 0
	s_waitcnt vmcnt(1)
	v_subrev_u32_e32 v8, s2, v10
	v_ashrrev_i32_e32 v9, 31, v8
	v_lshlrev_b64 v[8:9], 2, v[8:9]
	v_add_co_u32_e32 v8, vcc, s22, v8
	v_addc_co_u32_e32 v9, vcc, v17, v9, vcc
	global_load_dword v11, v[8:9], off
	s_waitcnt vmcnt(1)
	v_cvt_f32_f16_e32 v10, v18
	v_mul_f32_e32 v17, v3, v10
.LBB219_10:                             ;   Parent Loop BB219_7 Depth=1
                                        ;     Parent Loop BB219_9 Depth=2
                                        ; =>    This Inner Loop Header: Depth=3
	s_waitcnt vmcnt(0)
	v_add_f32_e32 v10, v11, v17
	global_atomic_cmpswap v10, v[8:9], v[10:11], off glc
	s_waitcnt vmcnt(0)
	v_cmp_eq_u32_e32 vcc, v10, v11
	s_or_b64 s[28:29], vcc, s[28:29]
	v_mov_b32_e32 v11, v10
	s_andn2_b64 exec, exec, s[28:29]
	s_cbranch_execnz .LBB219_10
; %bb.11:                               ;   in Loop: Header=BB219_9 Depth=2
	s_or_b64 exec, exec, s[28:29]
	v_add_co_u32_e32 v6, vcc, 64, v6
	v_addc_co_u32_e32 v7, vcc, 0, v7, vcc
	v_cmp_ge_i64_e32 vcc, v[6:7], v[4:5]
	s_or_b64 s[26:27], vcc, s[26:27]
	s_andn2_b64 exec, exec, s[26:27]
	s_cbranch_execnz .LBB219_9
	s_branch .LBB219_6
.LBB219_12:
	s_or_b64 exec, exec, s[4:5]
	s_mov_b64 s[4:5], 0
.LBB219_13:
	s_andn2_b64 vcc, exec, s[4:5]
	s_cbranch_vccnz .LBB219_23
; %bb.14:
	s_and_saveexec_b64 s[4:5], s[0:1]
	s_cbranch_execz .LBB219_23
; %bb.15:
	v_subrev_co_u32_e32 v10, vcc, s2, v1
	s_mov_b32 s4, 0
	v_subb_co_u32_e64 v11, s[0:1], 0, 0, vcc
	s_mov_b64 s[0:1], 0
	v_mov_b32_e32 v12, s19
	v_mov_b32_e32 v13, s9
	;; [unrolled: 1-line block ×3, first 2 shown]
	s_branch .LBB219_17
.LBB219_16:                             ;   in Loop: Header=BB219_17 Depth=1
	s_or_b64 exec, exec, s[4:5]
	v_add_u32_e32 v0, s3, v0
	v_cmp_le_i32_e32 vcc, s21, v0
	s_or_b64 s[0:1], vcc, s[0:1]
	s_andn2_b64 exec, exec, s[0:1]
	s_cbranch_execz .LBB219_23
.LBB219_17:                             ; =>This Loop Header: Depth=1
                                        ;     Child Loop BB219_20 Depth 2
                                        ;       Child Loop BB219_22 Depth 3
	v_ashrrev_i32_e32 v1, 31, v0
	v_lshlrev_b64 v[2:3], 3, v[0:1]
	v_add_co_u32_e32 v4, vcc, s8, v2
	v_addc_co_u32_e32 v5, vcc, v13, v3, vcc
	global_load_dwordx2 v[4:5], v[4:5], off
	v_add_co_u32_e32 v2, vcc, s18, v2
	v_addc_co_u32_e32 v3, vcc, v12, v3, vcc
	global_load_dwordx2 v[6:7], v[2:3], off
	s_waitcnt vmcnt(1)
	v_subrev_co_u32_e32 v2, vcc, s2, v4
	v_subb_co_u32_e32 v3, vcc, v5, v14, vcc
	s_waitcnt vmcnt(0)
	v_add_co_u32_e32 v4, vcc, v6, v10
	v_addc_co_u32_e32 v5, vcc, v7, v11, vcc
	v_cmp_lt_i64_e32 vcc, v[4:5], v[2:3]
	s_and_saveexec_b64 s[4:5], vcc
	s_cbranch_execz .LBB219_16
; %bb.18:                               ;   in Loop: Header=BB219_17 Depth=1
	v_lshlrev_b64 v[6:7], 1, v[0:1]
	v_mov_b32_e32 v1, s15
	v_add_co_u32_e32 v6, vcc, s14, v6
	v_addc_co_u32_e32 v7, vcc, v1, v7, vcc
	global_load_ushort v1, v[6:7], off
	s_mov_b64 s[6:7], 0
	s_waitcnt vmcnt(0)
	v_cvt_f32_f16_e32 v1, v1
	v_mul_f32_e32 v1, s16, v1
	s_branch .LBB219_20
.LBB219_19:                             ;   in Loop: Header=BB219_20 Depth=2
	s_or_b64 exec, exec, s[24:25]
	v_add_co_u32_e32 v4, vcc, 64, v4
	v_addc_co_u32_e32 v5, vcc, 0, v5, vcc
	v_cmp_ge_i64_e32 vcc, v[4:5], v[2:3]
	s_or_b64 s[6:7], vcc, s[6:7]
	s_andn2_b64 exec, exec, s[6:7]
	s_cbranch_execz .LBB219_16
.LBB219_20:                             ;   Parent Loop BB219_17 Depth=1
                                        ; =>  This Loop Header: Depth=2
                                        ;       Child Loop BB219_22 Depth 3
	v_lshlrev_b64 v[6:7], 2, v[4:5]
	v_mov_b32_e32 v8, s11
	v_add_co_u32_e32 v6, vcc, s10, v6
	v_addc_co_u32_e32 v7, vcc, v8, v7, vcc
	global_load_dword v6, v[6:7], off
	s_waitcnt vmcnt(0)
	v_subrev_u32_e32 v6, s2, v6
	v_cmp_ne_u32_e32 vcc, v6, v0
	s_and_saveexec_b64 s[24:25], vcc
	s_cbranch_execz .LBB219_19
; %bb.21:                               ;   in Loop: Header=BB219_20 Depth=2
	v_lshlrev_b64 v[8:9], 1, v[4:5]
	v_mov_b32_e32 v7, s13
	v_add_co_u32_e32 v8, vcc, s12, v8
	v_addc_co_u32_e32 v9, vcc, v7, v9, vcc
	global_load_ushort v8, v[8:9], off
	v_ashrrev_i32_e32 v7, 31, v6
	v_lshlrev_b64 v[6:7], 2, v[6:7]
	v_mov_b32_e32 v9, s23
	v_add_co_u32_e32 v6, vcc, s22, v6
	v_addc_co_u32_e32 v7, vcc, v9, v7, vcc
	global_load_dword v9, v[6:7], off
	s_mov_b64 s[26:27], 0
	s_waitcnt vmcnt(1)
	v_cvt_f32_f16_e32 v8, v8
	v_mul_f32_e32 v15, v1, v8
.LBB219_22:                             ;   Parent Loop BB219_17 Depth=1
                                        ;     Parent Loop BB219_20 Depth=2
                                        ; =>    This Inner Loop Header: Depth=3
	s_waitcnt vmcnt(0)
	v_add_f32_e32 v8, v9, v15
	global_atomic_cmpswap v8, v[6:7], v[8:9], off glc
	s_waitcnt vmcnt(0)
	v_cmp_eq_u32_e32 vcc, v8, v9
	s_or_b64 s[26:27], vcc, s[26:27]
	v_mov_b32_e32 v9, v8
	s_andn2_b64 exec, exec, s[26:27]
	s_cbranch_execnz .LBB219_22
	s_branch .LBB219_19
.LBB219_23:
	s_endpgm
	.section	.rodata,"a",@progbits
	.p2align	6, 0x0
	.amdhsa_kernel _ZN9rocsparseL21csrmvt_general_kernelILj256ELj64EliDF16_DF16_ffEEvbbT2_NS_24const_host_device_scalarIT6_EEPKT1_S7_PKS1_PKT3_PKT4_PT5_21rocsparse_index_base_b
		.amdhsa_group_segment_fixed_size 0
		.amdhsa_private_segment_fixed_size 0
		.amdhsa_kernarg_size 328
		.amdhsa_user_sgpr_count 6
		.amdhsa_user_sgpr_private_segment_buffer 1
		.amdhsa_user_sgpr_dispatch_ptr 0
		.amdhsa_user_sgpr_queue_ptr 0
		.amdhsa_user_sgpr_kernarg_segment_ptr 1
		.amdhsa_user_sgpr_dispatch_id 0
		.amdhsa_user_sgpr_flat_scratch_init 0
		.amdhsa_user_sgpr_kernarg_preload_length 0
		.amdhsa_user_sgpr_kernarg_preload_offset 0
		.amdhsa_user_sgpr_private_segment_size 0
		.amdhsa_uses_dynamic_stack 0
		.amdhsa_system_sgpr_private_segment_wavefront_offset 0
		.amdhsa_system_sgpr_workgroup_id_x 1
		.amdhsa_system_sgpr_workgroup_id_y 0
		.amdhsa_system_sgpr_workgroup_id_z 0
		.amdhsa_system_sgpr_workgroup_info 0
		.amdhsa_system_vgpr_workitem_id 0
		.amdhsa_next_free_vgpr 19
		.amdhsa_next_free_sgpr 30
		.amdhsa_accum_offset 20
		.amdhsa_reserve_vcc 1
		.amdhsa_reserve_flat_scratch 0
		.amdhsa_float_round_mode_32 0
		.amdhsa_float_round_mode_16_64 0
		.amdhsa_float_denorm_mode_32 3
		.amdhsa_float_denorm_mode_16_64 3
		.amdhsa_dx10_clamp 1
		.amdhsa_ieee_mode 1
		.amdhsa_fp16_overflow 0
		.amdhsa_tg_split 0
		.amdhsa_exception_fp_ieee_invalid_op 0
		.amdhsa_exception_fp_denorm_src 0
		.amdhsa_exception_fp_ieee_div_zero 0
		.amdhsa_exception_fp_ieee_overflow 0
		.amdhsa_exception_fp_ieee_underflow 0
		.amdhsa_exception_fp_ieee_inexact 0
		.amdhsa_exception_int_div_zero 0
	.end_amdhsa_kernel
	.section	.text._ZN9rocsparseL21csrmvt_general_kernelILj256ELj64EliDF16_DF16_ffEEvbbT2_NS_24const_host_device_scalarIT6_EEPKT1_S7_PKS1_PKT3_PKT4_PT5_21rocsparse_index_base_b,"axG",@progbits,_ZN9rocsparseL21csrmvt_general_kernelILj256ELj64EliDF16_DF16_ffEEvbbT2_NS_24const_host_device_scalarIT6_EEPKT1_S7_PKS1_PKT3_PKT4_PT5_21rocsparse_index_base_b,comdat
.Lfunc_end219:
	.size	_ZN9rocsparseL21csrmvt_general_kernelILj256ELj64EliDF16_DF16_ffEEvbbT2_NS_24const_host_device_scalarIT6_EEPKT1_S7_PKS1_PKT3_PKT4_PT5_21rocsparse_index_base_b, .Lfunc_end219-_ZN9rocsparseL21csrmvt_general_kernelILj256ELj64EliDF16_DF16_ffEEvbbT2_NS_24const_host_device_scalarIT6_EEPKT1_S7_PKS1_PKT3_PKT4_PT5_21rocsparse_index_base_b
                                        ; -- End function
	.section	.AMDGPU.csdata,"",@progbits
; Kernel info:
; codeLenInByte = 936
; NumSgprs: 34
; NumVgprs: 19
; NumAgprs: 0
; TotalNumVgprs: 19
; ScratchSize: 0
; MemoryBound: 0
; FloatMode: 240
; IeeeMode: 1
; LDSByteSize: 0 bytes/workgroup (compile time only)
; SGPRBlocks: 4
; VGPRBlocks: 2
; NumSGPRsForWavesPerEU: 34
; NumVGPRsForWavesPerEU: 19
; AccumOffset: 20
; Occupancy: 8
; WaveLimiterHint : 1
; COMPUTE_PGM_RSRC2:SCRATCH_EN: 0
; COMPUTE_PGM_RSRC2:USER_SGPR: 6
; COMPUTE_PGM_RSRC2:TRAP_HANDLER: 0
; COMPUTE_PGM_RSRC2:TGID_X_EN: 1
; COMPUTE_PGM_RSRC2:TGID_Y_EN: 0
; COMPUTE_PGM_RSRC2:TGID_Z_EN: 0
; COMPUTE_PGM_RSRC2:TIDIG_COMP_CNT: 0
; COMPUTE_PGM_RSRC3_GFX90A:ACCUM_OFFSET: 4
; COMPUTE_PGM_RSRC3_GFX90A:TG_SPLIT: 0
	.section	.text._ZN9rocsparseL21csrmvn_general_kernelILj256ELj2EllDF16_DF16_ffEEvbT2_NS_24const_host_device_scalarIT6_EEPKT1_S7_PKS1_PKT3_PKT4_S4_PT5_21rocsparse_index_base_b,"axG",@progbits,_ZN9rocsparseL21csrmvn_general_kernelILj256ELj2EllDF16_DF16_ffEEvbT2_NS_24const_host_device_scalarIT6_EEPKT1_S7_PKS1_PKT3_PKT4_S4_PT5_21rocsparse_index_base_b,comdat
	.globl	_ZN9rocsparseL21csrmvn_general_kernelILj256ELj2EllDF16_DF16_ffEEvbT2_NS_24const_host_device_scalarIT6_EEPKT1_S7_PKS1_PKT3_PKT4_S4_PT5_21rocsparse_index_base_b ; -- Begin function _ZN9rocsparseL21csrmvn_general_kernelILj256ELj2EllDF16_DF16_ffEEvbT2_NS_24const_host_device_scalarIT6_EEPKT1_S7_PKS1_PKT3_PKT4_S4_PT5_21rocsparse_index_base_b
	.p2align	8
	.type	_ZN9rocsparseL21csrmvn_general_kernelILj256ELj2EllDF16_DF16_ffEEvbT2_NS_24const_host_device_scalarIT6_EEPKT1_S7_PKS1_PKT3_PKT4_S4_PT5_21rocsparse_index_base_b,@function
_ZN9rocsparseL21csrmvn_general_kernelILj256ELj2EllDF16_DF16_ffEEvbT2_NS_24const_host_device_scalarIT6_EEPKT1_S7_PKS1_PKT3_PKT4_S4_PT5_21rocsparse_index_base_b: ; @_ZN9rocsparseL21csrmvn_general_kernelILj256ELj2EllDF16_DF16_ffEEvbT2_NS_24const_host_device_scalarIT6_EEPKT1_S7_PKS1_PKT3_PKT4_S4_PT5_21rocsparse_index_base_b
; %bb.0:
	s_load_dwordx2 s[20:21], s[4:5], 0x50
	s_load_dwordx2 s[22:23], s[4:5], 0x40
	s_load_dwordx8 s[8:15], s[4:5], 0x8
	s_waitcnt lgkmcnt(0)
	s_bitcmp1_b32 s21, 0
	s_cselect_b64 s[2:3], -1, 0
	s_xor_b64 s[0:1], s[2:3], -1
	s_and_b64 vcc, exec, s[2:3]
	s_cbranch_vccnz .LBB220_2
; %bb.1:
	s_load_dword s10, s[10:11], 0x0
.LBB220_2:
	s_andn2_b64 vcc, exec, s[0:1]
	s_cbranch_vccnz .LBB220_4
; %bb.3:
	s_load_dword s22, s[22:23], 0x0
.LBB220_4:
	s_waitcnt lgkmcnt(0)
	v_cmp_neq_f32_e64 s[0:1], s10, 0
	v_cmp_neq_f32_e64 s[2:3], s22, 1.0
	s_or_b64 s[0:1], s[0:1], s[2:3]
	s_andn2_b64 vcc, exec, s[0:1]
	s_cbranch_vccnz .LBB220_16
; %bb.5:
	v_lshl_or_b32 v1, s6, 8, v0
	v_lshrrev_b32_e32 v2, 1, v1
	v_mov_b32_e32 v3, 0
	v_cmp_gt_i64_e32 vcc, s[8:9], v[2:3]
	s_and_saveexec_b64 s[0:1], vcc
	s_cbranch_execz .LBB220_16
; %bb.6:
	s_load_dword s2, s[4:5], 0x58
	s_load_dwordx2 s[6:7], s[4:5], 0x48
	s_load_dwordx4 s[16:19], s[4:5], 0x28
	s_load_dwordx2 s[0:1], s[4:5], 0x38
	v_and_b32_e32 v0, 1, v0
	v_subrev_co_u32_e32 v10, vcc, s20, v0
	s_waitcnt lgkmcnt(0)
	s_lshl_b32 s11, s2, 7
	v_subb_co_u32_e64 v11, s[2:3], 0, 0, vcc
	s_ashr_i32 s3, s20, 31
	s_mov_b32 s2, s20
	s_lshl_b64 s[2:3], s[2:3], 1
	s_sub_u32 s21, s0, s2
	s_mov_b32 s23, 0
	s_subb_u32 s2, s1, s3
	v_cmp_eq_u32_e64 s[0:1], 1, v0
	s_mov_b64 s[4:5], 0
	v_mov_b32_e32 v12, s13
	v_mov_b32_e32 v13, s15
	v_mov_b32_e32 v14, s23
	v_mov_b32_e32 v15, s2
	v_cmp_neq_f32_e64 s[24:25], s22, 0
	v_mov_b32_e32 v16, s23
	s_branch .LBB220_9
.LBB220_7:                              ;   in Loop: Header=BB220_9 Depth=1
	global_store_dword v[0:1], v4, off
.LBB220_8:                              ;   in Loop: Header=BB220_9 Depth=1
	s_or_b64 exec, exec, s[26:27]
	v_add_co_u32_e32 v2, vcc, s11, v2
	v_addc_co_u32_e32 v3, vcc, v3, v16, vcc
	v_cmp_le_i64_e32 vcc, s[8:9], v[2:3]
	s_or_b64 s[4:5], vcc, s[4:5]
	s_andn2_b64 exec, exec, s[4:5]
	s_cbranch_execz .LBB220_16
.LBB220_9:                              ; =>This Loop Header: Depth=1
                                        ;     Child Loop BB220_11 Depth 2
	v_lshlrev_b64 v[0:1], 3, v[2:3]
	v_add_co_u32_e32 v4, vcc, s14, v0
	v_addc_co_u32_e32 v5, vcc, v13, v1, vcc
	global_load_dwordx2 v[4:5], v[4:5], off
	v_add_co_u32_e32 v0, vcc, s12, v0
	v_addc_co_u32_e32 v1, vcc, v12, v1, vcc
	global_load_dwordx2 v[6:7], v[0:1], off
	v_mov_b32_e32 v17, 0
	s_waitcnt vmcnt(1)
	v_subrev_co_u32_e32 v0, vcc, s20, v4
	v_subb_co_u32_e32 v1, vcc, v5, v14, vcc
	s_waitcnt vmcnt(0)
	v_add_co_u32_e32 v4, vcc, v6, v10
	v_addc_co_u32_e32 v5, vcc, v7, v11, vcc
	v_cmp_lt_i64_e32 vcc, v[4:5], v[0:1]
	s_and_saveexec_b64 s[2:3], vcc
	s_cbranch_execz .LBB220_13
; %bb.10:                               ;   in Loop: Header=BB220_9 Depth=1
	v_lshlrev_b64 v[6:7], 1, v[4:5]
	v_mov_b32_e32 v8, s19
	v_add_co_u32_e32 v6, vcc, s18, v6
	v_addc_co_u32_e32 v7, vcc, v8, v7, vcc
	v_lshlrev_b64 v[8:9], 3, v[4:5]
	v_mov_b32_e32 v17, s17
	v_add_co_u32_e32 v8, vcc, s16, v8
	v_addc_co_u32_e32 v9, vcc, v17, v9, vcc
	s_mov_b64 s[26:27], 0
	v_mov_b32_e32 v17, 0
.LBB220_11:                             ;   Parent Loop BB220_9 Depth=1
                                        ; =>  This Inner Loop Header: Depth=2
	global_load_dwordx2 v[18:19], v[8:9], off
	global_load_ushort v20, v[6:7], off
	s_waitcnt vmcnt(1)
	v_lshlrev_b64 v[18:19], 1, v[18:19]
	v_add_co_u32_e32 v18, vcc, s21, v18
	v_addc_co_u32_e32 v19, vcc, v15, v19, vcc
	global_load_ushort v18, v[18:19], off
	v_add_co_u32_e32 v4, vcc, 2, v4
	v_addc_co_u32_e32 v5, vcc, 0, v5, vcc
	v_add_co_u32_e32 v6, vcc, 4, v6
	s_waitcnt vmcnt(1)
	v_cvt_f32_f16_e32 v19, v20
	v_addc_co_u32_e32 v7, vcc, 0, v7, vcc
	v_add_co_u32_e32 v8, vcc, 16, v8
	v_addc_co_u32_e32 v9, vcc, 0, v9, vcc
	v_cmp_ge_i64_e32 vcc, v[4:5], v[0:1]
	v_mul_f32_e32 v19, s10, v19
	s_or_b64 s[26:27], vcc, s[26:27]
	s_waitcnt vmcnt(0)
	v_fma_mix_f32 v17, v19, v18, v17 op_sel_hi:[0,1,0]
	s_andn2_b64 exec, exec, s[26:27]
	s_cbranch_execnz .LBB220_11
; %bb.12:                               ;   in Loop: Header=BB220_9 Depth=1
	s_or_b64 exec, exec, s[26:27]
.LBB220_13:                             ;   in Loop: Header=BB220_9 Depth=1
	s_or_b64 exec, exec, s[2:3]
	v_mov_b32_dpp v0, v17 row_shr:1 row_mask:0xf bank_mask:0xf
	s_and_saveexec_b64 s[26:27], s[0:1]
	s_cbranch_execz .LBB220_8
; %bb.14:                               ;   in Loop: Header=BB220_9 Depth=1
	v_add_f32_e32 v4, v17, v0
	v_lshlrev_b64 v[0:1], 2, v[2:3]
	v_mov_b32_e32 v5, s7
	v_add_co_u32_e64 v0, s[2:3], s6, v0
	s_andn2_b64 vcc, exec, s[24:25]
	v_addc_co_u32_e64 v1, s[2:3], v5, v1, s[2:3]
	s_cbranch_vccnz .LBB220_7
; %bb.15:                               ;   in Loop: Header=BB220_9 Depth=1
	global_load_dword v5, v[0:1], off
	s_waitcnt vmcnt(0)
	v_fmac_f32_e32 v4, s22, v5
	s_branch .LBB220_7
.LBB220_16:
	s_endpgm
	.section	.rodata,"a",@progbits
	.p2align	6, 0x0
	.amdhsa_kernel _ZN9rocsparseL21csrmvn_general_kernelILj256ELj2EllDF16_DF16_ffEEvbT2_NS_24const_host_device_scalarIT6_EEPKT1_S7_PKS1_PKT3_PKT4_S4_PT5_21rocsparse_index_base_b
		.amdhsa_group_segment_fixed_size 0
		.amdhsa_private_segment_fixed_size 0
		.amdhsa_kernarg_size 344
		.amdhsa_user_sgpr_count 6
		.amdhsa_user_sgpr_private_segment_buffer 1
		.amdhsa_user_sgpr_dispatch_ptr 0
		.amdhsa_user_sgpr_queue_ptr 0
		.amdhsa_user_sgpr_kernarg_segment_ptr 1
		.amdhsa_user_sgpr_dispatch_id 0
		.amdhsa_user_sgpr_flat_scratch_init 0
		.amdhsa_user_sgpr_kernarg_preload_length 0
		.amdhsa_user_sgpr_kernarg_preload_offset 0
		.amdhsa_user_sgpr_private_segment_size 0
		.amdhsa_uses_dynamic_stack 0
		.amdhsa_system_sgpr_private_segment_wavefront_offset 0
		.amdhsa_system_sgpr_workgroup_id_x 1
		.amdhsa_system_sgpr_workgroup_id_y 0
		.amdhsa_system_sgpr_workgroup_id_z 0
		.amdhsa_system_sgpr_workgroup_info 0
		.amdhsa_system_vgpr_workitem_id 0
		.amdhsa_next_free_vgpr 21
		.amdhsa_next_free_sgpr 28
		.amdhsa_accum_offset 24
		.amdhsa_reserve_vcc 1
		.amdhsa_reserve_flat_scratch 0
		.amdhsa_float_round_mode_32 0
		.amdhsa_float_round_mode_16_64 0
		.amdhsa_float_denorm_mode_32 3
		.amdhsa_float_denorm_mode_16_64 3
		.amdhsa_dx10_clamp 1
		.amdhsa_ieee_mode 1
		.amdhsa_fp16_overflow 0
		.amdhsa_tg_split 0
		.amdhsa_exception_fp_ieee_invalid_op 0
		.amdhsa_exception_fp_denorm_src 0
		.amdhsa_exception_fp_ieee_div_zero 0
		.amdhsa_exception_fp_ieee_overflow 0
		.amdhsa_exception_fp_ieee_underflow 0
		.amdhsa_exception_fp_ieee_inexact 0
		.amdhsa_exception_int_div_zero 0
	.end_amdhsa_kernel
	.section	.text._ZN9rocsparseL21csrmvn_general_kernelILj256ELj2EllDF16_DF16_ffEEvbT2_NS_24const_host_device_scalarIT6_EEPKT1_S7_PKS1_PKT3_PKT4_S4_PT5_21rocsparse_index_base_b,"axG",@progbits,_ZN9rocsparseL21csrmvn_general_kernelILj256ELj2EllDF16_DF16_ffEEvbT2_NS_24const_host_device_scalarIT6_EEPKT1_S7_PKS1_PKT3_PKT4_S4_PT5_21rocsparse_index_base_b,comdat
.Lfunc_end220:
	.size	_ZN9rocsparseL21csrmvn_general_kernelILj256ELj2EllDF16_DF16_ffEEvbT2_NS_24const_host_device_scalarIT6_EEPKT1_S7_PKS1_PKT3_PKT4_S4_PT5_21rocsparse_index_base_b, .Lfunc_end220-_ZN9rocsparseL21csrmvn_general_kernelILj256ELj2EllDF16_DF16_ffEEvbT2_NS_24const_host_device_scalarIT6_EEPKT1_S7_PKS1_PKT3_PKT4_S4_PT5_21rocsparse_index_base_b
                                        ; -- End function
	.section	.AMDGPU.csdata,"",@progbits
; Kernel info:
; codeLenInByte = 616
; NumSgprs: 32
; NumVgprs: 21
; NumAgprs: 0
; TotalNumVgprs: 21
; ScratchSize: 0
; MemoryBound: 0
; FloatMode: 240
; IeeeMode: 1
; LDSByteSize: 0 bytes/workgroup (compile time only)
; SGPRBlocks: 3
; VGPRBlocks: 2
; NumSGPRsForWavesPerEU: 32
; NumVGPRsForWavesPerEU: 21
; AccumOffset: 24
; Occupancy: 8
; WaveLimiterHint : 1
; COMPUTE_PGM_RSRC2:SCRATCH_EN: 0
; COMPUTE_PGM_RSRC2:USER_SGPR: 6
; COMPUTE_PGM_RSRC2:TRAP_HANDLER: 0
; COMPUTE_PGM_RSRC2:TGID_X_EN: 1
; COMPUTE_PGM_RSRC2:TGID_Y_EN: 0
; COMPUTE_PGM_RSRC2:TGID_Z_EN: 0
; COMPUTE_PGM_RSRC2:TIDIG_COMP_CNT: 0
; COMPUTE_PGM_RSRC3_GFX90A:ACCUM_OFFSET: 5
; COMPUTE_PGM_RSRC3_GFX90A:TG_SPLIT: 0
	.section	.text._ZN9rocsparseL21csrmvn_general_kernelILj256ELj4EllDF16_DF16_ffEEvbT2_NS_24const_host_device_scalarIT6_EEPKT1_S7_PKS1_PKT3_PKT4_S4_PT5_21rocsparse_index_base_b,"axG",@progbits,_ZN9rocsparseL21csrmvn_general_kernelILj256ELj4EllDF16_DF16_ffEEvbT2_NS_24const_host_device_scalarIT6_EEPKT1_S7_PKS1_PKT3_PKT4_S4_PT5_21rocsparse_index_base_b,comdat
	.globl	_ZN9rocsparseL21csrmvn_general_kernelILj256ELj4EllDF16_DF16_ffEEvbT2_NS_24const_host_device_scalarIT6_EEPKT1_S7_PKS1_PKT3_PKT4_S4_PT5_21rocsparse_index_base_b ; -- Begin function _ZN9rocsparseL21csrmvn_general_kernelILj256ELj4EllDF16_DF16_ffEEvbT2_NS_24const_host_device_scalarIT6_EEPKT1_S7_PKS1_PKT3_PKT4_S4_PT5_21rocsparse_index_base_b
	.p2align	8
	.type	_ZN9rocsparseL21csrmvn_general_kernelILj256ELj4EllDF16_DF16_ffEEvbT2_NS_24const_host_device_scalarIT6_EEPKT1_S7_PKS1_PKT3_PKT4_S4_PT5_21rocsparse_index_base_b,@function
_ZN9rocsparseL21csrmvn_general_kernelILj256ELj4EllDF16_DF16_ffEEvbT2_NS_24const_host_device_scalarIT6_EEPKT1_S7_PKS1_PKT3_PKT4_S4_PT5_21rocsparse_index_base_b: ; @_ZN9rocsparseL21csrmvn_general_kernelILj256ELj4EllDF16_DF16_ffEEvbT2_NS_24const_host_device_scalarIT6_EEPKT1_S7_PKS1_PKT3_PKT4_S4_PT5_21rocsparse_index_base_b
; %bb.0:
	s_load_dwordx2 s[20:21], s[4:5], 0x50
	s_load_dwordx2 s[22:23], s[4:5], 0x40
	s_load_dwordx8 s[8:15], s[4:5], 0x8
	s_waitcnt lgkmcnt(0)
	s_bitcmp1_b32 s21, 0
	s_cselect_b64 s[2:3], -1, 0
	s_xor_b64 s[0:1], s[2:3], -1
	s_and_b64 vcc, exec, s[2:3]
	s_cbranch_vccnz .LBB221_2
; %bb.1:
	s_load_dword s10, s[10:11], 0x0
.LBB221_2:
	s_andn2_b64 vcc, exec, s[0:1]
	s_cbranch_vccnz .LBB221_4
; %bb.3:
	s_load_dword s22, s[22:23], 0x0
.LBB221_4:
	s_waitcnt lgkmcnt(0)
	v_cmp_neq_f32_e64 s[0:1], s10, 0
	v_cmp_neq_f32_e64 s[2:3], s22, 1.0
	s_or_b64 s[0:1], s[0:1], s[2:3]
	s_andn2_b64 vcc, exec, s[0:1]
	s_cbranch_vccnz .LBB221_16
; %bb.5:
	v_lshl_or_b32 v1, s6, 8, v0
	v_lshrrev_b32_e32 v2, 2, v1
	v_mov_b32_e32 v3, 0
	v_cmp_gt_i64_e32 vcc, s[8:9], v[2:3]
	s_and_saveexec_b64 s[0:1], vcc
	s_cbranch_execz .LBB221_16
; %bb.6:
	s_load_dword s2, s[4:5], 0x58
	s_load_dwordx2 s[6:7], s[4:5], 0x48
	s_load_dwordx4 s[16:19], s[4:5], 0x28
	s_load_dwordx2 s[0:1], s[4:5], 0x38
	v_and_b32_e32 v0, 3, v0
	v_subrev_co_u32_e32 v10, vcc, s20, v0
	s_waitcnt lgkmcnt(0)
	s_lshl_b32 s21, s2, 6
	v_subb_co_u32_e64 v11, s[2:3], 0, 0, vcc
	s_ashr_i32 s3, s20, 31
	s_mov_b32 s2, s20
	s_lshl_b64 s[2:3], s[2:3], 1
	s_sub_u32 s23, s0, s2
	s_mov_b32 s11, 0
	s_subb_u32 s2, s1, s3
	v_cmp_eq_u32_e64 s[0:1], 3, v0
	s_mov_b64 s[4:5], 0
	v_mov_b32_e32 v12, s13
	v_mov_b32_e32 v13, s15
	;; [unrolled: 1-line block ×4, first 2 shown]
	v_cmp_neq_f32_e64 s[24:25], s22, 0
	s_branch .LBB221_9
.LBB221_7:                              ;   in Loop: Header=BB221_9 Depth=1
	global_store_dword v[0:1], v4, off
.LBB221_8:                              ;   in Loop: Header=BB221_9 Depth=1
	s_or_b64 exec, exec, s[26:27]
	v_mov_b32_e32 v0, s11
	v_add_co_u32_e32 v2, vcc, s21, v2
	v_addc_co_u32_e32 v3, vcc, v3, v0, vcc
	v_cmp_le_i64_e32 vcc, s[8:9], v[2:3]
	s_or_b64 s[4:5], vcc, s[4:5]
	s_andn2_b64 exec, exec, s[4:5]
	s_cbranch_execz .LBB221_16
.LBB221_9:                              ; =>This Loop Header: Depth=1
                                        ;     Child Loop BB221_11 Depth 2
	v_lshlrev_b64 v[0:1], 3, v[2:3]
	v_add_co_u32_e32 v4, vcc, s14, v0
	v_addc_co_u32_e32 v5, vcc, v13, v1, vcc
	global_load_dwordx2 v[4:5], v[4:5], off
	v_add_co_u32_e32 v0, vcc, s12, v0
	v_addc_co_u32_e32 v1, vcc, v12, v1, vcc
	global_load_dwordx2 v[6:7], v[0:1], off
	v_mov_b32_e32 v16, 0
	s_waitcnt vmcnt(1)
	v_subrev_co_u32_e32 v0, vcc, s20, v4
	v_subb_co_u32_e32 v1, vcc, v5, v14, vcc
	s_waitcnt vmcnt(0)
	v_add_co_u32_e32 v4, vcc, v6, v10
	v_addc_co_u32_e32 v5, vcc, v7, v11, vcc
	v_cmp_lt_i64_e32 vcc, v[4:5], v[0:1]
	s_and_saveexec_b64 s[2:3], vcc
	s_cbranch_execz .LBB221_13
; %bb.10:                               ;   in Loop: Header=BB221_9 Depth=1
	v_lshlrev_b64 v[6:7], 1, v[4:5]
	v_mov_b32_e32 v8, s19
	v_add_co_u32_e32 v6, vcc, s18, v6
	v_addc_co_u32_e32 v7, vcc, v8, v7, vcc
	v_lshlrev_b64 v[8:9], 3, v[4:5]
	v_mov_b32_e32 v16, s17
	v_add_co_u32_e32 v8, vcc, s16, v8
	v_addc_co_u32_e32 v9, vcc, v16, v9, vcc
	s_mov_b64 s[26:27], 0
	v_mov_b32_e32 v16, 0
.LBB221_11:                             ;   Parent Loop BB221_9 Depth=1
                                        ; =>  This Inner Loop Header: Depth=2
	global_load_dwordx2 v[18:19], v[8:9], off
	global_load_ushort v17, v[6:7], off
	s_waitcnt vmcnt(1)
	v_lshlrev_b64 v[18:19], 1, v[18:19]
	v_add_co_u32_e32 v18, vcc, s23, v18
	v_addc_co_u32_e32 v19, vcc, v15, v19, vcc
	global_load_ushort v18, v[18:19], off
	v_add_co_u32_e32 v4, vcc, 4, v4
	v_addc_co_u32_e32 v5, vcc, 0, v5, vcc
	v_add_co_u32_e32 v6, vcc, 8, v6
	s_waitcnt vmcnt(1)
	v_cvt_f32_f16_e32 v17, v17
	v_addc_co_u32_e32 v7, vcc, 0, v7, vcc
	v_add_co_u32_e32 v8, vcc, 32, v8
	v_addc_co_u32_e32 v9, vcc, 0, v9, vcc
	v_cmp_ge_i64_e32 vcc, v[4:5], v[0:1]
	v_mul_f32_e32 v17, s10, v17
	s_or_b64 s[26:27], vcc, s[26:27]
	s_waitcnt vmcnt(0)
	v_fma_mix_f32 v16, v17, v18, v16 op_sel_hi:[0,1,0]
	s_andn2_b64 exec, exec, s[26:27]
	s_cbranch_execnz .LBB221_11
; %bb.12:                               ;   in Loop: Header=BB221_9 Depth=1
	s_or_b64 exec, exec, s[26:27]
.LBB221_13:                             ;   in Loop: Header=BB221_9 Depth=1
	s_or_b64 exec, exec, s[2:3]
	v_mov_b32_dpp v0, v16 row_shr:1 row_mask:0xf bank_mask:0xf
	v_add_f32_e32 v0, v16, v0
	s_nop 1
	v_mov_b32_dpp v1, v0 row_shr:2 row_mask:0xf bank_mask:0xf
	s_and_saveexec_b64 s[26:27], s[0:1]
	s_cbranch_execz .LBB221_8
; %bb.14:                               ;   in Loop: Header=BB221_9 Depth=1
	v_add_f32_e32 v4, v0, v1
	v_lshlrev_b64 v[0:1], 2, v[2:3]
	v_mov_b32_e32 v5, s7
	v_add_co_u32_e64 v0, s[2:3], s6, v0
	s_andn2_b64 vcc, exec, s[24:25]
	v_addc_co_u32_e64 v1, s[2:3], v5, v1, s[2:3]
	s_cbranch_vccnz .LBB221_7
; %bb.15:                               ;   in Loop: Header=BB221_9 Depth=1
	global_load_dword v5, v[0:1], off
	s_waitcnt vmcnt(0)
	v_fmac_f32_e32 v4, s22, v5
	s_branch .LBB221_7
.LBB221_16:
	s_endpgm
	.section	.rodata,"a",@progbits
	.p2align	6, 0x0
	.amdhsa_kernel _ZN9rocsparseL21csrmvn_general_kernelILj256ELj4EllDF16_DF16_ffEEvbT2_NS_24const_host_device_scalarIT6_EEPKT1_S7_PKS1_PKT3_PKT4_S4_PT5_21rocsparse_index_base_b
		.amdhsa_group_segment_fixed_size 0
		.amdhsa_private_segment_fixed_size 0
		.amdhsa_kernarg_size 344
		.amdhsa_user_sgpr_count 6
		.amdhsa_user_sgpr_private_segment_buffer 1
		.amdhsa_user_sgpr_dispatch_ptr 0
		.amdhsa_user_sgpr_queue_ptr 0
		.amdhsa_user_sgpr_kernarg_segment_ptr 1
		.amdhsa_user_sgpr_dispatch_id 0
		.amdhsa_user_sgpr_flat_scratch_init 0
		.amdhsa_user_sgpr_kernarg_preload_length 0
		.amdhsa_user_sgpr_kernarg_preload_offset 0
		.amdhsa_user_sgpr_private_segment_size 0
		.amdhsa_uses_dynamic_stack 0
		.amdhsa_system_sgpr_private_segment_wavefront_offset 0
		.amdhsa_system_sgpr_workgroup_id_x 1
		.amdhsa_system_sgpr_workgroup_id_y 0
		.amdhsa_system_sgpr_workgroup_id_z 0
		.amdhsa_system_sgpr_workgroup_info 0
		.amdhsa_system_vgpr_workitem_id 0
		.amdhsa_next_free_vgpr 20
		.amdhsa_next_free_sgpr 28
		.amdhsa_accum_offset 20
		.amdhsa_reserve_vcc 1
		.amdhsa_reserve_flat_scratch 0
		.amdhsa_float_round_mode_32 0
		.amdhsa_float_round_mode_16_64 0
		.amdhsa_float_denorm_mode_32 3
		.amdhsa_float_denorm_mode_16_64 3
		.amdhsa_dx10_clamp 1
		.amdhsa_ieee_mode 1
		.amdhsa_fp16_overflow 0
		.amdhsa_tg_split 0
		.amdhsa_exception_fp_ieee_invalid_op 0
		.amdhsa_exception_fp_denorm_src 0
		.amdhsa_exception_fp_ieee_div_zero 0
		.amdhsa_exception_fp_ieee_overflow 0
		.amdhsa_exception_fp_ieee_underflow 0
		.amdhsa_exception_fp_ieee_inexact 0
		.amdhsa_exception_int_div_zero 0
	.end_amdhsa_kernel
	.section	.text._ZN9rocsparseL21csrmvn_general_kernelILj256ELj4EllDF16_DF16_ffEEvbT2_NS_24const_host_device_scalarIT6_EEPKT1_S7_PKS1_PKT3_PKT4_S4_PT5_21rocsparse_index_base_b,"axG",@progbits,_ZN9rocsparseL21csrmvn_general_kernelILj256ELj4EllDF16_DF16_ffEEvbT2_NS_24const_host_device_scalarIT6_EEPKT1_S7_PKS1_PKT3_PKT4_S4_PT5_21rocsparse_index_base_b,comdat
.Lfunc_end221:
	.size	_ZN9rocsparseL21csrmvn_general_kernelILj256ELj4EllDF16_DF16_ffEEvbT2_NS_24const_host_device_scalarIT6_EEPKT1_S7_PKS1_PKT3_PKT4_S4_PT5_21rocsparse_index_base_b, .Lfunc_end221-_ZN9rocsparseL21csrmvn_general_kernelILj256ELj4EllDF16_DF16_ffEEvbT2_NS_24const_host_device_scalarIT6_EEPKT1_S7_PKS1_PKT3_PKT4_S4_PT5_21rocsparse_index_base_b
                                        ; -- End function
	.section	.AMDGPU.csdata,"",@progbits
; Kernel info:
; codeLenInByte = 632
; NumSgprs: 32
; NumVgprs: 20
; NumAgprs: 0
; TotalNumVgprs: 20
; ScratchSize: 0
; MemoryBound: 0
; FloatMode: 240
; IeeeMode: 1
; LDSByteSize: 0 bytes/workgroup (compile time only)
; SGPRBlocks: 3
; VGPRBlocks: 2
; NumSGPRsForWavesPerEU: 32
; NumVGPRsForWavesPerEU: 20
; AccumOffset: 20
; Occupancy: 8
; WaveLimiterHint : 1
; COMPUTE_PGM_RSRC2:SCRATCH_EN: 0
; COMPUTE_PGM_RSRC2:USER_SGPR: 6
; COMPUTE_PGM_RSRC2:TRAP_HANDLER: 0
; COMPUTE_PGM_RSRC2:TGID_X_EN: 1
; COMPUTE_PGM_RSRC2:TGID_Y_EN: 0
; COMPUTE_PGM_RSRC2:TGID_Z_EN: 0
; COMPUTE_PGM_RSRC2:TIDIG_COMP_CNT: 0
; COMPUTE_PGM_RSRC3_GFX90A:ACCUM_OFFSET: 4
; COMPUTE_PGM_RSRC3_GFX90A:TG_SPLIT: 0
	.section	.text._ZN9rocsparseL21csrmvn_general_kernelILj256ELj8EllDF16_DF16_ffEEvbT2_NS_24const_host_device_scalarIT6_EEPKT1_S7_PKS1_PKT3_PKT4_S4_PT5_21rocsparse_index_base_b,"axG",@progbits,_ZN9rocsparseL21csrmvn_general_kernelILj256ELj8EllDF16_DF16_ffEEvbT2_NS_24const_host_device_scalarIT6_EEPKT1_S7_PKS1_PKT3_PKT4_S4_PT5_21rocsparse_index_base_b,comdat
	.globl	_ZN9rocsparseL21csrmvn_general_kernelILj256ELj8EllDF16_DF16_ffEEvbT2_NS_24const_host_device_scalarIT6_EEPKT1_S7_PKS1_PKT3_PKT4_S4_PT5_21rocsparse_index_base_b ; -- Begin function _ZN9rocsparseL21csrmvn_general_kernelILj256ELj8EllDF16_DF16_ffEEvbT2_NS_24const_host_device_scalarIT6_EEPKT1_S7_PKS1_PKT3_PKT4_S4_PT5_21rocsparse_index_base_b
	.p2align	8
	.type	_ZN9rocsparseL21csrmvn_general_kernelILj256ELj8EllDF16_DF16_ffEEvbT2_NS_24const_host_device_scalarIT6_EEPKT1_S7_PKS1_PKT3_PKT4_S4_PT5_21rocsparse_index_base_b,@function
_ZN9rocsparseL21csrmvn_general_kernelILj256ELj8EllDF16_DF16_ffEEvbT2_NS_24const_host_device_scalarIT6_EEPKT1_S7_PKS1_PKT3_PKT4_S4_PT5_21rocsparse_index_base_b: ; @_ZN9rocsparseL21csrmvn_general_kernelILj256ELj8EllDF16_DF16_ffEEvbT2_NS_24const_host_device_scalarIT6_EEPKT1_S7_PKS1_PKT3_PKT4_S4_PT5_21rocsparse_index_base_b
; %bb.0:
	s_load_dwordx2 s[20:21], s[4:5], 0x50
	s_load_dwordx2 s[22:23], s[4:5], 0x40
	s_load_dwordx8 s[8:15], s[4:5], 0x8
	s_waitcnt lgkmcnt(0)
	s_bitcmp1_b32 s21, 0
	s_cselect_b64 s[2:3], -1, 0
	s_xor_b64 s[0:1], s[2:3], -1
	s_and_b64 vcc, exec, s[2:3]
	s_cbranch_vccnz .LBB222_2
; %bb.1:
	s_load_dword s10, s[10:11], 0x0
.LBB222_2:
	s_andn2_b64 vcc, exec, s[0:1]
	s_cbranch_vccnz .LBB222_4
; %bb.3:
	s_load_dword s22, s[22:23], 0x0
.LBB222_4:
	s_waitcnt lgkmcnt(0)
	v_cmp_neq_f32_e64 s[0:1], s10, 0
	v_cmp_neq_f32_e64 s[2:3], s22, 1.0
	s_or_b64 s[0:1], s[0:1], s[2:3]
	s_andn2_b64 vcc, exec, s[0:1]
	s_cbranch_vccnz .LBB222_16
; %bb.5:
	v_lshl_or_b32 v1, s6, 8, v0
	v_lshrrev_b32_e32 v2, 3, v1
	v_mov_b32_e32 v3, 0
	v_cmp_gt_i64_e32 vcc, s[8:9], v[2:3]
	s_and_saveexec_b64 s[0:1], vcc
	s_cbranch_execz .LBB222_16
; %bb.6:
	s_load_dword s2, s[4:5], 0x58
	s_load_dwordx2 s[6:7], s[4:5], 0x48
	s_load_dwordx4 s[16:19], s[4:5], 0x28
	s_load_dwordx2 s[0:1], s[4:5], 0x38
	v_and_b32_e32 v0, 7, v0
	v_subrev_co_u32_e32 v10, vcc, s20, v0
	s_waitcnt lgkmcnt(0)
	s_lshl_b32 s21, s2, 5
	v_subb_co_u32_e64 v11, s[2:3], 0, 0, vcc
	s_ashr_i32 s3, s20, 31
	s_mov_b32 s2, s20
	s_lshl_b64 s[2:3], s[2:3], 1
	s_sub_u32 s23, s0, s2
	s_subb_u32 s2, s1, s3
	v_mov_b32_e32 v15, s2
	v_cmp_neq_f32_e64 s[2:3], s22, 0
	s_mov_b32 s11, 0
	v_cmp_eq_u32_e64 s[0:1], 7, v0
	v_cndmask_b32_e64 v0, 0, 1, s[2:3]
	s_mov_b64 s[24:25], 0
	v_mov_b32_e32 v12, s13
	v_mov_b32_e32 v13, s15
	;; [unrolled: 1-line block ×3, first 2 shown]
	v_cmp_ne_u32_e64 s[2:3], 1, v0
	s_branch .LBB222_9
.LBB222_7:                              ;   in Loop: Header=BB222_9 Depth=1
	global_store_dword v[0:1], v4, off
.LBB222_8:                              ;   in Loop: Header=BB222_9 Depth=1
	s_or_b64 exec, exec, s[26:27]
	v_mov_b32_e32 v0, s11
	v_add_co_u32_e32 v2, vcc, s21, v2
	v_addc_co_u32_e32 v3, vcc, v3, v0, vcc
	v_cmp_le_i64_e32 vcc, s[8:9], v[2:3]
	s_or_b64 s[24:25], vcc, s[24:25]
	s_andn2_b64 exec, exec, s[24:25]
	s_cbranch_execz .LBB222_16
.LBB222_9:                              ; =>This Loop Header: Depth=1
                                        ;     Child Loop BB222_11 Depth 2
	v_lshlrev_b64 v[0:1], 3, v[2:3]
	v_add_co_u32_e32 v4, vcc, s14, v0
	v_addc_co_u32_e32 v5, vcc, v13, v1, vcc
	global_load_dwordx2 v[4:5], v[4:5], off
	v_add_co_u32_e32 v0, vcc, s12, v0
	v_addc_co_u32_e32 v1, vcc, v12, v1, vcc
	global_load_dwordx2 v[6:7], v[0:1], off
	v_mov_b32_e32 v16, 0
	s_waitcnt vmcnt(1)
	v_subrev_co_u32_e32 v0, vcc, s20, v4
	v_subb_co_u32_e32 v1, vcc, v5, v14, vcc
	s_waitcnt vmcnt(0)
	v_add_co_u32_e32 v4, vcc, v6, v10
	v_addc_co_u32_e32 v5, vcc, v7, v11, vcc
	v_cmp_lt_i64_e32 vcc, v[4:5], v[0:1]
	s_and_saveexec_b64 s[4:5], vcc
	s_cbranch_execz .LBB222_13
; %bb.10:                               ;   in Loop: Header=BB222_9 Depth=1
	v_lshlrev_b64 v[6:7], 1, v[4:5]
	v_mov_b32_e32 v8, s19
	v_add_co_u32_e32 v6, vcc, s18, v6
	v_addc_co_u32_e32 v7, vcc, v8, v7, vcc
	v_lshlrev_b64 v[8:9], 3, v[4:5]
	v_mov_b32_e32 v16, s17
	v_add_co_u32_e32 v8, vcc, s16, v8
	v_addc_co_u32_e32 v9, vcc, v16, v9, vcc
	s_mov_b64 s[26:27], 0
	v_mov_b32_e32 v16, 0
.LBB222_11:                             ;   Parent Loop BB222_9 Depth=1
                                        ; =>  This Inner Loop Header: Depth=2
	global_load_dwordx2 v[18:19], v[8:9], off
	global_load_ushort v17, v[6:7], off
	s_waitcnt vmcnt(1)
	v_lshlrev_b64 v[18:19], 1, v[18:19]
	v_add_co_u32_e32 v18, vcc, s23, v18
	v_addc_co_u32_e32 v19, vcc, v15, v19, vcc
	global_load_ushort v18, v[18:19], off
	v_add_co_u32_e32 v4, vcc, 8, v4
	v_addc_co_u32_e32 v5, vcc, 0, v5, vcc
	v_add_co_u32_e32 v6, vcc, 16, v6
	s_waitcnt vmcnt(1)
	v_cvt_f32_f16_e32 v17, v17
	v_addc_co_u32_e32 v7, vcc, 0, v7, vcc
	v_add_co_u32_e32 v8, vcc, 64, v8
	v_addc_co_u32_e32 v9, vcc, 0, v9, vcc
	v_cmp_ge_i64_e32 vcc, v[4:5], v[0:1]
	v_mul_f32_e32 v17, s10, v17
	s_or_b64 s[26:27], vcc, s[26:27]
	s_waitcnt vmcnt(0)
	v_fma_mix_f32 v16, v17, v18, v16 op_sel_hi:[0,1,0]
	s_andn2_b64 exec, exec, s[26:27]
	s_cbranch_execnz .LBB222_11
; %bb.12:                               ;   in Loop: Header=BB222_9 Depth=1
	s_or_b64 exec, exec, s[26:27]
.LBB222_13:                             ;   in Loop: Header=BB222_9 Depth=1
	s_or_b64 exec, exec, s[4:5]
	v_mov_b32_dpp v0, v16 row_shr:1 row_mask:0xf bank_mask:0xf
	v_add_f32_e32 v0, v16, v0
	s_nop 1
	v_mov_b32_dpp v1, v0 row_shr:2 row_mask:0xf bank_mask:0xf
	v_add_f32_e32 v0, v0, v1
	s_nop 1
	v_mov_b32_dpp v1, v0 row_shr:4 row_mask:0xf bank_mask:0xe
	s_and_saveexec_b64 s[26:27], s[0:1]
	s_cbranch_execz .LBB222_8
; %bb.14:                               ;   in Loop: Header=BB222_9 Depth=1
	v_add_f32_e32 v4, v0, v1
	v_lshlrev_b64 v[0:1], 2, v[2:3]
	v_mov_b32_e32 v5, s7
	v_add_co_u32_e64 v0, s[4:5], s6, v0
	s_and_b64 vcc, exec, s[2:3]
	v_addc_co_u32_e64 v1, s[4:5], v5, v1, s[4:5]
	s_cbranch_vccnz .LBB222_7
; %bb.15:                               ;   in Loop: Header=BB222_9 Depth=1
	global_load_dword v5, v[0:1], off
	s_waitcnt vmcnt(0)
	v_fmac_f32_e32 v4, s22, v5
	s_branch .LBB222_7
.LBB222_16:
	s_endpgm
	.section	.rodata,"a",@progbits
	.p2align	6, 0x0
	.amdhsa_kernel _ZN9rocsparseL21csrmvn_general_kernelILj256ELj8EllDF16_DF16_ffEEvbT2_NS_24const_host_device_scalarIT6_EEPKT1_S7_PKS1_PKT3_PKT4_S4_PT5_21rocsparse_index_base_b
		.amdhsa_group_segment_fixed_size 0
		.amdhsa_private_segment_fixed_size 0
		.amdhsa_kernarg_size 344
		.amdhsa_user_sgpr_count 6
		.amdhsa_user_sgpr_private_segment_buffer 1
		.amdhsa_user_sgpr_dispatch_ptr 0
		.amdhsa_user_sgpr_queue_ptr 0
		.amdhsa_user_sgpr_kernarg_segment_ptr 1
		.amdhsa_user_sgpr_dispatch_id 0
		.amdhsa_user_sgpr_flat_scratch_init 0
		.amdhsa_user_sgpr_kernarg_preload_length 0
		.amdhsa_user_sgpr_kernarg_preload_offset 0
		.amdhsa_user_sgpr_private_segment_size 0
		.amdhsa_uses_dynamic_stack 0
		.amdhsa_system_sgpr_private_segment_wavefront_offset 0
		.amdhsa_system_sgpr_workgroup_id_x 1
		.amdhsa_system_sgpr_workgroup_id_y 0
		.amdhsa_system_sgpr_workgroup_id_z 0
		.amdhsa_system_sgpr_workgroup_info 0
		.amdhsa_system_vgpr_workitem_id 0
		.amdhsa_next_free_vgpr 20
		.amdhsa_next_free_sgpr 28
		.amdhsa_accum_offset 20
		.amdhsa_reserve_vcc 1
		.amdhsa_reserve_flat_scratch 0
		.amdhsa_float_round_mode_32 0
		.amdhsa_float_round_mode_16_64 0
		.amdhsa_float_denorm_mode_32 3
		.amdhsa_float_denorm_mode_16_64 3
		.amdhsa_dx10_clamp 1
		.amdhsa_ieee_mode 1
		.amdhsa_fp16_overflow 0
		.amdhsa_tg_split 0
		.amdhsa_exception_fp_ieee_invalid_op 0
		.amdhsa_exception_fp_denorm_src 0
		.amdhsa_exception_fp_ieee_div_zero 0
		.amdhsa_exception_fp_ieee_overflow 0
		.amdhsa_exception_fp_ieee_underflow 0
		.amdhsa_exception_fp_ieee_inexact 0
		.amdhsa_exception_int_div_zero 0
	.end_amdhsa_kernel
	.section	.text._ZN9rocsparseL21csrmvn_general_kernelILj256ELj8EllDF16_DF16_ffEEvbT2_NS_24const_host_device_scalarIT6_EEPKT1_S7_PKS1_PKT3_PKT4_S4_PT5_21rocsparse_index_base_b,"axG",@progbits,_ZN9rocsparseL21csrmvn_general_kernelILj256ELj8EllDF16_DF16_ffEEvbT2_NS_24const_host_device_scalarIT6_EEPKT1_S7_PKS1_PKT3_PKT4_S4_PT5_21rocsparse_index_base_b,comdat
.Lfunc_end222:
	.size	_ZN9rocsparseL21csrmvn_general_kernelILj256ELj8EllDF16_DF16_ffEEvbT2_NS_24const_host_device_scalarIT6_EEPKT1_S7_PKS1_PKT3_PKT4_S4_PT5_21rocsparse_index_base_b, .Lfunc_end222-_ZN9rocsparseL21csrmvn_general_kernelILj256ELj8EllDF16_DF16_ffEEvbT2_NS_24const_host_device_scalarIT6_EEPKT1_S7_PKS1_PKT3_PKT4_S4_PT5_21rocsparse_index_base_b
                                        ; -- End function
	.section	.AMDGPU.csdata,"",@progbits
; Kernel info:
; codeLenInByte = 664
; NumSgprs: 32
; NumVgprs: 20
; NumAgprs: 0
; TotalNumVgprs: 20
; ScratchSize: 0
; MemoryBound: 0
; FloatMode: 240
; IeeeMode: 1
; LDSByteSize: 0 bytes/workgroup (compile time only)
; SGPRBlocks: 3
; VGPRBlocks: 2
; NumSGPRsForWavesPerEU: 32
; NumVGPRsForWavesPerEU: 20
; AccumOffset: 20
; Occupancy: 8
; WaveLimiterHint : 1
; COMPUTE_PGM_RSRC2:SCRATCH_EN: 0
; COMPUTE_PGM_RSRC2:USER_SGPR: 6
; COMPUTE_PGM_RSRC2:TRAP_HANDLER: 0
; COMPUTE_PGM_RSRC2:TGID_X_EN: 1
; COMPUTE_PGM_RSRC2:TGID_Y_EN: 0
; COMPUTE_PGM_RSRC2:TGID_Z_EN: 0
; COMPUTE_PGM_RSRC2:TIDIG_COMP_CNT: 0
; COMPUTE_PGM_RSRC3_GFX90A:ACCUM_OFFSET: 4
; COMPUTE_PGM_RSRC3_GFX90A:TG_SPLIT: 0
	.section	.text._ZN9rocsparseL21csrmvn_general_kernelILj256ELj16EllDF16_DF16_ffEEvbT2_NS_24const_host_device_scalarIT6_EEPKT1_S7_PKS1_PKT3_PKT4_S4_PT5_21rocsparse_index_base_b,"axG",@progbits,_ZN9rocsparseL21csrmvn_general_kernelILj256ELj16EllDF16_DF16_ffEEvbT2_NS_24const_host_device_scalarIT6_EEPKT1_S7_PKS1_PKT3_PKT4_S4_PT5_21rocsparse_index_base_b,comdat
	.globl	_ZN9rocsparseL21csrmvn_general_kernelILj256ELj16EllDF16_DF16_ffEEvbT2_NS_24const_host_device_scalarIT6_EEPKT1_S7_PKS1_PKT3_PKT4_S4_PT5_21rocsparse_index_base_b ; -- Begin function _ZN9rocsparseL21csrmvn_general_kernelILj256ELj16EllDF16_DF16_ffEEvbT2_NS_24const_host_device_scalarIT6_EEPKT1_S7_PKS1_PKT3_PKT4_S4_PT5_21rocsparse_index_base_b
	.p2align	8
	.type	_ZN9rocsparseL21csrmvn_general_kernelILj256ELj16EllDF16_DF16_ffEEvbT2_NS_24const_host_device_scalarIT6_EEPKT1_S7_PKS1_PKT3_PKT4_S4_PT5_21rocsparse_index_base_b,@function
_ZN9rocsparseL21csrmvn_general_kernelILj256ELj16EllDF16_DF16_ffEEvbT2_NS_24const_host_device_scalarIT6_EEPKT1_S7_PKS1_PKT3_PKT4_S4_PT5_21rocsparse_index_base_b: ; @_ZN9rocsparseL21csrmvn_general_kernelILj256ELj16EllDF16_DF16_ffEEvbT2_NS_24const_host_device_scalarIT6_EEPKT1_S7_PKS1_PKT3_PKT4_S4_PT5_21rocsparse_index_base_b
; %bb.0:
	s_load_dwordx2 s[20:21], s[4:5], 0x50
	s_load_dwordx2 s[22:23], s[4:5], 0x40
	s_load_dwordx8 s[8:15], s[4:5], 0x8
	s_waitcnt lgkmcnt(0)
	s_bitcmp1_b32 s21, 0
	s_cselect_b64 s[2:3], -1, 0
	s_xor_b64 s[0:1], s[2:3], -1
	s_and_b64 vcc, exec, s[2:3]
	s_cbranch_vccnz .LBB223_2
; %bb.1:
	s_load_dword s10, s[10:11], 0x0
.LBB223_2:
	s_andn2_b64 vcc, exec, s[0:1]
	s_cbranch_vccnz .LBB223_4
; %bb.3:
	s_load_dword s22, s[22:23], 0x0
.LBB223_4:
	s_waitcnt lgkmcnt(0)
	v_cmp_neq_f32_e64 s[0:1], s10, 0
	v_cmp_neq_f32_e64 s[2:3], s22, 1.0
	s_or_b64 s[0:1], s[0:1], s[2:3]
	s_andn2_b64 vcc, exec, s[0:1]
	s_cbranch_vccnz .LBB223_16
; %bb.5:
	v_lshl_or_b32 v1, s6, 8, v0
	v_lshrrev_b32_e32 v2, 4, v1
	v_mov_b32_e32 v3, 0
	v_cmp_gt_i64_e32 vcc, s[8:9], v[2:3]
	s_and_saveexec_b64 s[0:1], vcc
	s_cbranch_execz .LBB223_16
; %bb.6:
	s_load_dword s2, s[4:5], 0x58
	s_load_dwordx2 s[6:7], s[4:5], 0x48
	s_load_dwordx4 s[16:19], s[4:5], 0x28
	s_load_dwordx2 s[0:1], s[4:5], 0x38
	v_and_b32_e32 v0, 15, v0
	v_subrev_co_u32_e32 v10, vcc, s20, v0
	s_waitcnt lgkmcnt(0)
	s_lshl_b32 s21, s2, 4
	v_subb_co_u32_e64 v11, s[2:3], 0, 0, vcc
	s_ashr_i32 s3, s20, 31
	s_mov_b32 s2, s20
	s_lshl_b64 s[2:3], s[2:3], 1
	s_sub_u32 s23, s0, s2
	s_subb_u32 s2, s1, s3
	v_mov_b32_e32 v15, s2
	v_cmp_neq_f32_e64 s[2:3], s22, 0
	s_mov_b32 s11, 0
	v_cmp_eq_u32_e64 s[0:1], 15, v0
	v_cndmask_b32_e64 v0, 0, 1, s[2:3]
	s_mov_b64 s[24:25], 0
	v_mov_b32_e32 v12, s13
	v_mov_b32_e32 v13, s15
	;; [unrolled: 1-line block ×3, first 2 shown]
	v_cmp_ne_u32_e64 s[2:3], 1, v0
	s_branch .LBB223_9
.LBB223_7:                              ;   in Loop: Header=BB223_9 Depth=1
	global_store_dword v[0:1], v4, off
.LBB223_8:                              ;   in Loop: Header=BB223_9 Depth=1
	s_or_b64 exec, exec, s[26:27]
	v_mov_b32_e32 v0, s11
	v_add_co_u32_e32 v2, vcc, s21, v2
	v_addc_co_u32_e32 v3, vcc, v3, v0, vcc
	v_cmp_le_i64_e32 vcc, s[8:9], v[2:3]
	s_or_b64 s[24:25], vcc, s[24:25]
	s_andn2_b64 exec, exec, s[24:25]
	s_cbranch_execz .LBB223_16
.LBB223_9:                              ; =>This Loop Header: Depth=1
                                        ;     Child Loop BB223_11 Depth 2
	v_lshlrev_b64 v[0:1], 3, v[2:3]
	v_add_co_u32_e32 v4, vcc, s14, v0
	v_addc_co_u32_e32 v5, vcc, v13, v1, vcc
	global_load_dwordx2 v[4:5], v[4:5], off
	v_add_co_u32_e32 v0, vcc, s12, v0
	v_addc_co_u32_e32 v1, vcc, v12, v1, vcc
	global_load_dwordx2 v[6:7], v[0:1], off
	v_mov_b32_e32 v16, 0
	s_waitcnt vmcnt(1)
	v_subrev_co_u32_e32 v0, vcc, s20, v4
	v_subb_co_u32_e32 v1, vcc, v5, v14, vcc
	s_waitcnt vmcnt(0)
	v_add_co_u32_e32 v4, vcc, v6, v10
	v_addc_co_u32_e32 v5, vcc, v7, v11, vcc
	v_cmp_lt_i64_e32 vcc, v[4:5], v[0:1]
	s_and_saveexec_b64 s[4:5], vcc
	s_cbranch_execz .LBB223_13
; %bb.10:                               ;   in Loop: Header=BB223_9 Depth=1
	v_lshlrev_b64 v[6:7], 1, v[4:5]
	v_mov_b32_e32 v8, s19
	v_add_co_u32_e32 v6, vcc, s18, v6
	v_addc_co_u32_e32 v7, vcc, v8, v7, vcc
	v_lshlrev_b64 v[8:9], 3, v[4:5]
	v_mov_b32_e32 v16, s17
	v_add_co_u32_e32 v8, vcc, s16, v8
	v_addc_co_u32_e32 v9, vcc, v16, v9, vcc
	s_mov_b64 s[26:27], 0
	v_mov_b32_e32 v16, 0
.LBB223_11:                             ;   Parent Loop BB223_9 Depth=1
                                        ; =>  This Inner Loop Header: Depth=2
	global_load_dwordx2 v[18:19], v[8:9], off
	global_load_ushort v17, v[6:7], off
	s_waitcnt vmcnt(1)
	v_lshlrev_b64 v[18:19], 1, v[18:19]
	v_add_co_u32_e32 v18, vcc, s23, v18
	v_addc_co_u32_e32 v19, vcc, v15, v19, vcc
	global_load_ushort v18, v[18:19], off
	v_add_co_u32_e32 v4, vcc, 16, v4
	v_addc_co_u32_e32 v5, vcc, 0, v5, vcc
	v_add_co_u32_e32 v6, vcc, 32, v6
	s_waitcnt vmcnt(1)
	v_cvt_f32_f16_e32 v17, v17
	v_addc_co_u32_e32 v7, vcc, 0, v7, vcc
	v_add_co_u32_e32 v8, vcc, 0x80, v8
	v_addc_co_u32_e32 v9, vcc, 0, v9, vcc
	v_cmp_ge_i64_e32 vcc, v[4:5], v[0:1]
	v_mul_f32_e32 v17, s10, v17
	s_or_b64 s[26:27], vcc, s[26:27]
	s_waitcnt vmcnt(0)
	v_fma_mix_f32 v16, v17, v18, v16 op_sel_hi:[0,1,0]
	s_andn2_b64 exec, exec, s[26:27]
	s_cbranch_execnz .LBB223_11
; %bb.12:                               ;   in Loop: Header=BB223_9 Depth=1
	s_or_b64 exec, exec, s[26:27]
.LBB223_13:                             ;   in Loop: Header=BB223_9 Depth=1
	s_or_b64 exec, exec, s[4:5]
	v_mov_b32_dpp v0, v16 row_shr:1 row_mask:0xf bank_mask:0xf
	v_add_f32_e32 v0, v16, v0
	s_nop 1
	v_mov_b32_dpp v1, v0 row_shr:2 row_mask:0xf bank_mask:0xf
	v_add_f32_e32 v0, v0, v1
	s_nop 1
	;; [unrolled: 3-line block ×3, first 2 shown]
	v_mov_b32_dpp v1, v0 row_shr:8 row_mask:0xf bank_mask:0xc
	s_and_saveexec_b64 s[26:27], s[0:1]
	s_cbranch_execz .LBB223_8
; %bb.14:                               ;   in Loop: Header=BB223_9 Depth=1
	v_add_f32_e32 v4, v0, v1
	v_lshlrev_b64 v[0:1], 2, v[2:3]
	v_mov_b32_e32 v5, s7
	v_add_co_u32_e64 v0, s[4:5], s6, v0
	s_and_b64 vcc, exec, s[2:3]
	v_addc_co_u32_e64 v1, s[4:5], v5, v1, s[4:5]
	s_cbranch_vccnz .LBB223_7
; %bb.15:                               ;   in Loop: Header=BB223_9 Depth=1
	global_load_dword v5, v[0:1], off
	s_waitcnt vmcnt(0)
	v_fmac_f32_e32 v4, s22, v5
	s_branch .LBB223_7
.LBB223_16:
	s_endpgm
	.section	.rodata,"a",@progbits
	.p2align	6, 0x0
	.amdhsa_kernel _ZN9rocsparseL21csrmvn_general_kernelILj256ELj16EllDF16_DF16_ffEEvbT2_NS_24const_host_device_scalarIT6_EEPKT1_S7_PKS1_PKT3_PKT4_S4_PT5_21rocsparse_index_base_b
		.amdhsa_group_segment_fixed_size 0
		.amdhsa_private_segment_fixed_size 0
		.amdhsa_kernarg_size 344
		.amdhsa_user_sgpr_count 6
		.amdhsa_user_sgpr_private_segment_buffer 1
		.amdhsa_user_sgpr_dispatch_ptr 0
		.amdhsa_user_sgpr_queue_ptr 0
		.amdhsa_user_sgpr_kernarg_segment_ptr 1
		.amdhsa_user_sgpr_dispatch_id 0
		.amdhsa_user_sgpr_flat_scratch_init 0
		.amdhsa_user_sgpr_kernarg_preload_length 0
		.amdhsa_user_sgpr_kernarg_preload_offset 0
		.amdhsa_user_sgpr_private_segment_size 0
		.amdhsa_uses_dynamic_stack 0
		.amdhsa_system_sgpr_private_segment_wavefront_offset 0
		.amdhsa_system_sgpr_workgroup_id_x 1
		.amdhsa_system_sgpr_workgroup_id_y 0
		.amdhsa_system_sgpr_workgroup_id_z 0
		.amdhsa_system_sgpr_workgroup_info 0
		.amdhsa_system_vgpr_workitem_id 0
		.amdhsa_next_free_vgpr 20
		.amdhsa_next_free_sgpr 28
		.amdhsa_accum_offset 20
		.amdhsa_reserve_vcc 1
		.amdhsa_reserve_flat_scratch 0
		.amdhsa_float_round_mode_32 0
		.amdhsa_float_round_mode_16_64 0
		.amdhsa_float_denorm_mode_32 3
		.amdhsa_float_denorm_mode_16_64 3
		.amdhsa_dx10_clamp 1
		.amdhsa_ieee_mode 1
		.amdhsa_fp16_overflow 0
		.amdhsa_tg_split 0
		.amdhsa_exception_fp_ieee_invalid_op 0
		.amdhsa_exception_fp_denorm_src 0
		.amdhsa_exception_fp_ieee_div_zero 0
		.amdhsa_exception_fp_ieee_overflow 0
		.amdhsa_exception_fp_ieee_underflow 0
		.amdhsa_exception_fp_ieee_inexact 0
		.amdhsa_exception_int_div_zero 0
	.end_amdhsa_kernel
	.section	.text._ZN9rocsparseL21csrmvn_general_kernelILj256ELj16EllDF16_DF16_ffEEvbT2_NS_24const_host_device_scalarIT6_EEPKT1_S7_PKS1_PKT3_PKT4_S4_PT5_21rocsparse_index_base_b,"axG",@progbits,_ZN9rocsparseL21csrmvn_general_kernelILj256ELj16EllDF16_DF16_ffEEvbT2_NS_24const_host_device_scalarIT6_EEPKT1_S7_PKS1_PKT3_PKT4_S4_PT5_21rocsparse_index_base_b,comdat
.Lfunc_end223:
	.size	_ZN9rocsparseL21csrmvn_general_kernelILj256ELj16EllDF16_DF16_ffEEvbT2_NS_24const_host_device_scalarIT6_EEPKT1_S7_PKS1_PKT3_PKT4_S4_PT5_21rocsparse_index_base_b, .Lfunc_end223-_ZN9rocsparseL21csrmvn_general_kernelILj256ELj16EllDF16_DF16_ffEEvbT2_NS_24const_host_device_scalarIT6_EEPKT1_S7_PKS1_PKT3_PKT4_S4_PT5_21rocsparse_index_base_b
                                        ; -- End function
	.section	.AMDGPU.csdata,"",@progbits
; Kernel info:
; codeLenInByte = 684
; NumSgprs: 32
; NumVgprs: 20
; NumAgprs: 0
; TotalNumVgprs: 20
; ScratchSize: 0
; MemoryBound: 0
; FloatMode: 240
; IeeeMode: 1
; LDSByteSize: 0 bytes/workgroup (compile time only)
; SGPRBlocks: 3
; VGPRBlocks: 2
; NumSGPRsForWavesPerEU: 32
; NumVGPRsForWavesPerEU: 20
; AccumOffset: 20
; Occupancy: 8
; WaveLimiterHint : 1
; COMPUTE_PGM_RSRC2:SCRATCH_EN: 0
; COMPUTE_PGM_RSRC2:USER_SGPR: 6
; COMPUTE_PGM_RSRC2:TRAP_HANDLER: 0
; COMPUTE_PGM_RSRC2:TGID_X_EN: 1
; COMPUTE_PGM_RSRC2:TGID_Y_EN: 0
; COMPUTE_PGM_RSRC2:TGID_Z_EN: 0
; COMPUTE_PGM_RSRC2:TIDIG_COMP_CNT: 0
; COMPUTE_PGM_RSRC3_GFX90A:ACCUM_OFFSET: 4
; COMPUTE_PGM_RSRC3_GFX90A:TG_SPLIT: 0
	.section	.text._ZN9rocsparseL21csrmvn_general_kernelILj256ELj32EllDF16_DF16_ffEEvbT2_NS_24const_host_device_scalarIT6_EEPKT1_S7_PKS1_PKT3_PKT4_S4_PT5_21rocsparse_index_base_b,"axG",@progbits,_ZN9rocsparseL21csrmvn_general_kernelILj256ELj32EllDF16_DF16_ffEEvbT2_NS_24const_host_device_scalarIT6_EEPKT1_S7_PKS1_PKT3_PKT4_S4_PT5_21rocsparse_index_base_b,comdat
	.globl	_ZN9rocsparseL21csrmvn_general_kernelILj256ELj32EllDF16_DF16_ffEEvbT2_NS_24const_host_device_scalarIT6_EEPKT1_S7_PKS1_PKT3_PKT4_S4_PT5_21rocsparse_index_base_b ; -- Begin function _ZN9rocsparseL21csrmvn_general_kernelILj256ELj32EllDF16_DF16_ffEEvbT2_NS_24const_host_device_scalarIT6_EEPKT1_S7_PKS1_PKT3_PKT4_S4_PT5_21rocsparse_index_base_b
	.p2align	8
	.type	_ZN9rocsparseL21csrmvn_general_kernelILj256ELj32EllDF16_DF16_ffEEvbT2_NS_24const_host_device_scalarIT6_EEPKT1_S7_PKS1_PKT3_PKT4_S4_PT5_21rocsparse_index_base_b,@function
_ZN9rocsparseL21csrmvn_general_kernelILj256ELj32EllDF16_DF16_ffEEvbT2_NS_24const_host_device_scalarIT6_EEPKT1_S7_PKS1_PKT3_PKT4_S4_PT5_21rocsparse_index_base_b: ; @_ZN9rocsparseL21csrmvn_general_kernelILj256ELj32EllDF16_DF16_ffEEvbT2_NS_24const_host_device_scalarIT6_EEPKT1_S7_PKS1_PKT3_PKT4_S4_PT5_21rocsparse_index_base_b
; %bb.0:
	s_load_dwordx2 s[20:21], s[4:5], 0x50
	s_load_dwordx2 s[22:23], s[4:5], 0x40
	s_load_dwordx8 s[8:15], s[4:5], 0x8
	s_waitcnt lgkmcnt(0)
	s_bitcmp1_b32 s21, 0
	s_cselect_b64 s[2:3], -1, 0
	s_xor_b64 s[0:1], s[2:3], -1
	s_and_b64 vcc, exec, s[2:3]
	s_cbranch_vccnz .LBB224_2
; %bb.1:
	s_load_dword s10, s[10:11], 0x0
.LBB224_2:
	s_andn2_b64 vcc, exec, s[0:1]
	s_cbranch_vccnz .LBB224_4
; %bb.3:
	s_load_dword s22, s[22:23], 0x0
.LBB224_4:
	s_waitcnt lgkmcnt(0)
	v_cmp_neq_f32_e64 s[0:1], s10, 0
	v_cmp_neq_f32_e64 s[2:3], s22, 1.0
	s_or_b64 s[0:1], s[0:1], s[2:3]
	s_andn2_b64 vcc, exec, s[0:1]
	s_cbranch_vccnz .LBB224_16
; %bb.5:
	v_lshl_or_b32 v1, s6, 8, v0
	v_lshrrev_b32_e32 v2, 5, v1
	v_mov_b32_e32 v3, 0
	v_cmp_gt_i64_e32 vcc, s[8:9], v[2:3]
	s_and_saveexec_b64 s[0:1], vcc
	s_cbranch_execz .LBB224_16
; %bb.6:
	s_load_dword s2, s[4:5], 0x58
	s_load_dwordx2 s[6:7], s[4:5], 0x48
	s_load_dwordx4 s[16:19], s[4:5], 0x28
	s_load_dwordx2 s[0:1], s[4:5], 0x38
	v_and_b32_e32 v0, 31, v0
	v_subrev_co_u32_e32 v10, vcc, s20, v0
	s_waitcnt lgkmcnt(0)
	s_lshl_b32 s21, s2, 3
	v_subb_co_u32_e64 v11, s[2:3], 0, 0, vcc
	s_ashr_i32 s3, s20, 31
	s_mov_b32 s2, s20
	s_lshl_b64 s[2:3], s[2:3], 1
	s_sub_u32 s23, s0, s2
	s_subb_u32 s2, s1, s3
	v_mov_b32_e32 v15, s2
	v_cmp_neq_f32_e64 s[2:3], s22, 0
	s_mov_b32 s11, 0
	v_cmp_eq_u32_e64 s[0:1], 31, v0
	v_cndmask_b32_e64 v0, 0, 1, s[2:3]
	s_mov_b64 s[24:25], 0
	v_mov_b32_e32 v12, s13
	v_mov_b32_e32 v13, s15
	;; [unrolled: 1-line block ×3, first 2 shown]
	v_cmp_ne_u32_e64 s[2:3], 1, v0
	s_branch .LBB224_9
.LBB224_7:                              ;   in Loop: Header=BB224_9 Depth=1
	global_store_dword v[0:1], v4, off
.LBB224_8:                              ;   in Loop: Header=BB224_9 Depth=1
	s_or_b64 exec, exec, s[26:27]
	v_mov_b32_e32 v0, s11
	v_add_co_u32_e32 v2, vcc, s21, v2
	v_addc_co_u32_e32 v3, vcc, v3, v0, vcc
	v_cmp_le_i64_e32 vcc, s[8:9], v[2:3]
	s_or_b64 s[24:25], vcc, s[24:25]
	s_andn2_b64 exec, exec, s[24:25]
	s_cbranch_execz .LBB224_16
.LBB224_9:                              ; =>This Loop Header: Depth=1
                                        ;     Child Loop BB224_11 Depth 2
	v_lshlrev_b64 v[0:1], 3, v[2:3]
	v_add_co_u32_e32 v4, vcc, s14, v0
	v_addc_co_u32_e32 v5, vcc, v13, v1, vcc
	global_load_dwordx2 v[4:5], v[4:5], off
	v_add_co_u32_e32 v0, vcc, s12, v0
	v_addc_co_u32_e32 v1, vcc, v12, v1, vcc
	global_load_dwordx2 v[6:7], v[0:1], off
	v_mov_b32_e32 v16, 0
	s_waitcnt vmcnt(1)
	v_subrev_co_u32_e32 v0, vcc, s20, v4
	v_subb_co_u32_e32 v1, vcc, v5, v14, vcc
	s_waitcnt vmcnt(0)
	v_add_co_u32_e32 v4, vcc, v6, v10
	v_addc_co_u32_e32 v5, vcc, v7, v11, vcc
	v_cmp_lt_i64_e32 vcc, v[4:5], v[0:1]
	s_and_saveexec_b64 s[4:5], vcc
	s_cbranch_execz .LBB224_13
; %bb.10:                               ;   in Loop: Header=BB224_9 Depth=1
	v_lshlrev_b64 v[6:7], 1, v[4:5]
	v_mov_b32_e32 v8, s19
	v_add_co_u32_e32 v6, vcc, s18, v6
	v_addc_co_u32_e32 v7, vcc, v8, v7, vcc
	v_lshlrev_b64 v[8:9], 3, v[4:5]
	v_mov_b32_e32 v16, s17
	v_add_co_u32_e32 v8, vcc, s16, v8
	v_addc_co_u32_e32 v9, vcc, v16, v9, vcc
	s_mov_b64 s[26:27], 0
	v_mov_b32_e32 v16, 0
.LBB224_11:                             ;   Parent Loop BB224_9 Depth=1
                                        ; =>  This Inner Loop Header: Depth=2
	global_load_dwordx2 v[18:19], v[8:9], off
	global_load_ushort v17, v[6:7], off
	s_waitcnt vmcnt(1)
	v_lshlrev_b64 v[18:19], 1, v[18:19]
	v_add_co_u32_e32 v18, vcc, s23, v18
	v_addc_co_u32_e32 v19, vcc, v15, v19, vcc
	global_load_ushort v18, v[18:19], off
	v_add_co_u32_e32 v4, vcc, 32, v4
	v_addc_co_u32_e32 v5, vcc, 0, v5, vcc
	v_add_co_u32_e32 v6, vcc, 64, v6
	s_waitcnt vmcnt(1)
	v_cvt_f32_f16_e32 v17, v17
	v_addc_co_u32_e32 v7, vcc, 0, v7, vcc
	v_add_co_u32_e32 v8, vcc, 0x100, v8
	v_addc_co_u32_e32 v9, vcc, 0, v9, vcc
	v_cmp_ge_i64_e32 vcc, v[4:5], v[0:1]
	v_mul_f32_e32 v17, s10, v17
	s_or_b64 s[26:27], vcc, s[26:27]
	s_waitcnt vmcnt(0)
	v_fma_mix_f32 v16, v17, v18, v16 op_sel_hi:[0,1,0]
	s_andn2_b64 exec, exec, s[26:27]
	s_cbranch_execnz .LBB224_11
; %bb.12:                               ;   in Loop: Header=BB224_9 Depth=1
	s_or_b64 exec, exec, s[26:27]
.LBB224_13:                             ;   in Loop: Header=BB224_9 Depth=1
	s_or_b64 exec, exec, s[4:5]
	v_mov_b32_dpp v0, v16 row_shr:1 row_mask:0xf bank_mask:0xf
	v_add_f32_e32 v0, v16, v0
	s_nop 1
	v_mov_b32_dpp v1, v0 row_shr:2 row_mask:0xf bank_mask:0xf
	v_add_f32_e32 v0, v0, v1
	s_nop 1
	;; [unrolled: 3-line block ×4, first 2 shown]
	v_mov_b32_dpp v1, v0 row_bcast:15 row_mask:0xa bank_mask:0xf
	s_and_saveexec_b64 s[26:27], s[0:1]
	s_cbranch_execz .LBB224_8
; %bb.14:                               ;   in Loop: Header=BB224_9 Depth=1
	v_add_f32_e32 v4, v0, v1
	v_lshlrev_b64 v[0:1], 2, v[2:3]
	v_mov_b32_e32 v5, s7
	v_add_co_u32_e64 v0, s[4:5], s6, v0
	s_and_b64 vcc, exec, s[2:3]
	v_addc_co_u32_e64 v1, s[4:5], v5, v1, s[4:5]
	s_cbranch_vccnz .LBB224_7
; %bb.15:                               ;   in Loop: Header=BB224_9 Depth=1
	global_load_dword v5, v[0:1], off
	s_waitcnt vmcnt(0)
	v_fmac_f32_e32 v4, s22, v5
	s_branch .LBB224_7
.LBB224_16:
	s_endpgm
	.section	.rodata,"a",@progbits
	.p2align	6, 0x0
	.amdhsa_kernel _ZN9rocsparseL21csrmvn_general_kernelILj256ELj32EllDF16_DF16_ffEEvbT2_NS_24const_host_device_scalarIT6_EEPKT1_S7_PKS1_PKT3_PKT4_S4_PT5_21rocsparse_index_base_b
		.amdhsa_group_segment_fixed_size 0
		.amdhsa_private_segment_fixed_size 0
		.amdhsa_kernarg_size 344
		.amdhsa_user_sgpr_count 6
		.amdhsa_user_sgpr_private_segment_buffer 1
		.amdhsa_user_sgpr_dispatch_ptr 0
		.amdhsa_user_sgpr_queue_ptr 0
		.amdhsa_user_sgpr_kernarg_segment_ptr 1
		.amdhsa_user_sgpr_dispatch_id 0
		.amdhsa_user_sgpr_flat_scratch_init 0
		.amdhsa_user_sgpr_kernarg_preload_length 0
		.amdhsa_user_sgpr_kernarg_preload_offset 0
		.amdhsa_user_sgpr_private_segment_size 0
		.amdhsa_uses_dynamic_stack 0
		.amdhsa_system_sgpr_private_segment_wavefront_offset 0
		.amdhsa_system_sgpr_workgroup_id_x 1
		.amdhsa_system_sgpr_workgroup_id_y 0
		.amdhsa_system_sgpr_workgroup_id_z 0
		.amdhsa_system_sgpr_workgroup_info 0
		.amdhsa_system_vgpr_workitem_id 0
		.amdhsa_next_free_vgpr 20
		.amdhsa_next_free_sgpr 28
		.amdhsa_accum_offset 20
		.amdhsa_reserve_vcc 1
		.amdhsa_reserve_flat_scratch 0
		.amdhsa_float_round_mode_32 0
		.amdhsa_float_round_mode_16_64 0
		.amdhsa_float_denorm_mode_32 3
		.amdhsa_float_denorm_mode_16_64 3
		.amdhsa_dx10_clamp 1
		.amdhsa_ieee_mode 1
		.amdhsa_fp16_overflow 0
		.amdhsa_tg_split 0
		.amdhsa_exception_fp_ieee_invalid_op 0
		.amdhsa_exception_fp_denorm_src 0
		.amdhsa_exception_fp_ieee_div_zero 0
		.amdhsa_exception_fp_ieee_overflow 0
		.amdhsa_exception_fp_ieee_underflow 0
		.amdhsa_exception_fp_ieee_inexact 0
		.amdhsa_exception_int_div_zero 0
	.end_amdhsa_kernel
	.section	.text._ZN9rocsparseL21csrmvn_general_kernelILj256ELj32EllDF16_DF16_ffEEvbT2_NS_24const_host_device_scalarIT6_EEPKT1_S7_PKS1_PKT3_PKT4_S4_PT5_21rocsparse_index_base_b,"axG",@progbits,_ZN9rocsparseL21csrmvn_general_kernelILj256ELj32EllDF16_DF16_ffEEvbT2_NS_24const_host_device_scalarIT6_EEPKT1_S7_PKS1_PKT3_PKT4_S4_PT5_21rocsparse_index_base_b,comdat
.Lfunc_end224:
	.size	_ZN9rocsparseL21csrmvn_general_kernelILj256ELj32EllDF16_DF16_ffEEvbT2_NS_24const_host_device_scalarIT6_EEPKT1_S7_PKS1_PKT3_PKT4_S4_PT5_21rocsparse_index_base_b, .Lfunc_end224-_ZN9rocsparseL21csrmvn_general_kernelILj256ELj32EllDF16_DF16_ffEEvbT2_NS_24const_host_device_scalarIT6_EEPKT1_S7_PKS1_PKT3_PKT4_S4_PT5_21rocsparse_index_base_b
                                        ; -- End function
	.section	.AMDGPU.csdata,"",@progbits
; Kernel info:
; codeLenInByte = 700
; NumSgprs: 32
; NumVgprs: 20
; NumAgprs: 0
; TotalNumVgprs: 20
; ScratchSize: 0
; MemoryBound: 0
; FloatMode: 240
; IeeeMode: 1
; LDSByteSize: 0 bytes/workgroup (compile time only)
; SGPRBlocks: 3
; VGPRBlocks: 2
; NumSGPRsForWavesPerEU: 32
; NumVGPRsForWavesPerEU: 20
; AccumOffset: 20
; Occupancy: 8
; WaveLimiterHint : 1
; COMPUTE_PGM_RSRC2:SCRATCH_EN: 0
; COMPUTE_PGM_RSRC2:USER_SGPR: 6
; COMPUTE_PGM_RSRC2:TRAP_HANDLER: 0
; COMPUTE_PGM_RSRC2:TGID_X_EN: 1
; COMPUTE_PGM_RSRC2:TGID_Y_EN: 0
; COMPUTE_PGM_RSRC2:TGID_Z_EN: 0
; COMPUTE_PGM_RSRC2:TIDIG_COMP_CNT: 0
; COMPUTE_PGM_RSRC3_GFX90A:ACCUM_OFFSET: 4
; COMPUTE_PGM_RSRC3_GFX90A:TG_SPLIT: 0
	.section	.text._ZN9rocsparseL21csrmvn_general_kernelILj256ELj64EllDF16_DF16_ffEEvbT2_NS_24const_host_device_scalarIT6_EEPKT1_S7_PKS1_PKT3_PKT4_S4_PT5_21rocsparse_index_base_b,"axG",@progbits,_ZN9rocsparseL21csrmvn_general_kernelILj256ELj64EllDF16_DF16_ffEEvbT2_NS_24const_host_device_scalarIT6_EEPKT1_S7_PKS1_PKT3_PKT4_S4_PT5_21rocsparse_index_base_b,comdat
	.globl	_ZN9rocsparseL21csrmvn_general_kernelILj256ELj64EllDF16_DF16_ffEEvbT2_NS_24const_host_device_scalarIT6_EEPKT1_S7_PKS1_PKT3_PKT4_S4_PT5_21rocsparse_index_base_b ; -- Begin function _ZN9rocsparseL21csrmvn_general_kernelILj256ELj64EllDF16_DF16_ffEEvbT2_NS_24const_host_device_scalarIT6_EEPKT1_S7_PKS1_PKT3_PKT4_S4_PT5_21rocsparse_index_base_b
	.p2align	8
	.type	_ZN9rocsparseL21csrmvn_general_kernelILj256ELj64EllDF16_DF16_ffEEvbT2_NS_24const_host_device_scalarIT6_EEPKT1_S7_PKS1_PKT3_PKT4_S4_PT5_21rocsparse_index_base_b,@function
_ZN9rocsparseL21csrmvn_general_kernelILj256ELj64EllDF16_DF16_ffEEvbT2_NS_24const_host_device_scalarIT6_EEPKT1_S7_PKS1_PKT3_PKT4_S4_PT5_21rocsparse_index_base_b: ; @_ZN9rocsparseL21csrmvn_general_kernelILj256ELj64EllDF16_DF16_ffEEvbT2_NS_24const_host_device_scalarIT6_EEPKT1_S7_PKS1_PKT3_PKT4_S4_PT5_21rocsparse_index_base_b
; %bb.0:
	s_load_dwordx2 s[20:21], s[4:5], 0x50
	s_load_dwordx2 s[22:23], s[4:5], 0x40
	s_load_dwordx8 s[8:15], s[4:5], 0x8
	s_waitcnt lgkmcnt(0)
	s_bitcmp1_b32 s21, 0
	s_cselect_b64 s[2:3], -1, 0
	s_xor_b64 s[0:1], s[2:3], -1
	s_and_b64 vcc, exec, s[2:3]
	s_cbranch_vccnz .LBB225_2
; %bb.1:
	s_load_dword s10, s[10:11], 0x0
.LBB225_2:
	s_andn2_b64 vcc, exec, s[0:1]
	s_cbranch_vccnz .LBB225_4
; %bb.3:
	s_load_dword s22, s[22:23], 0x0
.LBB225_4:
	s_waitcnt lgkmcnt(0)
	v_cmp_neq_f32_e64 s[0:1], s10, 0
	v_cmp_neq_f32_e64 s[2:3], s22, 1.0
	s_or_b64 s[0:1], s[0:1], s[2:3]
	s_andn2_b64 vcc, exec, s[0:1]
	s_cbranch_vccnz .LBB225_16
; %bb.5:
	v_lshl_or_b32 v1, s6, 8, v0
	v_lshrrev_b32_e32 v2, 6, v1
	v_mov_b32_e32 v3, 0
	v_cmp_gt_i64_e32 vcc, s[8:9], v[2:3]
	s_and_saveexec_b64 s[0:1], vcc
	s_cbranch_execz .LBB225_16
; %bb.6:
	s_load_dword s2, s[4:5], 0x58
	s_load_dwordx2 s[6:7], s[4:5], 0x48
	s_load_dwordx4 s[16:19], s[4:5], 0x28
	s_load_dwordx2 s[0:1], s[4:5], 0x38
	v_and_b32_e32 v0, 63, v0
	v_subrev_co_u32_e32 v10, vcc, s20, v0
	s_waitcnt lgkmcnt(0)
	s_lshl_b32 s21, s2, 2
	v_subb_co_u32_e64 v11, s[2:3], 0, 0, vcc
	s_ashr_i32 s3, s20, 31
	s_mov_b32 s2, s20
	s_lshl_b64 s[2:3], s[2:3], 1
	s_sub_u32 s23, s0, s2
	s_subb_u32 s2, s1, s3
	v_mov_b32_e32 v15, s2
	v_cmp_neq_f32_e64 s[2:3], s22, 0
	s_mov_b32 s11, 0
	v_cmp_eq_u32_e64 s[0:1], 63, v0
	v_cndmask_b32_e64 v0, 0, 1, s[2:3]
	s_mov_b64 s[24:25], 0
	v_mov_b32_e32 v12, s13
	v_mov_b32_e32 v13, s15
	;; [unrolled: 1-line block ×3, first 2 shown]
	v_cmp_ne_u32_e64 s[2:3], 1, v0
	s_branch .LBB225_9
.LBB225_7:                              ;   in Loop: Header=BB225_9 Depth=1
	global_store_dword v[0:1], v4, off
.LBB225_8:                              ;   in Loop: Header=BB225_9 Depth=1
	s_or_b64 exec, exec, s[26:27]
	v_mov_b32_e32 v0, s11
	v_add_co_u32_e32 v2, vcc, s21, v2
	v_addc_co_u32_e32 v3, vcc, v3, v0, vcc
	v_cmp_le_i64_e32 vcc, s[8:9], v[2:3]
	s_or_b64 s[24:25], vcc, s[24:25]
	s_andn2_b64 exec, exec, s[24:25]
	s_cbranch_execz .LBB225_16
.LBB225_9:                              ; =>This Loop Header: Depth=1
                                        ;     Child Loop BB225_11 Depth 2
	v_lshlrev_b64 v[0:1], 3, v[2:3]
	v_add_co_u32_e32 v4, vcc, s14, v0
	v_addc_co_u32_e32 v5, vcc, v13, v1, vcc
	global_load_dwordx2 v[4:5], v[4:5], off
	v_add_co_u32_e32 v0, vcc, s12, v0
	v_addc_co_u32_e32 v1, vcc, v12, v1, vcc
	global_load_dwordx2 v[6:7], v[0:1], off
	v_mov_b32_e32 v16, 0
	s_waitcnt vmcnt(1)
	v_subrev_co_u32_e32 v0, vcc, s20, v4
	v_subb_co_u32_e32 v1, vcc, v5, v14, vcc
	s_waitcnt vmcnt(0)
	v_add_co_u32_e32 v4, vcc, v6, v10
	v_addc_co_u32_e32 v5, vcc, v7, v11, vcc
	v_cmp_lt_i64_e32 vcc, v[4:5], v[0:1]
	s_and_saveexec_b64 s[26:27], vcc
	s_cbranch_execz .LBB225_13
; %bb.10:                               ;   in Loop: Header=BB225_9 Depth=1
	v_lshlrev_b64 v[6:7], 1, v[4:5]
	v_mov_b32_e32 v8, s19
	v_add_co_u32_e32 v6, vcc, s18, v6
	v_addc_co_u32_e32 v7, vcc, v8, v7, vcc
	v_lshlrev_b64 v[8:9], 3, v[4:5]
	v_mov_b32_e32 v16, s17
	v_add_co_u32_e32 v8, vcc, s16, v8
	v_addc_co_u32_e32 v9, vcc, v16, v9, vcc
	s_mov_b64 s[28:29], 0
	v_mov_b32_e32 v16, 0
.LBB225_11:                             ;   Parent Loop BB225_9 Depth=1
                                        ; =>  This Inner Loop Header: Depth=2
	global_load_dwordx2 v[18:19], v[8:9], off
	global_load_ushort v17, v[6:7], off
	s_waitcnt vmcnt(1)
	v_lshlrev_b64 v[18:19], 1, v[18:19]
	v_add_co_u32_e32 v18, vcc, s23, v18
	v_addc_co_u32_e32 v19, vcc, v15, v19, vcc
	global_load_ushort v18, v[18:19], off
	v_add_co_u32_e32 v4, vcc, 64, v4
	s_waitcnt vmcnt(1)
	v_cvt_f32_f16_e32 v17, v17
	v_addc_co_u32_e32 v5, vcc, 0, v5, vcc
	v_add_co_u32_e32 v6, vcc, 0x80, v6
	v_addc_co_u32_e32 v7, vcc, 0, v7, vcc
	v_add_co_u32_e32 v8, vcc, 0x200, v8
	v_cmp_ge_i64_e64 s[4:5], v[4:5], v[0:1]
	v_mul_f32_e32 v17, s10, v17
	v_addc_co_u32_e32 v9, vcc, 0, v9, vcc
	s_or_b64 s[28:29], s[4:5], s[28:29]
	s_waitcnt vmcnt(0)
	v_fma_mix_f32 v16, v17, v18, v16 op_sel_hi:[0,1,0]
	s_andn2_b64 exec, exec, s[28:29]
	s_cbranch_execnz .LBB225_11
; %bb.12:                               ;   in Loop: Header=BB225_9 Depth=1
	s_or_b64 exec, exec, s[28:29]
.LBB225_13:                             ;   in Loop: Header=BB225_9 Depth=1
	s_or_b64 exec, exec, s[26:27]
	v_mov_b32_dpp v0, v16 row_shr:1 row_mask:0xf bank_mask:0xf
	v_add_f32_e32 v0, v16, v0
	s_nop 1
	v_mov_b32_dpp v1, v0 row_shr:2 row_mask:0xf bank_mask:0xf
	v_add_f32_e32 v0, v0, v1
	s_nop 1
	;; [unrolled: 3-line block ×4, first 2 shown]
	v_mov_b32_dpp v1, v0 row_bcast:15 row_mask:0xa bank_mask:0xf
	v_add_f32_e32 v0, v0, v1
	s_nop 1
	v_mov_b32_dpp v1, v0 row_bcast:31 row_mask:0xc bank_mask:0xf
	s_and_saveexec_b64 s[26:27], s[0:1]
	s_cbranch_execz .LBB225_8
; %bb.14:                               ;   in Loop: Header=BB225_9 Depth=1
	v_add_f32_e32 v4, v0, v1
	v_lshlrev_b64 v[0:1], 2, v[2:3]
	v_mov_b32_e32 v5, s7
	v_add_co_u32_e64 v0, s[4:5], s6, v0
	s_and_b64 vcc, exec, s[2:3]
	v_addc_co_u32_e64 v1, s[4:5], v5, v1, s[4:5]
	s_cbranch_vccnz .LBB225_7
; %bb.15:                               ;   in Loop: Header=BB225_9 Depth=1
	global_load_dword v5, v[0:1], off
	s_waitcnt vmcnt(0)
	v_fmac_f32_e32 v4, s22, v5
	s_branch .LBB225_7
.LBB225_16:
	s_endpgm
	.section	.rodata,"a",@progbits
	.p2align	6, 0x0
	.amdhsa_kernel _ZN9rocsparseL21csrmvn_general_kernelILj256ELj64EllDF16_DF16_ffEEvbT2_NS_24const_host_device_scalarIT6_EEPKT1_S7_PKS1_PKT3_PKT4_S4_PT5_21rocsparse_index_base_b
		.amdhsa_group_segment_fixed_size 0
		.amdhsa_private_segment_fixed_size 0
		.amdhsa_kernarg_size 344
		.amdhsa_user_sgpr_count 6
		.amdhsa_user_sgpr_private_segment_buffer 1
		.amdhsa_user_sgpr_dispatch_ptr 0
		.amdhsa_user_sgpr_queue_ptr 0
		.amdhsa_user_sgpr_kernarg_segment_ptr 1
		.amdhsa_user_sgpr_dispatch_id 0
		.amdhsa_user_sgpr_flat_scratch_init 0
		.amdhsa_user_sgpr_kernarg_preload_length 0
		.amdhsa_user_sgpr_kernarg_preload_offset 0
		.amdhsa_user_sgpr_private_segment_size 0
		.amdhsa_uses_dynamic_stack 0
		.amdhsa_system_sgpr_private_segment_wavefront_offset 0
		.amdhsa_system_sgpr_workgroup_id_x 1
		.amdhsa_system_sgpr_workgroup_id_y 0
		.amdhsa_system_sgpr_workgroup_id_z 0
		.amdhsa_system_sgpr_workgroup_info 0
		.amdhsa_system_vgpr_workitem_id 0
		.amdhsa_next_free_vgpr 20
		.amdhsa_next_free_sgpr 30
		.amdhsa_accum_offset 20
		.amdhsa_reserve_vcc 1
		.amdhsa_reserve_flat_scratch 0
		.amdhsa_float_round_mode_32 0
		.amdhsa_float_round_mode_16_64 0
		.amdhsa_float_denorm_mode_32 3
		.amdhsa_float_denorm_mode_16_64 3
		.amdhsa_dx10_clamp 1
		.amdhsa_ieee_mode 1
		.amdhsa_fp16_overflow 0
		.amdhsa_tg_split 0
		.amdhsa_exception_fp_ieee_invalid_op 0
		.amdhsa_exception_fp_denorm_src 0
		.amdhsa_exception_fp_ieee_div_zero 0
		.amdhsa_exception_fp_ieee_overflow 0
		.amdhsa_exception_fp_ieee_underflow 0
		.amdhsa_exception_fp_ieee_inexact 0
		.amdhsa_exception_int_div_zero 0
	.end_amdhsa_kernel
	.section	.text._ZN9rocsparseL21csrmvn_general_kernelILj256ELj64EllDF16_DF16_ffEEvbT2_NS_24const_host_device_scalarIT6_EEPKT1_S7_PKS1_PKT3_PKT4_S4_PT5_21rocsparse_index_base_b,"axG",@progbits,_ZN9rocsparseL21csrmvn_general_kernelILj256ELj64EllDF16_DF16_ffEEvbT2_NS_24const_host_device_scalarIT6_EEPKT1_S7_PKS1_PKT3_PKT4_S4_PT5_21rocsparse_index_base_b,comdat
.Lfunc_end225:
	.size	_ZN9rocsparseL21csrmvn_general_kernelILj256ELj64EllDF16_DF16_ffEEvbT2_NS_24const_host_device_scalarIT6_EEPKT1_S7_PKS1_PKT3_PKT4_S4_PT5_21rocsparse_index_base_b, .Lfunc_end225-_ZN9rocsparseL21csrmvn_general_kernelILj256ELj64EllDF16_DF16_ffEEvbT2_NS_24const_host_device_scalarIT6_EEPKT1_S7_PKS1_PKT3_PKT4_S4_PT5_21rocsparse_index_base_b
                                        ; -- End function
	.section	.AMDGPU.csdata,"",@progbits
; Kernel info:
; codeLenInByte = 724
; NumSgprs: 34
; NumVgprs: 20
; NumAgprs: 0
; TotalNumVgprs: 20
; ScratchSize: 0
; MemoryBound: 0
; FloatMode: 240
; IeeeMode: 1
; LDSByteSize: 0 bytes/workgroup (compile time only)
; SGPRBlocks: 4
; VGPRBlocks: 2
; NumSGPRsForWavesPerEU: 34
; NumVGPRsForWavesPerEU: 20
; AccumOffset: 20
; Occupancy: 8
; WaveLimiterHint : 1
; COMPUTE_PGM_RSRC2:SCRATCH_EN: 0
; COMPUTE_PGM_RSRC2:USER_SGPR: 6
; COMPUTE_PGM_RSRC2:TRAP_HANDLER: 0
; COMPUTE_PGM_RSRC2:TGID_X_EN: 1
; COMPUTE_PGM_RSRC2:TGID_Y_EN: 0
; COMPUTE_PGM_RSRC2:TGID_Z_EN: 0
; COMPUTE_PGM_RSRC2:TIDIG_COMP_CNT: 0
; COMPUTE_PGM_RSRC3_GFX90A:ACCUM_OFFSET: 4
; COMPUTE_PGM_RSRC3_GFX90A:TG_SPLIT: 0
	.section	.text._ZN9rocsparseL21csrmvt_general_kernelILj256ELj4EllDF16_DF16_ffEEvbbT2_NS_24const_host_device_scalarIT6_EEPKT1_S7_PKS1_PKT3_PKT4_PT5_21rocsparse_index_base_b,"axG",@progbits,_ZN9rocsparseL21csrmvt_general_kernelILj256ELj4EllDF16_DF16_ffEEvbbT2_NS_24const_host_device_scalarIT6_EEPKT1_S7_PKS1_PKT3_PKT4_PT5_21rocsparse_index_base_b,comdat
	.globl	_ZN9rocsparseL21csrmvt_general_kernelILj256ELj4EllDF16_DF16_ffEEvbbT2_NS_24const_host_device_scalarIT6_EEPKT1_S7_PKS1_PKT3_PKT4_PT5_21rocsparse_index_base_b ; -- Begin function _ZN9rocsparseL21csrmvt_general_kernelILj256ELj4EllDF16_DF16_ffEEvbbT2_NS_24const_host_device_scalarIT6_EEPKT1_S7_PKS1_PKT3_PKT4_PT5_21rocsparse_index_base_b
	.p2align	8
	.type	_ZN9rocsparseL21csrmvt_general_kernelILj256ELj4EllDF16_DF16_ffEEvbbT2_NS_24const_host_device_scalarIT6_EEPKT1_S7_PKS1_PKT3_PKT4_PT5_21rocsparse_index_base_b,@function
_ZN9rocsparseL21csrmvt_general_kernelILj256ELj4EllDF16_DF16_ffEEvbbT2_NS_24const_host_device_scalarIT6_EEPKT1_S7_PKS1_PKT3_PKT4_PT5_21rocsparse_index_base_b: ; @_ZN9rocsparseL21csrmvt_general_kernelILj256ELj4EllDF16_DF16_ffEEvbbT2_NS_24const_host_device_scalarIT6_EEPKT1_S7_PKS1_PKT3_PKT4_PT5_21rocsparse_index_base_b
; %bb.0:
	s_load_dwordx2 s[2:3], s[4:5], 0x48
	s_load_dwordx8 s[8:15], s[4:5], 0x8
	s_waitcnt lgkmcnt(0)
	s_bitcmp1_b32 s3, 0
	s_cselect_b64 s[0:1], -1, 0
	s_and_b64 vcc, exec, s[0:1]
	s_cbranch_vccnz .LBB226_2
; %bb.1:
	s_load_dword s10, s[10:11], 0x0
.LBB226_2:
	s_waitcnt lgkmcnt(0)
	v_cmp_eq_f32_e64 s[0:1], s10, 0
	s_and_b64 vcc, exec, s[0:1]
	s_cbranch_vccnz .LBB226_23
; %bb.3:
	s_load_dword s0, s[4:5], 0x0
	s_load_dword s1, s[4:5], 0x50
	s_load_dwordx8 s[16:23], s[4:5], 0x28
	v_and_b32_e32 v12, 3, v0
	v_lshl_or_b32 v0, s6, 8, v0
	s_waitcnt lgkmcnt(0)
	s_and_b32 s0, s0, 1
	s_lshl_b32 s3, s1, 6
	v_lshrrev_b32_e32 v0, 2, v0
	v_mov_b32_e32 v1, 0
	s_cmp_eq_u32 s0, 0
	v_cmp_gt_i64_e64 s[0:1], s[8:9], v[0:1]
	s_mov_b64 s[4:5], -1
	s_cbranch_scc0 .LBB226_13
; %bb.4:
	s_and_saveexec_b64 s[4:5], s[0:1]
	s_cbranch_execz .LBB226_12
; %bb.5:
	v_subrev_co_u32_e32 v13, vcc, s2, v12
	s_mov_b32 s11, 0
	v_subb_co_u32_e64 v14, s[6:7], 0, 0, vcc
	s_mov_b64 s[6:7], 0
	v_mov_b32_e32 v15, s13
	v_mov_b32_e32 v16, s15
	;; [unrolled: 1-line block ×3, first 2 shown]
	v_pk_mov_b32 v[2:3], v[0:1], v[0:1] op_sel:[0,1]
	s_branch .LBB226_7
.LBB226_6:                              ;   in Loop: Header=BB226_7 Depth=1
	s_or_b64 exec, exec, s[24:25]
	v_add_co_u32_e32 v2, vcc, s3, v2
	v_addc_co_u32_e32 v3, vcc, 0, v3, vcc
	v_cmp_le_i64_e32 vcc, s[8:9], v[2:3]
	s_or_b64 s[6:7], vcc, s[6:7]
	s_andn2_b64 exec, exec, s[6:7]
	s_cbranch_execz .LBB226_12
.LBB226_7:                              ; =>This Loop Header: Depth=1
                                        ;     Child Loop BB226_9 Depth 2
                                        ;       Child Loop BB226_10 Depth 3
	v_lshlrev_b64 v[4:5], 3, v[2:3]
	v_add_co_u32_e32 v6, vcc, s14, v4
	v_addc_co_u32_e32 v7, vcc, v16, v5, vcc
	global_load_dwordx2 v[6:7], v[6:7], off
	v_add_co_u32_e32 v4, vcc, s12, v4
	v_addc_co_u32_e32 v5, vcc, v15, v5, vcc
	global_load_dwordx2 v[8:9], v[4:5], off
	s_waitcnt vmcnt(1)
	v_subrev_co_u32_e32 v4, vcc, s2, v6
	v_subb_co_u32_e32 v5, vcc, v7, v17, vcc
	s_waitcnt vmcnt(0)
	v_add_co_u32_e32 v6, vcc, v8, v13
	v_addc_co_u32_e32 v7, vcc, v9, v14, vcc
	v_cmp_lt_i64_e32 vcc, v[6:7], v[4:5]
	s_and_saveexec_b64 s[24:25], vcc
	s_cbranch_execz .LBB226_6
; %bb.8:                                ;   in Loop: Header=BB226_7 Depth=1
	v_lshlrev_b64 v[8:9], 1, v[2:3]
	v_mov_b32_e32 v10, s21
	v_add_co_u32_e32 v8, vcc, s20, v8
	v_addc_co_u32_e32 v9, vcc, v10, v9, vcc
	global_load_ushort v8, v[8:9], off
	s_mov_b64 s[26:27], 0
	s_waitcnt vmcnt(0)
	v_cvt_f32_f16_e32 v8, v8
	v_mul_f32_e32 v18, s10, v8
.LBB226_9:                              ;   Parent Loop BB226_7 Depth=1
                                        ; =>  This Loop Header: Depth=2
                                        ;       Child Loop BB226_10 Depth 3
	v_lshlrev_b64 v[8:9], 3, v[6:7]
	v_mov_b32_e32 v10, s17
	v_add_co_u32_e32 v8, vcc, s16, v8
	v_addc_co_u32_e32 v9, vcc, v10, v9, vcc
	global_load_dwordx2 v[8:9], v[8:9], off
	v_lshlrev_b64 v[10:11], 1, v[6:7]
	v_mov_b32_e32 v19, s19
	v_add_co_u32_e32 v10, vcc, s18, v10
	v_addc_co_u32_e32 v11, vcc, v19, v11, vcc
	global_load_ushort v10, v[10:11], off
	v_mov_b32_e32 v20, s23
	s_mov_b64 s[28:29], 0
	s_waitcnt vmcnt(1)
	v_subrev_co_u32_e32 v8, vcc, s2, v8
	v_subb_co_u32_e32 v9, vcc, v9, v17, vcc
	v_lshlrev_b64 v[8:9], 2, v[8:9]
	v_add_co_u32_e32 v8, vcc, s22, v8
	v_addc_co_u32_e32 v9, vcc, v20, v9, vcc
	global_load_dword v11, v[8:9], off
	s_waitcnt vmcnt(1)
	v_cvt_f32_f16_e32 v10, v10
	v_mul_f32_e32 v19, v18, v10
.LBB226_10:                             ;   Parent Loop BB226_7 Depth=1
                                        ;     Parent Loop BB226_9 Depth=2
                                        ; =>    This Inner Loop Header: Depth=3
	s_waitcnt vmcnt(0)
	v_add_f32_e32 v10, v11, v19
	global_atomic_cmpswap v10, v[8:9], v[10:11], off glc
	s_waitcnt vmcnt(0)
	v_cmp_eq_u32_e32 vcc, v10, v11
	s_or_b64 s[28:29], vcc, s[28:29]
	v_mov_b32_e32 v11, v10
	s_andn2_b64 exec, exec, s[28:29]
	s_cbranch_execnz .LBB226_10
; %bb.11:                               ;   in Loop: Header=BB226_9 Depth=2
	s_or_b64 exec, exec, s[28:29]
	v_add_co_u32_e32 v6, vcc, 4, v6
	v_addc_co_u32_e32 v7, vcc, 0, v7, vcc
	v_cmp_ge_i64_e32 vcc, v[6:7], v[4:5]
	s_or_b64 s[26:27], vcc, s[26:27]
	s_andn2_b64 exec, exec, s[26:27]
	s_cbranch_execnz .LBB226_9
	s_branch .LBB226_6
.LBB226_12:
	s_or_b64 exec, exec, s[4:5]
	s_mov_b64 s[4:5], 0
.LBB226_13:
	s_andn2_b64 vcc, exec, s[4:5]
	s_cbranch_vccnz .LBB226_23
; %bb.14:
	s_and_saveexec_b64 s[4:5], s[0:1]
	s_cbranch_execz .LBB226_23
; %bb.15:
	v_subrev_co_u32_e32 v10, vcc, s2, v12
	s_mov_b32 s4, 0
	v_subb_co_u32_e64 v11, s[0:1], 0, 0, vcc
	s_mov_b64 s[0:1], 0
	v_mov_b32_e32 v12, s13
	v_mov_b32_e32 v13, s15
	;; [unrolled: 1-line block ×3, first 2 shown]
	s_branch .LBB226_17
.LBB226_16:                             ;   in Loop: Header=BB226_17 Depth=1
	s_or_b64 exec, exec, s[4:5]
	v_add_co_u32_e32 v0, vcc, s3, v0
	v_addc_co_u32_e32 v1, vcc, 0, v1, vcc
	v_cmp_le_i64_e32 vcc, s[8:9], v[0:1]
	s_or_b64 s[0:1], vcc, s[0:1]
	s_andn2_b64 exec, exec, s[0:1]
	s_cbranch_execz .LBB226_23
.LBB226_17:                             ; =>This Loop Header: Depth=1
                                        ;     Child Loop BB226_20 Depth 2
                                        ;       Child Loop BB226_22 Depth 3
	v_lshlrev_b64 v[2:3], 3, v[0:1]
	v_add_co_u32_e32 v4, vcc, s14, v2
	v_addc_co_u32_e32 v5, vcc, v13, v3, vcc
	global_load_dwordx2 v[4:5], v[4:5], off
	v_add_co_u32_e32 v2, vcc, s12, v2
	v_addc_co_u32_e32 v3, vcc, v12, v3, vcc
	global_load_dwordx2 v[6:7], v[2:3], off
	s_waitcnt vmcnt(1)
	v_subrev_co_u32_e32 v2, vcc, s2, v4
	v_subb_co_u32_e32 v3, vcc, v5, v14, vcc
	s_waitcnt vmcnt(0)
	v_add_co_u32_e32 v4, vcc, v6, v10
	v_addc_co_u32_e32 v5, vcc, v7, v11, vcc
	v_cmp_lt_i64_e32 vcc, v[4:5], v[2:3]
	s_and_saveexec_b64 s[4:5], vcc
	s_cbranch_execz .LBB226_16
; %bb.18:                               ;   in Loop: Header=BB226_17 Depth=1
	v_lshlrev_b64 v[6:7], 1, v[0:1]
	v_mov_b32_e32 v8, s21
	v_add_co_u32_e32 v6, vcc, s20, v6
	v_addc_co_u32_e32 v7, vcc, v8, v7, vcc
	global_load_ushort v6, v[6:7], off
	s_mov_b64 s[6:7], 0
	s_waitcnt vmcnt(0)
	v_cvt_f32_f16_e32 v6, v6
	v_mul_f32_e32 v15, s10, v6
	s_branch .LBB226_20
.LBB226_19:                             ;   in Loop: Header=BB226_20 Depth=2
	s_or_b64 exec, exec, s[24:25]
	v_add_co_u32_e32 v4, vcc, 4, v4
	v_addc_co_u32_e32 v5, vcc, 0, v5, vcc
	v_cmp_ge_i64_e32 vcc, v[4:5], v[2:3]
	s_or_b64 s[6:7], vcc, s[6:7]
	s_andn2_b64 exec, exec, s[6:7]
	s_cbranch_execz .LBB226_16
.LBB226_20:                             ;   Parent Loop BB226_17 Depth=1
                                        ; =>  This Loop Header: Depth=2
                                        ;       Child Loop BB226_22 Depth 3
	v_lshlrev_b64 v[6:7], 3, v[4:5]
	v_mov_b32_e32 v8, s17
	v_add_co_u32_e32 v6, vcc, s16, v6
	v_addc_co_u32_e32 v7, vcc, v8, v7, vcc
	global_load_dwordx2 v[6:7], v[6:7], off
	s_waitcnt vmcnt(0)
	v_subrev_co_u32_e32 v6, vcc, s2, v6
	v_subb_co_u32_e32 v7, vcc, v7, v14, vcc
	v_cmp_ne_u64_e32 vcc, v[6:7], v[0:1]
	s_and_saveexec_b64 s[24:25], vcc
	s_cbranch_execz .LBB226_19
; %bb.21:                               ;   in Loop: Header=BB226_20 Depth=2
	v_lshlrev_b64 v[8:9], 1, v[4:5]
	v_mov_b32_e32 v16, s19
	v_add_co_u32_e32 v8, vcc, s18, v8
	v_addc_co_u32_e32 v9, vcc, v16, v9, vcc
	global_load_ushort v8, v[8:9], off
	v_lshlrev_b64 v[6:7], 2, v[6:7]
	v_mov_b32_e32 v9, s23
	v_add_co_u32_e32 v6, vcc, s22, v6
	v_addc_co_u32_e32 v7, vcc, v9, v7, vcc
	global_load_dword v9, v[6:7], off
	s_mov_b64 s[26:27], 0
	s_waitcnt vmcnt(1)
	v_cvt_f32_f16_e32 v8, v8
	v_mul_f32_e32 v16, v15, v8
.LBB226_22:                             ;   Parent Loop BB226_17 Depth=1
                                        ;     Parent Loop BB226_20 Depth=2
                                        ; =>    This Inner Loop Header: Depth=3
	s_waitcnt vmcnt(0)
	v_add_f32_e32 v8, v9, v16
	global_atomic_cmpswap v8, v[6:7], v[8:9], off glc
	s_waitcnt vmcnt(0)
	v_cmp_eq_u32_e32 vcc, v8, v9
	s_or_b64 s[26:27], vcc, s[26:27]
	v_mov_b32_e32 v9, v8
	s_andn2_b64 exec, exec, s[26:27]
	s_cbranch_execnz .LBB226_22
	s_branch .LBB226_19
.LBB226_23:
	s_endpgm
	.section	.rodata,"a",@progbits
	.p2align	6, 0x0
	.amdhsa_kernel _ZN9rocsparseL21csrmvt_general_kernelILj256ELj4EllDF16_DF16_ffEEvbbT2_NS_24const_host_device_scalarIT6_EEPKT1_S7_PKS1_PKT3_PKT4_PT5_21rocsparse_index_base_b
		.amdhsa_group_segment_fixed_size 0
		.amdhsa_private_segment_fixed_size 0
		.amdhsa_kernarg_size 336
		.amdhsa_user_sgpr_count 6
		.amdhsa_user_sgpr_private_segment_buffer 1
		.amdhsa_user_sgpr_dispatch_ptr 0
		.amdhsa_user_sgpr_queue_ptr 0
		.amdhsa_user_sgpr_kernarg_segment_ptr 1
		.amdhsa_user_sgpr_dispatch_id 0
		.amdhsa_user_sgpr_flat_scratch_init 0
		.amdhsa_user_sgpr_kernarg_preload_length 0
		.amdhsa_user_sgpr_kernarg_preload_offset 0
		.amdhsa_user_sgpr_private_segment_size 0
		.amdhsa_uses_dynamic_stack 0
		.amdhsa_system_sgpr_private_segment_wavefront_offset 0
		.amdhsa_system_sgpr_workgroup_id_x 1
		.amdhsa_system_sgpr_workgroup_id_y 0
		.amdhsa_system_sgpr_workgroup_id_z 0
		.amdhsa_system_sgpr_workgroup_info 0
		.amdhsa_system_vgpr_workitem_id 0
		.amdhsa_next_free_vgpr 21
		.amdhsa_next_free_sgpr 30
		.amdhsa_accum_offset 24
		.amdhsa_reserve_vcc 1
		.amdhsa_reserve_flat_scratch 0
		.amdhsa_float_round_mode_32 0
		.amdhsa_float_round_mode_16_64 0
		.amdhsa_float_denorm_mode_32 3
		.amdhsa_float_denorm_mode_16_64 3
		.amdhsa_dx10_clamp 1
		.amdhsa_ieee_mode 1
		.amdhsa_fp16_overflow 0
		.amdhsa_tg_split 0
		.amdhsa_exception_fp_ieee_invalid_op 0
		.amdhsa_exception_fp_denorm_src 0
		.amdhsa_exception_fp_ieee_div_zero 0
		.amdhsa_exception_fp_ieee_overflow 0
		.amdhsa_exception_fp_ieee_underflow 0
		.amdhsa_exception_fp_ieee_inexact 0
		.amdhsa_exception_int_div_zero 0
	.end_amdhsa_kernel
	.section	.text._ZN9rocsparseL21csrmvt_general_kernelILj256ELj4EllDF16_DF16_ffEEvbbT2_NS_24const_host_device_scalarIT6_EEPKT1_S7_PKS1_PKT3_PKT4_PT5_21rocsparse_index_base_b,"axG",@progbits,_ZN9rocsparseL21csrmvt_general_kernelILj256ELj4EllDF16_DF16_ffEEvbbT2_NS_24const_host_device_scalarIT6_EEPKT1_S7_PKS1_PKT3_PKT4_PT5_21rocsparse_index_base_b,comdat
.Lfunc_end226:
	.size	_ZN9rocsparseL21csrmvt_general_kernelILj256ELj4EllDF16_DF16_ffEEvbbT2_NS_24const_host_device_scalarIT6_EEPKT1_S7_PKS1_PKT3_PKT4_PT5_21rocsparse_index_base_b, .Lfunc_end226-_ZN9rocsparseL21csrmvt_general_kernelILj256ELj4EllDF16_DF16_ffEEvbbT2_NS_24const_host_device_scalarIT6_EEPKT1_S7_PKS1_PKT3_PKT4_PT5_21rocsparse_index_base_b
                                        ; -- End function
	.section	.AMDGPU.csdata,"",@progbits
; Kernel info:
; codeLenInByte = 936
; NumSgprs: 34
; NumVgprs: 21
; NumAgprs: 0
; TotalNumVgprs: 21
; ScratchSize: 0
; MemoryBound: 0
; FloatMode: 240
; IeeeMode: 1
; LDSByteSize: 0 bytes/workgroup (compile time only)
; SGPRBlocks: 4
; VGPRBlocks: 2
; NumSGPRsForWavesPerEU: 34
; NumVGPRsForWavesPerEU: 21
; AccumOffset: 24
; Occupancy: 8
; WaveLimiterHint : 1
; COMPUTE_PGM_RSRC2:SCRATCH_EN: 0
; COMPUTE_PGM_RSRC2:USER_SGPR: 6
; COMPUTE_PGM_RSRC2:TRAP_HANDLER: 0
; COMPUTE_PGM_RSRC2:TGID_X_EN: 1
; COMPUTE_PGM_RSRC2:TGID_Y_EN: 0
; COMPUTE_PGM_RSRC2:TGID_Z_EN: 0
; COMPUTE_PGM_RSRC2:TIDIG_COMP_CNT: 0
; COMPUTE_PGM_RSRC3_GFX90A:ACCUM_OFFSET: 5
; COMPUTE_PGM_RSRC3_GFX90A:TG_SPLIT: 0
	.section	.text._ZN9rocsparseL21csrmvt_general_kernelILj256ELj8EllDF16_DF16_ffEEvbbT2_NS_24const_host_device_scalarIT6_EEPKT1_S7_PKS1_PKT3_PKT4_PT5_21rocsparse_index_base_b,"axG",@progbits,_ZN9rocsparseL21csrmvt_general_kernelILj256ELj8EllDF16_DF16_ffEEvbbT2_NS_24const_host_device_scalarIT6_EEPKT1_S7_PKS1_PKT3_PKT4_PT5_21rocsparse_index_base_b,comdat
	.globl	_ZN9rocsparseL21csrmvt_general_kernelILj256ELj8EllDF16_DF16_ffEEvbbT2_NS_24const_host_device_scalarIT6_EEPKT1_S7_PKS1_PKT3_PKT4_PT5_21rocsparse_index_base_b ; -- Begin function _ZN9rocsparseL21csrmvt_general_kernelILj256ELj8EllDF16_DF16_ffEEvbbT2_NS_24const_host_device_scalarIT6_EEPKT1_S7_PKS1_PKT3_PKT4_PT5_21rocsparse_index_base_b
	.p2align	8
	.type	_ZN9rocsparseL21csrmvt_general_kernelILj256ELj8EllDF16_DF16_ffEEvbbT2_NS_24const_host_device_scalarIT6_EEPKT1_S7_PKS1_PKT3_PKT4_PT5_21rocsparse_index_base_b,@function
_ZN9rocsparseL21csrmvt_general_kernelILj256ELj8EllDF16_DF16_ffEEvbbT2_NS_24const_host_device_scalarIT6_EEPKT1_S7_PKS1_PKT3_PKT4_PT5_21rocsparse_index_base_b: ; @_ZN9rocsparseL21csrmvt_general_kernelILj256ELj8EllDF16_DF16_ffEEvbbT2_NS_24const_host_device_scalarIT6_EEPKT1_S7_PKS1_PKT3_PKT4_PT5_21rocsparse_index_base_b
; %bb.0:
	s_load_dwordx2 s[2:3], s[4:5], 0x48
	s_load_dwordx8 s[8:15], s[4:5], 0x8
	s_waitcnt lgkmcnt(0)
	s_bitcmp1_b32 s3, 0
	s_cselect_b64 s[0:1], -1, 0
	s_and_b64 vcc, exec, s[0:1]
	s_cbranch_vccnz .LBB227_2
; %bb.1:
	s_load_dword s10, s[10:11], 0x0
.LBB227_2:
	s_waitcnt lgkmcnt(0)
	v_cmp_eq_f32_e64 s[0:1], s10, 0
	s_and_b64 vcc, exec, s[0:1]
	s_cbranch_vccnz .LBB227_23
; %bb.3:
	s_load_dword s0, s[4:5], 0x0
	s_load_dword s1, s[4:5], 0x50
	s_load_dwordx8 s[16:23], s[4:5], 0x28
	v_and_b32_e32 v12, 7, v0
	v_lshl_or_b32 v0, s6, 8, v0
	s_waitcnt lgkmcnt(0)
	s_and_b32 s0, s0, 1
	s_lshl_b32 s3, s1, 5
	v_lshrrev_b32_e32 v0, 3, v0
	v_mov_b32_e32 v1, 0
	s_cmp_eq_u32 s0, 0
	v_cmp_gt_i64_e64 s[0:1], s[8:9], v[0:1]
	s_mov_b64 s[4:5], -1
	s_cbranch_scc0 .LBB227_13
; %bb.4:
	s_and_saveexec_b64 s[4:5], s[0:1]
	s_cbranch_execz .LBB227_12
; %bb.5:
	v_subrev_co_u32_e32 v13, vcc, s2, v12
	s_mov_b32 s11, 0
	v_subb_co_u32_e64 v14, s[6:7], 0, 0, vcc
	s_mov_b64 s[6:7], 0
	v_mov_b32_e32 v15, s13
	v_mov_b32_e32 v16, s15
	;; [unrolled: 1-line block ×3, first 2 shown]
	v_pk_mov_b32 v[2:3], v[0:1], v[0:1] op_sel:[0,1]
	s_branch .LBB227_7
.LBB227_6:                              ;   in Loop: Header=BB227_7 Depth=1
	s_or_b64 exec, exec, s[24:25]
	v_add_co_u32_e32 v2, vcc, s3, v2
	v_addc_co_u32_e32 v3, vcc, 0, v3, vcc
	v_cmp_le_i64_e32 vcc, s[8:9], v[2:3]
	s_or_b64 s[6:7], vcc, s[6:7]
	s_andn2_b64 exec, exec, s[6:7]
	s_cbranch_execz .LBB227_12
.LBB227_7:                              ; =>This Loop Header: Depth=1
                                        ;     Child Loop BB227_9 Depth 2
                                        ;       Child Loop BB227_10 Depth 3
	v_lshlrev_b64 v[4:5], 3, v[2:3]
	v_add_co_u32_e32 v6, vcc, s14, v4
	v_addc_co_u32_e32 v7, vcc, v16, v5, vcc
	global_load_dwordx2 v[6:7], v[6:7], off
	v_add_co_u32_e32 v4, vcc, s12, v4
	v_addc_co_u32_e32 v5, vcc, v15, v5, vcc
	global_load_dwordx2 v[8:9], v[4:5], off
	s_waitcnt vmcnt(1)
	v_subrev_co_u32_e32 v4, vcc, s2, v6
	v_subb_co_u32_e32 v5, vcc, v7, v17, vcc
	s_waitcnt vmcnt(0)
	v_add_co_u32_e32 v6, vcc, v8, v13
	v_addc_co_u32_e32 v7, vcc, v9, v14, vcc
	v_cmp_lt_i64_e32 vcc, v[6:7], v[4:5]
	s_and_saveexec_b64 s[24:25], vcc
	s_cbranch_execz .LBB227_6
; %bb.8:                                ;   in Loop: Header=BB227_7 Depth=1
	v_lshlrev_b64 v[8:9], 1, v[2:3]
	v_mov_b32_e32 v10, s21
	v_add_co_u32_e32 v8, vcc, s20, v8
	v_addc_co_u32_e32 v9, vcc, v10, v9, vcc
	global_load_ushort v8, v[8:9], off
	s_mov_b64 s[26:27], 0
	s_waitcnt vmcnt(0)
	v_cvt_f32_f16_e32 v8, v8
	v_mul_f32_e32 v18, s10, v8
.LBB227_9:                              ;   Parent Loop BB227_7 Depth=1
                                        ; =>  This Loop Header: Depth=2
                                        ;       Child Loop BB227_10 Depth 3
	v_lshlrev_b64 v[8:9], 3, v[6:7]
	v_mov_b32_e32 v10, s17
	v_add_co_u32_e32 v8, vcc, s16, v8
	v_addc_co_u32_e32 v9, vcc, v10, v9, vcc
	global_load_dwordx2 v[8:9], v[8:9], off
	v_lshlrev_b64 v[10:11], 1, v[6:7]
	v_mov_b32_e32 v19, s19
	v_add_co_u32_e32 v10, vcc, s18, v10
	v_addc_co_u32_e32 v11, vcc, v19, v11, vcc
	global_load_ushort v10, v[10:11], off
	v_mov_b32_e32 v20, s23
	s_mov_b64 s[28:29], 0
	s_waitcnt vmcnt(1)
	v_subrev_co_u32_e32 v8, vcc, s2, v8
	v_subb_co_u32_e32 v9, vcc, v9, v17, vcc
	v_lshlrev_b64 v[8:9], 2, v[8:9]
	v_add_co_u32_e32 v8, vcc, s22, v8
	v_addc_co_u32_e32 v9, vcc, v20, v9, vcc
	global_load_dword v11, v[8:9], off
	s_waitcnt vmcnt(1)
	v_cvt_f32_f16_e32 v10, v10
	v_mul_f32_e32 v19, v18, v10
.LBB227_10:                             ;   Parent Loop BB227_7 Depth=1
                                        ;     Parent Loop BB227_9 Depth=2
                                        ; =>    This Inner Loop Header: Depth=3
	s_waitcnt vmcnt(0)
	v_add_f32_e32 v10, v11, v19
	global_atomic_cmpswap v10, v[8:9], v[10:11], off glc
	s_waitcnt vmcnt(0)
	v_cmp_eq_u32_e32 vcc, v10, v11
	s_or_b64 s[28:29], vcc, s[28:29]
	v_mov_b32_e32 v11, v10
	s_andn2_b64 exec, exec, s[28:29]
	s_cbranch_execnz .LBB227_10
; %bb.11:                               ;   in Loop: Header=BB227_9 Depth=2
	s_or_b64 exec, exec, s[28:29]
	v_add_co_u32_e32 v6, vcc, 8, v6
	v_addc_co_u32_e32 v7, vcc, 0, v7, vcc
	v_cmp_ge_i64_e32 vcc, v[6:7], v[4:5]
	s_or_b64 s[26:27], vcc, s[26:27]
	s_andn2_b64 exec, exec, s[26:27]
	s_cbranch_execnz .LBB227_9
	s_branch .LBB227_6
.LBB227_12:
	s_or_b64 exec, exec, s[4:5]
	s_mov_b64 s[4:5], 0
.LBB227_13:
	s_andn2_b64 vcc, exec, s[4:5]
	s_cbranch_vccnz .LBB227_23
; %bb.14:
	s_and_saveexec_b64 s[4:5], s[0:1]
	s_cbranch_execz .LBB227_23
; %bb.15:
	v_subrev_co_u32_e32 v10, vcc, s2, v12
	s_mov_b32 s4, 0
	v_subb_co_u32_e64 v11, s[0:1], 0, 0, vcc
	s_mov_b64 s[0:1], 0
	v_mov_b32_e32 v12, s13
	v_mov_b32_e32 v13, s15
	;; [unrolled: 1-line block ×3, first 2 shown]
	s_branch .LBB227_17
.LBB227_16:                             ;   in Loop: Header=BB227_17 Depth=1
	s_or_b64 exec, exec, s[4:5]
	v_add_co_u32_e32 v0, vcc, s3, v0
	v_addc_co_u32_e32 v1, vcc, 0, v1, vcc
	v_cmp_le_i64_e32 vcc, s[8:9], v[0:1]
	s_or_b64 s[0:1], vcc, s[0:1]
	s_andn2_b64 exec, exec, s[0:1]
	s_cbranch_execz .LBB227_23
.LBB227_17:                             ; =>This Loop Header: Depth=1
                                        ;     Child Loop BB227_20 Depth 2
                                        ;       Child Loop BB227_22 Depth 3
	v_lshlrev_b64 v[2:3], 3, v[0:1]
	v_add_co_u32_e32 v4, vcc, s14, v2
	v_addc_co_u32_e32 v5, vcc, v13, v3, vcc
	global_load_dwordx2 v[4:5], v[4:5], off
	v_add_co_u32_e32 v2, vcc, s12, v2
	v_addc_co_u32_e32 v3, vcc, v12, v3, vcc
	global_load_dwordx2 v[6:7], v[2:3], off
	s_waitcnt vmcnt(1)
	v_subrev_co_u32_e32 v2, vcc, s2, v4
	v_subb_co_u32_e32 v3, vcc, v5, v14, vcc
	s_waitcnt vmcnt(0)
	v_add_co_u32_e32 v4, vcc, v6, v10
	v_addc_co_u32_e32 v5, vcc, v7, v11, vcc
	v_cmp_lt_i64_e32 vcc, v[4:5], v[2:3]
	s_and_saveexec_b64 s[4:5], vcc
	s_cbranch_execz .LBB227_16
; %bb.18:                               ;   in Loop: Header=BB227_17 Depth=1
	v_lshlrev_b64 v[6:7], 1, v[0:1]
	v_mov_b32_e32 v8, s21
	v_add_co_u32_e32 v6, vcc, s20, v6
	v_addc_co_u32_e32 v7, vcc, v8, v7, vcc
	global_load_ushort v6, v[6:7], off
	s_mov_b64 s[6:7], 0
	s_waitcnt vmcnt(0)
	v_cvt_f32_f16_e32 v6, v6
	v_mul_f32_e32 v15, s10, v6
	s_branch .LBB227_20
.LBB227_19:                             ;   in Loop: Header=BB227_20 Depth=2
	s_or_b64 exec, exec, s[24:25]
	v_add_co_u32_e32 v4, vcc, 8, v4
	v_addc_co_u32_e32 v5, vcc, 0, v5, vcc
	v_cmp_ge_i64_e32 vcc, v[4:5], v[2:3]
	s_or_b64 s[6:7], vcc, s[6:7]
	s_andn2_b64 exec, exec, s[6:7]
	s_cbranch_execz .LBB227_16
.LBB227_20:                             ;   Parent Loop BB227_17 Depth=1
                                        ; =>  This Loop Header: Depth=2
                                        ;       Child Loop BB227_22 Depth 3
	v_lshlrev_b64 v[6:7], 3, v[4:5]
	v_mov_b32_e32 v8, s17
	v_add_co_u32_e32 v6, vcc, s16, v6
	v_addc_co_u32_e32 v7, vcc, v8, v7, vcc
	global_load_dwordx2 v[6:7], v[6:7], off
	s_waitcnt vmcnt(0)
	v_subrev_co_u32_e32 v6, vcc, s2, v6
	v_subb_co_u32_e32 v7, vcc, v7, v14, vcc
	v_cmp_ne_u64_e32 vcc, v[6:7], v[0:1]
	s_and_saveexec_b64 s[24:25], vcc
	s_cbranch_execz .LBB227_19
; %bb.21:                               ;   in Loop: Header=BB227_20 Depth=2
	v_lshlrev_b64 v[8:9], 1, v[4:5]
	v_mov_b32_e32 v16, s19
	v_add_co_u32_e32 v8, vcc, s18, v8
	v_addc_co_u32_e32 v9, vcc, v16, v9, vcc
	global_load_ushort v8, v[8:9], off
	v_lshlrev_b64 v[6:7], 2, v[6:7]
	v_mov_b32_e32 v9, s23
	v_add_co_u32_e32 v6, vcc, s22, v6
	v_addc_co_u32_e32 v7, vcc, v9, v7, vcc
	global_load_dword v9, v[6:7], off
	s_mov_b64 s[26:27], 0
	s_waitcnt vmcnt(1)
	v_cvt_f32_f16_e32 v8, v8
	v_mul_f32_e32 v16, v15, v8
.LBB227_22:                             ;   Parent Loop BB227_17 Depth=1
                                        ;     Parent Loop BB227_20 Depth=2
                                        ; =>    This Inner Loop Header: Depth=3
	s_waitcnt vmcnt(0)
	v_add_f32_e32 v8, v9, v16
	global_atomic_cmpswap v8, v[6:7], v[8:9], off glc
	s_waitcnt vmcnt(0)
	v_cmp_eq_u32_e32 vcc, v8, v9
	s_or_b64 s[26:27], vcc, s[26:27]
	v_mov_b32_e32 v9, v8
	s_andn2_b64 exec, exec, s[26:27]
	s_cbranch_execnz .LBB227_22
	s_branch .LBB227_19
.LBB227_23:
	s_endpgm
	.section	.rodata,"a",@progbits
	.p2align	6, 0x0
	.amdhsa_kernel _ZN9rocsparseL21csrmvt_general_kernelILj256ELj8EllDF16_DF16_ffEEvbbT2_NS_24const_host_device_scalarIT6_EEPKT1_S7_PKS1_PKT3_PKT4_PT5_21rocsparse_index_base_b
		.amdhsa_group_segment_fixed_size 0
		.amdhsa_private_segment_fixed_size 0
		.amdhsa_kernarg_size 336
		.amdhsa_user_sgpr_count 6
		.amdhsa_user_sgpr_private_segment_buffer 1
		.amdhsa_user_sgpr_dispatch_ptr 0
		.amdhsa_user_sgpr_queue_ptr 0
		.amdhsa_user_sgpr_kernarg_segment_ptr 1
		.amdhsa_user_sgpr_dispatch_id 0
		.amdhsa_user_sgpr_flat_scratch_init 0
		.amdhsa_user_sgpr_kernarg_preload_length 0
		.amdhsa_user_sgpr_kernarg_preload_offset 0
		.amdhsa_user_sgpr_private_segment_size 0
		.amdhsa_uses_dynamic_stack 0
		.amdhsa_system_sgpr_private_segment_wavefront_offset 0
		.amdhsa_system_sgpr_workgroup_id_x 1
		.amdhsa_system_sgpr_workgroup_id_y 0
		.amdhsa_system_sgpr_workgroup_id_z 0
		.amdhsa_system_sgpr_workgroup_info 0
		.amdhsa_system_vgpr_workitem_id 0
		.amdhsa_next_free_vgpr 21
		.amdhsa_next_free_sgpr 30
		.amdhsa_accum_offset 24
		.amdhsa_reserve_vcc 1
		.amdhsa_reserve_flat_scratch 0
		.amdhsa_float_round_mode_32 0
		.amdhsa_float_round_mode_16_64 0
		.amdhsa_float_denorm_mode_32 3
		.amdhsa_float_denorm_mode_16_64 3
		.amdhsa_dx10_clamp 1
		.amdhsa_ieee_mode 1
		.amdhsa_fp16_overflow 0
		.amdhsa_tg_split 0
		.amdhsa_exception_fp_ieee_invalid_op 0
		.amdhsa_exception_fp_denorm_src 0
		.amdhsa_exception_fp_ieee_div_zero 0
		.amdhsa_exception_fp_ieee_overflow 0
		.amdhsa_exception_fp_ieee_underflow 0
		.amdhsa_exception_fp_ieee_inexact 0
		.amdhsa_exception_int_div_zero 0
	.end_amdhsa_kernel
	.section	.text._ZN9rocsparseL21csrmvt_general_kernelILj256ELj8EllDF16_DF16_ffEEvbbT2_NS_24const_host_device_scalarIT6_EEPKT1_S7_PKS1_PKT3_PKT4_PT5_21rocsparse_index_base_b,"axG",@progbits,_ZN9rocsparseL21csrmvt_general_kernelILj256ELj8EllDF16_DF16_ffEEvbbT2_NS_24const_host_device_scalarIT6_EEPKT1_S7_PKS1_PKT3_PKT4_PT5_21rocsparse_index_base_b,comdat
.Lfunc_end227:
	.size	_ZN9rocsparseL21csrmvt_general_kernelILj256ELj8EllDF16_DF16_ffEEvbbT2_NS_24const_host_device_scalarIT6_EEPKT1_S7_PKS1_PKT3_PKT4_PT5_21rocsparse_index_base_b, .Lfunc_end227-_ZN9rocsparseL21csrmvt_general_kernelILj256ELj8EllDF16_DF16_ffEEvbbT2_NS_24const_host_device_scalarIT6_EEPKT1_S7_PKS1_PKT3_PKT4_PT5_21rocsparse_index_base_b
                                        ; -- End function
	.section	.AMDGPU.csdata,"",@progbits
; Kernel info:
; codeLenInByte = 936
; NumSgprs: 34
; NumVgprs: 21
; NumAgprs: 0
; TotalNumVgprs: 21
; ScratchSize: 0
; MemoryBound: 0
; FloatMode: 240
; IeeeMode: 1
; LDSByteSize: 0 bytes/workgroup (compile time only)
; SGPRBlocks: 4
; VGPRBlocks: 2
; NumSGPRsForWavesPerEU: 34
; NumVGPRsForWavesPerEU: 21
; AccumOffset: 24
; Occupancy: 8
; WaveLimiterHint : 1
; COMPUTE_PGM_RSRC2:SCRATCH_EN: 0
; COMPUTE_PGM_RSRC2:USER_SGPR: 6
; COMPUTE_PGM_RSRC2:TRAP_HANDLER: 0
; COMPUTE_PGM_RSRC2:TGID_X_EN: 1
; COMPUTE_PGM_RSRC2:TGID_Y_EN: 0
; COMPUTE_PGM_RSRC2:TGID_Z_EN: 0
; COMPUTE_PGM_RSRC2:TIDIG_COMP_CNT: 0
; COMPUTE_PGM_RSRC3_GFX90A:ACCUM_OFFSET: 5
; COMPUTE_PGM_RSRC3_GFX90A:TG_SPLIT: 0
	.section	.text._ZN9rocsparseL21csrmvt_general_kernelILj256ELj16EllDF16_DF16_ffEEvbbT2_NS_24const_host_device_scalarIT6_EEPKT1_S7_PKS1_PKT3_PKT4_PT5_21rocsparse_index_base_b,"axG",@progbits,_ZN9rocsparseL21csrmvt_general_kernelILj256ELj16EllDF16_DF16_ffEEvbbT2_NS_24const_host_device_scalarIT6_EEPKT1_S7_PKS1_PKT3_PKT4_PT5_21rocsparse_index_base_b,comdat
	.globl	_ZN9rocsparseL21csrmvt_general_kernelILj256ELj16EllDF16_DF16_ffEEvbbT2_NS_24const_host_device_scalarIT6_EEPKT1_S7_PKS1_PKT3_PKT4_PT5_21rocsparse_index_base_b ; -- Begin function _ZN9rocsparseL21csrmvt_general_kernelILj256ELj16EllDF16_DF16_ffEEvbbT2_NS_24const_host_device_scalarIT6_EEPKT1_S7_PKS1_PKT3_PKT4_PT5_21rocsparse_index_base_b
	.p2align	8
	.type	_ZN9rocsparseL21csrmvt_general_kernelILj256ELj16EllDF16_DF16_ffEEvbbT2_NS_24const_host_device_scalarIT6_EEPKT1_S7_PKS1_PKT3_PKT4_PT5_21rocsparse_index_base_b,@function
_ZN9rocsparseL21csrmvt_general_kernelILj256ELj16EllDF16_DF16_ffEEvbbT2_NS_24const_host_device_scalarIT6_EEPKT1_S7_PKS1_PKT3_PKT4_PT5_21rocsparse_index_base_b: ; @_ZN9rocsparseL21csrmvt_general_kernelILj256ELj16EllDF16_DF16_ffEEvbbT2_NS_24const_host_device_scalarIT6_EEPKT1_S7_PKS1_PKT3_PKT4_PT5_21rocsparse_index_base_b
; %bb.0:
	s_load_dwordx2 s[2:3], s[4:5], 0x48
	s_load_dwordx8 s[8:15], s[4:5], 0x8
	s_waitcnt lgkmcnt(0)
	s_bitcmp1_b32 s3, 0
	s_cselect_b64 s[0:1], -1, 0
	s_and_b64 vcc, exec, s[0:1]
	s_cbranch_vccnz .LBB228_2
; %bb.1:
	s_load_dword s10, s[10:11], 0x0
.LBB228_2:
	s_waitcnt lgkmcnt(0)
	v_cmp_eq_f32_e64 s[0:1], s10, 0
	s_and_b64 vcc, exec, s[0:1]
	s_cbranch_vccnz .LBB228_23
; %bb.3:
	s_load_dword s0, s[4:5], 0x0
	s_load_dword s1, s[4:5], 0x50
	s_load_dwordx8 s[16:23], s[4:5], 0x28
	v_and_b32_e32 v12, 15, v0
	v_lshl_or_b32 v0, s6, 8, v0
	s_waitcnt lgkmcnt(0)
	s_and_b32 s0, s0, 1
	s_lshl_b32 s3, s1, 4
	v_lshrrev_b32_e32 v0, 4, v0
	v_mov_b32_e32 v1, 0
	s_cmp_eq_u32 s0, 0
	v_cmp_gt_i64_e64 s[0:1], s[8:9], v[0:1]
	s_mov_b64 s[4:5], -1
	s_cbranch_scc0 .LBB228_13
; %bb.4:
	s_and_saveexec_b64 s[4:5], s[0:1]
	s_cbranch_execz .LBB228_12
; %bb.5:
	v_subrev_co_u32_e32 v13, vcc, s2, v12
	s_mov_b32 s11, 0
	v_subb_co_u32_e64 v14, s[6:7], 0, 0, vcc
	s_mov_b64 s[6:7], 0
	v_mov_b32_e32 v15, s13
	v_mov_b32_e32 v16, s15
	;; [unrolled: 1-line block ×3, first 2 shown]
	v_pk_mov_b32 v[2:3], v[0:1], v[0:1] op_sel:[0,1]
	s_branch .LBB228_7
.LBB228_6:                              ;   in Loop: Header=BB228_7 Depth=1
	s_or_b64 exec, exec, s[24:25]
	v_add_co_u32_e32 v2, vcc, s3, v2
	v_addc_co_u32_e32 v3, vcc, 0, v3, vcc
	v_cmp_le_i64_e32 vcc, s[8:9], v[2:3]
	s_or_b64 s[6:7], vcc, s[6:7]
	s_andn2_b64 exec, exec, s[6:7]
	s_cbranch_execz .LBB228_12
.LBB228_7:                              ; =>This Loop Header: Depth=1
                                        ;     Child Loop BB228_9 Depth 2
                                        ;       Child Loop BB228_10 Depth 3
	v_lshlrev_b64 v[4:5], 3, v[2:3]
	v_add_co_u32_e32 v6, vcc, s14, v4
	v_addc_co_u32_e32 v7, vcc, v16, v5, vcc
	global_load_dwordx2 v[6:7], v[6:7], off
	v_add_co_u32_e32 v4, vcc, s12, v4
	v_addc_co_u32_e32 v5, vcc, v15, v5, vcc
	global_load_dwordx2 v[8:9], v[4:5], off
	s_waitcnt vmcnt(1)
	v_subrev_co_u32_e32 v4, vcc, s2, v6
	v_subb_co_u32_e32 v5, vcc, v7, v17, vcc
	s_waitcnt vmcnt(0)
	v_add_co_u32_e32 v6, vcc, v8, v13
	v_addc_co_u32_e32 v7, vcc, v9, v14, vcc
	v_cmp_lt_i64_e32 vcc, v[6:7], v[4:5]
	s_and_saveexec_b64 s[24:25], vcc
	s_cbranch_execz .LBB228_6
; %bb.8:                                ;   in Loop: Header=BB228_7 Depth=1
	v_lshlrev_b64 v[8:9], 1, v[2:3]
	v_mov_b32_e32 v10, s21
	v_add_co_u32_e32 v8, vcc, s20, v8
	v_addc_co_u32_e32 v9, vcc, v10, v9, vcc
	global_load_ushort v8, v[8:9], off
	s_mov_b64 s[26:27], 0
	s_waitcnt vmcnt(0)
	v_cvt_f32_f16_e32 v8, v8
	v_mul_f32_e32 v18, s10, v8
.LBB228_9:                              ;   Parent Loop BB228_7 Depth=1
                                        ; =>  This Loop Header: Depth=2
                                        ;       Child Loop BB228_10 Depth 3
	v_lshlrev_b64 v[8:9], 3, v[6:7]
	v_mov_b32_e32 v10, s17
	v_add_co_u32_e32 v8, vcc, s16, v8
	v_addc_co_u32_e32 v9, vcc, v10, v9, vcc
	global_load_dwordx2 v[8:9], v[8:9], off
	v_lshlrev_b64 v[10:11], 1, v[6:7]
	v_mov_b32_e32 v19, s19
	v_add_co_u32_e32 v10, vcc, s18, v10
	v_addc_co_u32_e32 v11, vcc, v19, v11, vcc
	global_load_ushort v10, v[10:11], off
	v_mov_b32_e32 v20, s23
	s_mov_b64 s[28:29], 0
	s_waitcnt vmcnt(1)
	v_subrev_co_u32_e32 v8, vcc, s2, v8
	v_subb_co_u32_e32 v9, vcc, v9, v17, vcc
	v_lshlrev_b64 v[8:9], 2, v[8:9]
	v_add_co_u32_e32 v8, vcc, s22, v8
	v_addc_co_u32_e32 v9, vcc, v20, v9, vcc
	global_load_dword v11, v[8:9], off
	s_waitcnt vmcnt(1)
	v_cvt_f32_f16_e32 v10, v10
	v_mul_f32_e32 v19, v18, v10
.LBB228_10:                             ;   Parent Loop BB228_7 Depth=1
                                        ;     Parent Loop BB228_9 Depth=2
                                        ; =>    This Inner Loop Header: Depth=3
	s_waitcnt vmcnt(0)
	v_add_f32_e32 v10, v11, v19
	global_atomic_cmpswap v10, v[8:9], v[10:11], off glc
	s_waitcnt vmcnt(0)
	v_cmp_eq_u32_e32 vcc, v10, v11
	s_or_b64 s[28:29], vcc, s[28:29]
	v_mov_b32_e32 v11, v10
	s_andn2_b64 exec, exec, s[28:29]
	s_cbranch_execnz .LBB228_10
; %bb.11:                               ;   in Loop: Header=BB228_9 Depth=2
	s_or_b64 exec, exec, s[28:29]
	v_add_co_u32_e32 v6, vcc, 16, v6
	v_addc_co_u32_e32 v7, vcc, 0, v7, vcc
	v_cmp_ge_i64_e32 vcc, v[6:7], v[4:5]
	s_or_b64 s[26:27], vcc, s[26:27]
	s_andn2_b64 exec, exec, s[26:27]
	s_cbranch_execnz .LBB228_9
	s_branch .LBB228_6
.LBB228_12:
	s_or_b64 exec, exec, s[4:5]
	s_mov_b64 s[4:5], 0
.LBB228_13:
	s_andn2_b64 vcc, exec, s[4:5]
	s_cbranch_vccnz .LBB228_23
; %bb.14:
	s_and_saveexec_b64 s[4:5], s[0:1]
	s_cbranch_execz .LBB228_23
; %bb.15:
	v_subrev_co_u32_e32 v10, vcc, s2, v12
	s_mov_b32 s4, 0
	v_subb_co_u32_e64 v11, s[0:1], 0, 0, vcc
	s_mov_b64 s[0:1], 0
	v_mov_b32_e32 v12, s13
	v_mov_b32_e32 v13, s15
	;; [unrolled: 1-line block ×3, first 2 shown]
	s_branch .LBB228_17
.LBB228_16:                             ;   in Loop: Header=BB228_17 Depth=1
	s_or_b64 exec, exec, s[4:5]
	v_add_co_u32_e32 v0, vcc, s3, v0
	v_addc_co_u32_e32 v1, vcc, 0, v1, vcc
	v_cmp_le_i64_e32 vcc, s[8:9], v[0:1]
	s_or_b64 s[0:1], vcc, s[0:1]
	s_andn2_b64 exec, exec, s[0:1]
	s_cbranch_execz .LBB228_23
.LBB228_17:                             ; =>This Loop Header: Depth=1
                                        ;     Child Loop BB228_20 Depth 2
                                        ;       Child Loop BB228_22 Depth 3
	v_lshlrev_b64 v[2:3], 3, v[0:1]
	v_add_co_u32_e32 v4, vcc, s14, v2
	v_addc_co_u32_e32 v5, vcc, v13, v3, vcc
	global_load_dwordx2 v[4:5], v[4:5], off
	v_add_co_u32_e32 v2, vcc, s12, v2
	v_addc_co_u32_e32 v3, vcc, v12, v3, vcc
	global_load_dwordx2 v[6:7], v[2:3], off
	s_waitcnt vmcnt(1)
	v_subrev_co_u32_e32 v2, vcc, s2, v4
	v_subb_co_u32_e32 v3, vcc, v5, v14, vcc
	s_waitcnt vmcnt(0)
	v_add_co_u32_e32 v4, vcc, v6, v10
	v_addc_co_u32_e32 v5, vcc, v7, v11, vcc
	v_cmp_lt_i64_e32 vcc, v[4:5], v[2:3]
	s_and_saveexec_b64 s[4:5], vcc
	s_cbranch_execz .LBB228_16
; %bb.18:                               ;   in Loop: Header=BB228_17 Depth=1
	v_lshlrev_b64 v[6:7], 1, v[0:1]
	v_mov_b32_e32 v8, s21
	v_add_co_u32_e32 v6, vcc, s20, v6
	v_addc_co_u32_e32 v7, vcc, v8, v7, vcc
	global_load_ushort v6, v[6:7], off
	s_mov_b64 s[6:7], 0
	s_waitcnt vmcnt(0)
	v_cvt_f32_f16_e32 v6, v6
	v_mul_f32_e32 v15, s10, v6
	s_branch .LBB228_20
.LBB228_19:                             ;   in Loop: Header=BB228_20 Depth=2
	s_or_b64 exec, exec, s[24:25]
	v_add_co_u32_e32 v4, vcc, 16, v4
	v_addc_co_u32_e32 v5, vcc, 0, v5, vcc
	v_cmp_ge_i64_e32 vcc, v[4:5], v[2:3]
	s_or_b64 s[6:7], vcc, s[6:7]
	s_andn2_b64 exec, exec, s[6:7]
	s_cbranch_execz .LBB228_16
.LBB228_20:                             ;   Parent Loop BB228_17 Depth=1
                                        ; =>  This Loop Header: Depth=2
                                        ;       Child Loop BB228_22 Depth 3
	v_lshlrev_b64 v[6:7], 3, v[4:5]
	v_mov_b32_e32 v8, s17
	v_add_co_u32_e32 v6, vcc, s16, v6
	v_addc_co_u32_e32 v7, vcc, v8, v7, vcc
	global_load_dwordx2 v[6:7], v[6:7], off
	s_waitcnt vmcnt(0)
	v_subrev_co_u32_e32 v6, vcc, s2, v6
	v_subb_co_u32_e32 v7, vcc, v7, v14, vcc
	v_cmp_ne_u64_e32 vcc, v[6:7], v[0:1]
	s_and_saveexec_b64 s[24:25], vcc
	s_cbranch_execz .LBB228_19
; %bb.21:                               ;   in Loop: Header=BB228_20 Depth=2
	v_lshlrev_b64 v[8:9], 1, v[4:5]
	v_mov_b32_e32 v16, s19
	v_add_co_u32_e32 v8, vcc, s18, v8
	v_addc_co_u32_e32 v9, vcc, v16, v9, vcc
	global_load_ushort v8, v[8:9], off
	v_lshlrev_b64 v[6:7], 2, v[6:7]
	v_mov_b32_e32 v9, s23
	v_add_co_u32_e32 v6, vcc, s22, v6
	v_addc_co_u32_e32 v7, vcc, v9, v7, vcc
	global_load_dword v9, v[6:7], off
	s_mov_b64 s[26:27], 0
	s_waitcnt vmcnt(1)
	v_cvt_f32_f16_e32 v8, v8
	v_mul_f32_e32 v16, v15, v8
.LBB228_22:                             ;   Parent Loop BB228_17 Depth=1
                                        ;     Parent Loop BB228_20 Depth=2
                                        ; =>    This Inner Loop Header: Depth=3
	s_waitcnt vmcnt(0)
	v_add_f32_e32 v8, v9, v16
	global_atomic_cmpswap v8, v[6:7], v[8:9], off glc
	s_waitcnt vmcnt(0)
	v_cmp_eq_u32_e32 vcc, v8, v9
	s_or_b64 s[26:27], vcc, s[26:27]
	v_mov_b32_e32 v9, v8
	s_andn2_b64 exec, exec, s[26:27]
	s_cbranch_execnz .LBB228_22
	s_branch .LBB228_19
.LBB228_23:
	s_endpgm
	.section	.rodata,"a",@progbits
	.p2align	6, 0x0
	.amdhsa_kernel _ZN9rocsparseL21csrmvt_general_kernelILj256ELj16EllDF16_DF16_ffEEvbbT2_NS_24const_host_device_scalarIT6_EEPKT1_S7_PKS1_PKT3_PKT4_PT5_21rocsparse_index_base_b
		.amdhsa_group_segment_fixed_size 0
		.amdhsa_private_segment_fixed_size 0
		.amdhsa_kernarg_size 336
		.amdhsa_user_sgpr_count 6
		.amdhsa_user_sgpr_private_segment_buffer 1
		.amdhsa_user_sgpr_dispatch_ptr 0
		.amdhsa_user_sgpr_queue_ptr 0
		.amdhsa_user_sgpr_kernarg_segment_ptr 1
		.amdhsa_user_sgpr_dispatch_id 0
		.amdhsa_user_sgpr_flat_scratch_init 0
		.amdhsa_user_sgpr_kernarg_preload_length 0
		.amdhsa_user_sgpr_kernarg_preload_offset 0
		.amdhsa_user_sgpr_private_segment_size 0
		.amdhsa_uses_dynamic_stack 0
		.amdhsa_system_sgpr_private_segment_wavefront_offset 0
		.amdhsa_system_sgpr_workgroup_id_x 1
		.amdhsa_system_sgpr_workgroup_id_y 0
		.amdhsa_system_sgpr_workgroup_id_z 0
		.amdhsa_system_sgpr_workgroup_info 0
		.amdhsa_system_vgpr_workitem_id 0
		.amdhsa_next_free_vgpr 21
		.amdhsa_next_free_sgpr 30
		.amdhsa_accum_offset 24
		.amdhsa_reserve_vcc 1
		.amdhsa_reserve_flat_scratch 0
		.amdhsa_float_round_mode_32 0
		.amdhsa_float_round_mode_16_64 0
		.amdhsa_float_denorm_mode_32 3
		.amdhsa_float_denorm_mode_16_64 3
		.amdhsa_dx10_clamp 1
		.amdhsa_ieee_mode 1
		.amdhsa_fp16_overflow 0
		.amdhsa_tg_split 0
		.amdhsa_exception_fp_ieee_invalid_op 0
		.amdhsa_exception_fp_denorm_src 0
		.amdhsa_exception_fp_ieee_div_zero 0
		.amdhsa_exception_fp_ieee_overflow 0
		.amdhsa_exception_fp_ieee_underflow 0
		.amdhsa_exception_fp_ieee_inexact 0
		.amdhsa_exception_int_div_zero 0
	.end_amdhsa_kernel
	.section	.text._ZN9rocsparseL21csrmvt_general_kernelILj256ELj16EllDF16_DF16_ffEEvbbT2_NS_24const_host_device_scalarIT6_EEPKT1_S7_PKS1_PKT3_PKT4_PT5_21rocsparse_index_base_b,"axG",@progbits,_ZN9rocsparseL21csrmvt_general_kernelILj256ELj16EllDF16_DF16_ffEEvbbT2_NS_24const_host_device_scalarIT6_EEPKT1_S7_PKS1_PKT3_PKT4_PT5_21rocsparse_index_base_b,comdat
.Lfunc_end228:
	.size	_ZN9rocsparseL21csrmvt_general_kernelILj256ELj16EllDF16_DF16_ffEEvbbT2_NS_24const_host_device_scalarIT6_EEPKT1_S7_PKS1_PKT3_PKT4_PT5_21rocsparse_index_base_b, .Lfunc_end228-_ZN9rocsparseL21csrmvt_general_kernelILj256ELj16EllDF16_DF16_ffEEvbbT2_NS_24const_host_device_scalarIT6_EEPKT1_S7_PKS1_PKT3_PKT4_PT5_21rocsparse_index_base_b
                                        ; -- End function
	.section	.AMDGPU.csdata,"",@progbits
; Kernel info:
; codeLenInByte = 936
; NumSgprs: 34
; NumVgprs: 21
; NumAgprs: 0
; TotalNumVgprs: 21
; ScratchSize: 0
; MemoryBound: 0
; FloatMode: 240
; IeeeMode: 1
; LDSByteSize: 0 bytes/workgroup (compile time only)
; SGPRBlocks: 4
; VGPRBlocks: 2
; NumSGPRsForWavesPerEU: 34
; NumVGPRsForWavesPerEU: 21
; AccumOffset: 24
; Occupancy: 8
; WaveLimiterHint : 1
; COMPUTE_PGM_RSRC2:SCRATCH_EN: 0
; COMPUTE_PGM_RSRC2:USER_SGPR: 6
; COMPUTE_PGM_RSRC2:TRAP_HANDLER: 0
; COMPUTE_PGM_RSRC2:TGID_X_EN: 1
; COMPUTE_PGM_RSRC2:TGID_Y_EN: 0
; COMPUTE_PGM_RSRC2:TGID_Z_EN: 0
; COMPUTE_PGM_RSRC2:TIDIG_COMP_CNT: 0
; COMPUTE_PGM_RSRC3_GFX90A:ACCUM_OFFSET: 5
; COMPUTE_PGM_RSRC3_GFX90A:TG_SPLIT: 0
	.section	.text._ZN9rocsparseL21csrmvt_general_kernelILj256ELj32EllDF16_DF16_ffEEvbbT2_NS_24const_host_device_scalarIT6_EEPKT1_S7_PKS1_PKT3_PKT4_PT5_21rocsparse_index_base_b,"axG",@progbits,_ZN9rocsparseL21csrmvt_general_kernelILj256ELj32EllDF16_DF16_ffEEvbbT2_NS_24const_host_device_scalarIT6_EEPKT1_S7_PKS1_PKT3_PKT4_PT5_21rocsparse_index_base_b,comdat
	.globl	_ZN9rocsparseL21csrmvt_general_kernelILj256ELj32EllDF16_DF16_ffEEvbbT2_NS_24const_host_device_scalarIT6_EEPKT1_S7_PKS1_PKT3_PKT4_PT5_21rocsparse_index_base_b ; -- Begin function _ZN9rocsparseL21csrmvt_general_kernelILj256ELj32EllDF16_DF16_ffEEvbbT2_NS_24const_host_device_scalarIT6_EEPKT1_S7_PKS1_PKT3_PKT4_PT5_21rocsparse_index_base_b
	.p2align	8
	.type	_ZN9rocsparseL21csrmvt_general_kernelILj256ELj32EllDF16_DF16_ffEEvbbT2_NS_24const_host_device_scalarIT6_EEPKT1_S7_PKS1_PKT3_PKT4_PT5_21rocsparse_index_base_b,@function
_ZN9rocsparseL21csrmvt_general_kernelILj256ELj32EllDF16_DF16_ffEEvbbT2_NS_24const_host_device_scalarIT6_EEPKT1_S7_PKS1_PKT3_PKT4_PT5_21rocsparse_index_base_b: ; @_ZN9rocsparseL21csrmvt_general_kernelILj256ELj32EllDF16_DF16_ffEEvbbT2_NS_24const_host_device_scalarIT6_EEPKT1_S7_PKS1_PKT3_PKT4_PT5_21rocsparse_index_base_b
; %bb.0:
	s_load_dwordx2 s[2:3], s[4:5], 0x48
	s_load_dwordx8 s[8:15], s[4:5], 0x8
	s_waitcnt lgkmcnt(0)
	s_bitcmp1_b32 s3, 0
	s_cselect_b64 s[0:1], -1, 0
	s_and_b64 vcc, exec, s[0:1]
	s_cbranch_vccnz .LBB229_2
; %bb.1:
	s_load_dword s10, s[10:11], 0x0
.LBB229_2:
	s_waitcnt lgkmcnt(0)
	v_cmp_eq_f32_e64 s[0:1], s10, 0
	s_and_b64 vcc, exec, s[0:1]
	s_cbranch_vccnz .LBB229_23
; %bb.3:
	s_load_dword s0, s[4:5], 0x0
	s_load_dword s1, s[4:5], 0x50
	s_load_dwordx8 s[16:23], s[4:5], 0x28
	v_and_b32_e32 v12, 31, v0
	v_lshl_or_b32 v0, s6, 8, v0
	s_waitcnt lgkmcnt(0)
	s_and_b32 s0, s0, 1
	s_lshl_b32 s3, s1, 3
	v_lshrrev_b32_e32 v0, 5, v0
	v_mov_b32_e32 v1, 0
	s_cmp_eq_u32 s0, 0
	v_cmp_gt_i64_e64 s[0:1], s[8:9], v[0:1]
	s_mov_b64 s[4:5], -1
	s_cbranch_scc0 .LBB229_13
; %bb.4:
	s_and_saveexec_b64 s[4:5], s[0:1]
	s_cbranch_execz .LBB229_12
; %bb.5:
	v_subrev_co_u32_e32 v13, vcc, s2, v12
	s_mov_b32 s11, 0
	v_subb_co_u32_e64 v14, s[6:7], 0, 0, vcc
	s_mov_b64 s[6:7], 0
	v_mov_b32_e32 v15, s13
	v_mov_b32_e32 v16, s15
	;; [unrolled: 1-line block ×3, first 2 shown]
	v_pk_mov_b32 v[2:3], v[0:1], v[0:1] op_sel:[0,1]
	s_branch .LBB229_7
.LBB229_6:                              ;   in Loop: Header=BB229_7 Depth=1
	s_or_b64 exec, exec, s[24:25]
	v_add_co_u32_e32 v2, vcc, s3, v2
	v_addc_co_u32_e32 v3, vcc, 0, v3, vcc
	v_cmp_le_i64_e32 vcc, s[8:9], v[2:3]
	s_or_b64 s[6:7], vcc, s[6:7]
	s_andn2_b64 exec, exec, s[6:7]
	s_cbranch_execz .LBB229_12
.LBB229_7:                              ; =>This Loop Header: Depth=1
                                        ;     Child Loop BB229_9 Depth 2
                                        ;       Child Loop BB229_10 Depth 3
	v_lshlrev_b64 v[4:5], 3, v[2:3]
	v_add_co_u32_e32 v6, vcc, s14, v4
	v_addc_co_u32_e32 v7, vcc, v16, v5, vcc
	global_load_dwordx2 v[6:7], v[6:7], off
	v_add_co_u32_e32 v4, vcc, s12, v4
	v_addc_co_u32_e32 v5, vcc, v15, v5, vcc
	global_load_dwordx2 v[8:9], v[4:5], off
	s_waitcnt vmcnt(1)
	v_subrev_co_u32_e32 v4, vcc, s2, v6
	v_subb_co_u32_e32 v5, vcc, v7, v17, vcc
	s_waitcnt vmcnt(0)
	v_add_co_u32_e32 v6, vcc, v8, v13
	v_addc_co_u32_e32 v7, vcc, v9, v14, vcc
	v_cmp_lt_i64_e32 vcc, v[6:7], v[4:5]
	s_and_saveexec_b64 s[24:25], vcc
	s_cbranch_execz .LBB229_6
; %bb.8:                                ;   in Loop: Header=BB229_7 Depth=1
	v_lshlrev_b64 v[8:9], 1, v[2:3]
	v_mov_b32_e32 v10, s21
	v_add_co_u32_e32 v8, vcc, s20, v8
	v_addc_co_u32_e32 v9, vcc, v10, v9, vcc
	global_load_ushort v8, v[8:9], off
	s_mov_b64 s[26:27], 0
	s_waitcnt vmcnt(0)
	v_cvt_f32_f16_e32 v8, v8
	v_mul_f32_e32 v18, s10, v8
.LBB229_9:                              ;   Parent Loop BB229_7 Depth=1
                                        ; =>  This Loop Header: Depth=2
                                        ;       Child Loop BB229_10 Depth 3
	v_lshlrev_b64 v[8:9], 3, v[6:7]
	v_mov_b32_e32 v10, s17
	v_add_co_u32_e32 v8, vcc, s16, v8
	v_addc_co_u32_e32 v9, vcc, v10, v9, vcc
	global_load_dwordx2 v[8:9], v[8:9], off
	v_lshlrev_b64 v[10:11], 1, v[6:7]
	v_mov_b32_e32 v19, s19
	v_add_co_u32_e32 v10, vcc, s18, v10
	v_addc_co_u32_e32 v11, vcc, v19, v11, vcc
	global_load_ushort v10, v[10:11], off
	v_mov_b32_e32 v20, s23
	s_mov_b64 s[28:29], 0
	s_waitcnt vmcnt(1)
	v_subrev_co_u32_e32 v8, vcc, s2, v8
	v_subb_co_u32_e32 v9, vcc, v9, v17, vcc
	v_lshlrev_b64 v[8:9], 2, v[8:9]
	v_add_co_u32_e32 v8, vcc, s22, v8
	v_addc_co_u32_e32 v9, vcc, v20, v9, vcc
	global_load_dword v11, v[8:9], off
	s_waitcnt vmcnt(1)
	v_cvt_f32_f16_e32 v10, v10
	v_mul_f32_e32 v19, v18, v10
.LBB229_10:                             ;   Parent Loop BB229_7 Depth=1
                                        ;     Parent Loop BB229_9 Depth=2
                                        ; =>    This Inner Loop Header: Depth=3
	s_waitcnt vmcnt(0)
	v_add_f32_e32 v10, v11, v19
	global_atomic_cmpswap v10, v[8:9], v[10:11], off glc
	s_waitcnt vmcnt(0)
	v_cmp_eq_u32_e32 vcc, v10, v11
	s_or_b64 s[28:29], vcc, s[28:29]
	v_mov_b32_e32 v11, v10
	s_andn2_b64 exec, exec, s[28:29]
	s_cbranch_execnz .LBB229_10
; %bb.11:                               ;   in Loop: Header=BB229_9 Depth=2
	s_or_b64 exec, exec, s[28:29]
	v_add_co_u32_e32 v6, vcc, 32, v6
	v_addc_co_u32_e32 v7, vcc, 0, v7, vcc
	v_cmp_ge_i64_e32 vcc, v[6:7], v[4:5]
	s_or_b64 s[26:27], vcc, s[26:27]
	s_andn2_b64 exec, exec, s[26:27]
	s_cbranch_execnz .LBB229_9
	s_branch .LBB229_6
.LBB229_12:
	s_or_b64 exec, exec, s[4:5]
	s_mov_b64 s[4:5], 0
.LBB229_13:
	s_andn2_b64 vcc, exec, s[4:5]
	s_cbranch_vccnz .LBB229_23
; %bb.14:
	s_and_saveexec_b64 s[4:5], s[0:1]
	s_cbranch_execz .LBB229_23
; %bb.15:
	v_subrev_co_u32_e32 v10, vcc, s2, v12
	s_mov_b32 s4, 0
	v_subb_co_u32_e64 v11, s[0:1], 0, 0, vcc
	s_mov_b64 s[0:1], 0
	v_mov_b32_e32 v12, s13
	v_mov_b32_e32 v13, s15
	;; [unrolled: 1-line block ×3, first 2 shown]
	s_branch .LBB229_17
.LBB229_16:                             ;   in Loop: Header=BB229_17 Depth=1
	s_or_b64 exec, exec, s[4:5]
	v_add_co_u32_e32 v0, vcc, s3, v0
	v_addc_co_u32_e32 v1, vcc, 0, v1, vcc
	v_cmp_le_i64_e32 vcc, s[8:9], v[0:1]
	s_or_b64 s[0:1], vcc, s[0:1]
	s_andn2_b64 exec, exec, s[0:1]
	s_cbranch_execz .LBB229_23
.LBB229_17:                             ; =>This Loop Header: Depth=1
                                        ;     Child Loop BB229_20 Depth 2
                                        ;       Child Loop BB229_22 Depth 3
	v_lshlrev_b64 v[2:3], 3, v[0:1]
	v_add_co_u32_e32 v4, vcc, s14, v2
	v_addc_co_u32_e32 v5, vcc, v13, v3, vcc
	global_load_dwordx2 v[4:5], v[4:5], off
	v_add_co_u32_e32 v2, vcc, s12, v2
	v_addc_co_u32_e32 v3, vcc, v12, v3, vcc
	global_load_dwordx2 v[6:7], v[2:3], off
	s_waitcnt vmcnt(1)
	v_subrev_co_u32_e32 v2, vcc, s2, v4
	v_subb_co_u32_e32 v3, vcc, v5, v14, vcc
	s_waitcnt vmcnt(0)
	v_add_co_u32_e32 v4, vcc, v6, v10
	v_addc_co_u32_e32 v5, vcc, v7, v11, vcc
	v_cmp_lt_i64_e32 vcc, v[4:5], v[2:3]
	s_and_saveexec_b64 s[4:5], vcc
	s_cbranch_execz .LBB229_16
; %bb.18:                               ;   in Loop: Header=BB229_17 Depth=1
	v_lshlrev_b64 v[6:7], 1, v[0:1]
	v_mov_b32_e32 v8, s21
	v_add_co_u32_e32 v6, vcc, s20, v6
	v_addc_co_u32_e32 v7, vcc, v8, v7, vcc
	global_load_ushort v6, v[6:7], off
	s_mov_b64 s[6:7], 0
	s_waitcnt vmcnt(0)
	v_cvt_f32_f16_e32 v6, v6
	v_mul_f32_e32 v15, s10, v6
	s_branch .LBB229_20
.LBB229_19:                             ;   in Loop: Header=BB229_20 Depth=2
	s_or_b64 exec, exec, s[24:25]
	v_add_co_u32_e32 v4, vcc, 32, v4
	v_addc_co_u32_e32 v5, vcc, 0, v5, vcc
	v_cmp_ge_i64_e32 vcc, v[4:5], v[2:3]
	s_or_b64 s[6:7], vcc, s[6:7]
	s_andn2_b64 exec, exec, s[6:7]
	s_cbranch_execz .LBB229_16
.LBB229_20:                             ;   Parent Loop BB229_17 Depth=1
                                        ; =>  This Loop Header: Depth=2
                                        ;       Child Loop BB229_22 Depth 3
	v_lshlrev_b64 v[6:7], 3, v[4:5]
	v_mov_b32_e32 v8, s17
	v_add_co_u32_e32 v6, vcc, s16, v6
	v_addc_co_u32_e32 v7, vcc, v8, v7, vcc
	global_load_dwordx2 v[6:7], v[6:7], off
	s_waitcnt vmcnt(0)
	v_subrev_co_u32_e32 v6, vcc, s2, v6
	v_subb_co_u32_e32 v7, vcc, v7, v14, vcc
	v_cmp_ne_u64_e32 vcc, v[6:7], v[0:1]
	s_and_saveexec_b64 s[24:25], vcc
	s_cbranch_execz .LBB229_19
; %bb.21:                               ;   in Loop: Header=BB229_20 Depth=2
	v_lshlrev_b64 v[8:9], 1, v[4:5]
	v_mov_b32_e32 v16, s19
	v_add_co_u32_e32 v8, vcc, s18, v8
	v_addc_co_u32_e32 v9, vcc, v16, v9, vcc
	global_load_ushort v8, v[8:9], off
	v_lshlrev_b64 v[6:7], 2, v[6:7]
	v_mov_b32_e32 v9, s23
	v_add_co_u32_e32 v6, vcc, s22, v6
	v_addc_co_u32_e32 v7, vcc, v9, v7, vcc
	global_load_dword v9, v[6:7], off
	s_mov_b64 s[26:27], 0
	s_waitcnt vmcnt(1)
	v_cvt_f32_f16_e32 v8, v8
	v_mul_f32_e32 v16, v15, v8
.LBB229_22:                             ;   Parent Loop BB229_17 Depth=1
                                        ;     Parent Loop BB229_20 Depth=2
                                        ; =>    This Inner Loop Header: Depth=3
	s_waitcnt vmcnt(0)
	v_add_f32_e32 v8, v9, v16
	global_atomic_cmpswap v8, v[6:7], v[8:9], off glc
	s_waitcnt vmcnt(0)
	v_cmp_eq_u32_e32 vcc, v8, v9
	s_or_b64 s[26:27], vcc, s[26:27]
	v_mov_b32_e32 v9, v8
	s_andn2_b64 exec, exec, s[26:27]
	s_cbranch_execnz .LBB229_22
	s_branch .LBB229_19
.LBB229_23:
	s_endpgm
	.section	.rodata,"a",@progbits
	.p2align	6, 0x0
	.amdhsa_kernel _ZN9rocsparseL21csrmvt_general_kernelILj256ELj32EllDF16_DF16_ffEEvbbT2_NS_24const_host_device_scalarIT6_EEPKT1_S7_PKS1_PKT3_PKT4_PT5_21rocsparse_index_base_b
		.amdhsa_group_segment_fixed_size 0
		.amdhsa_private_segment_fixed_size 0
		.amdhsa_kernarg_size 336
		.amdhsa_user_sgpr_count 6
		.amdhsa_user_sgpr_private_segment_buffer 1
		.amdhsa_user_sgpr_dispatch_ptr 0
		.amdhsa_user_sgpr_queue_ptr 0
		.amdhsa_user_sgpr_kernarg_segment_ptr 1
		.amdhsa_user_sgpr_dispatch_id 0
		.amdhsa_user_sgpr_flat_scratch_init 0
		.amdhsa_user_sgpr_kernarg_preload_length 0
		.amdhsa_user_sgpr_kernarg_preload_offset 0
		.amdhsa_user_sgpr_private_segment_size 0
		.amdhsa_uses_dynamic_stack 0
		.amdhsa_system_sgpr_private_segment_wavefront_offset 0
		.amdhsa_system_sgpr_workgroup_id_x 1
		.amdhsa_system_sgpr_workgroup_id_y 0
		.amdhsa_system_sgpr_workgroup_id_z 0
		.amdhsa_system_sgpr_workgroup_info 0
		.amdhsa_system_vgpr_workitem_id 0
		.amdhsa_next_free_vgpr 21
		.amdhsa_next_free_sgpr 30
		.amdhsa_accum_offset 24
		.amdhsa_reserve_vcc 1
		.amdhsa_reserve_flat_scratch 0
		.amdhsa_float_round_mode_32 0
		.amdhsa_float_round_mode_16_64 0
		.amdhsa_float_denorm_mode_32 3
		.amdhsa_float_denorm_mode_16_64 3
		.amdhsa_dx10_clamp 1
		.amdhsa_ieee_mode 1
		.amdhsa_fp16_overflow 0
		.amdhsa_tg_split 0
		.amdhsa_exception_fp_ieee_invalid_op 0
		.amdhsa_exception_fp_denorm_src 0
		.amdhsa_exception_fp_ieee_div_zero 0
		.amdhsa_exception_fp_ieee_overflow 0
		.amdhsa_exception_fp_ieee_underflow 0
		.amdhsa_exception_fp_ieee_inexact 0
		.amdhsa_exception_int_div_zero 0
	.end_amdhsa_kernel
	.section	.text._ZN9rocsparseL21csrmvt_general_kernelILj256ELj32EllDF16_DF16_ffEEvbbT2_NS_24const_host_device_scalarIT6_EEPKT1_S7_PKS1_PKT3_PKT4_PT5_21rocsparse_index_base_b,"axG",@progbits,_ZN9rocsparseL21csrmvt_general_kernelILj256ELj32EllDF16_DF16_ffEEvbbT2_NS_24const_host_device_scalarIT6_EEPKT1_S7_PKS1_PKT3_PKT4_PT5_21rocsparse_index_base_b,comdat
.Lfunc_end229:
	.size	_ZN9rocsparseL21csrmvt_general_kernelILj256ELj32EllDF16_DF16_ffEEvbbT2_NS_24const_host_device_scalarIT6_EEPKT1_S7_PKS1_PKT3_PKT4_PT5_21rocsparse_index_base_b, .Lfunc_end229-_ZN9rocsparseL21csrmvt_general_kernelILj256ELj32EllDF16_DF16_ffEEvbbT2_NS_24const_host_device_scalarIT6_EEPKT1_S7_PKS1_PKT3_PKT4_PT5_21rocsparse_index_base_b
                                        ; -- End function
	.section	.AMDGPU.csdata,"",@progbits
; Kernel info:
; codeLenInByte = 936
; NumSgprs: 34
; NumVgprs: 21
; NumAgprs: 0
; TotalNumVgprs: 21
; ScratchSize: 0
; MemoryBound: 0
; FloatMode: 240
; IeeeMode: 1
; LDSByteSize: 0 bytes/workgroup (compile time only)
; SGPRBlocks: 4
; VGPRBlocks: 2
; NumSGPRsForWavesPerEU: 34
; NumVGPRsForWavesPerEU: 21
; AccumOffset: 24
; Occupancy: 8
; WaveLimiterHint : 1
; COMPUTE_PGM_RSRC2:SCRATCH_EN: 0
; COMPUTE_PGM_RSRC2:USER_SGPR: 6
; COMPUTE_PGM_RSRC2:TRAP_HANDLER: 0
; COMPUTE_PGM_RSRC2:TGID_X_EN: 1
; COMPUTE_PGM_RSRC2:TGID_Y_EN: 0
; COMPUTE_PGM_RSRC2:TGID_Z_EN: 0
; COMPUTE_PGM_RSRC2:TIDIG_COMP_CNT: 0
; COMPUTE_PGM_RSRC3_GFX90A:ACCUM_OFFSET: 5
; COMPUTE_PGM_RSRC3_GFX90A:TG_SPLIT: 0
	.section	.text._ZN9rocsparseL21csrmvt_general_kernelILj256ELj64EllDF16_DF16_ffEEvbbT2_NS_24const_host_device_scalarIT6_EEPKT1_S7_PKS1_PKT3_PKT4_PT5_21rocsparse_index_base_b,"axG",@progbits,_ZN9rocsparseL21csrmvt_general_kernelILj256ELj64EllDF16_DF16_ffEEvbbT2_NS_24const_host_device_scalarIT6_EEPKT1_S7_PKS1_PKT3_PKT4_PT5_21rocsparse_index_base_b,comdat
	.globl	_ZN9rocsparseL21csrmvt_general_kernelILj256ELj64EllDF16_DF16_ffEEvbbT2_NS_24const_host_device_scalarIT6_EEPKT1_S7_PKS1_PKT3_PKT4_PT5_21rocsparse_index_base_b ; -- Begin function _ZN9rocsparseL21csrmvt_general_kernelILj256ELj64EllDF16_DF16_ffEEvbbT2_NS_24const_host_device_scalarIT6_EEPKT1_S7_PKS1_PKT3_PKT4_PT5_21rocsparse_index_base_b
	.p2align	8
	.type	_ZN9rocsparseL21csrmvt_general_kernelILj256ELj64EllDF16_DF16_ffEEvbbT2_NS_24const_host_device_scalarIT6_EEPKT1_S7_PKS1_PKT3_PKT4_PT5_21rocsparse_index_base_b,@function
_ZN9rocsparseL21csrmvt_general_kernelILj256ELj64EllDF16_DF16_ffEEvbbT2_NS_24const_host_device_scalarIT6_EEPKT1_S7_PKS1_PKT3_PKT4_PT5_21rocsparse_index_base_b: ; @_ZN9rocsparseL21csrmvt_general_kernelILj256ELj64EllDF16_DF16_ffEEvbbT2_NS_24const_host_device_scalarIT6_EEPKT1_S7_PKS1_PKT3_PKT4_PT5_21rocsparse_index_base_b
; %bb.0:
	s_load_dwordx2 s[2:3], s[4:5], 0x48
	s_load_dwordx8 s[8:15], s[4:5], 0x8
	s_waitcnt lgkmcnt(0)
	s_bitcmp1_b32 s3, 0
	s_cselect_b64 s[0:1], -1, 0
	s_and_b64 vcc, exec, s[0:1]
	s_cbranch_vccnz .LBB230_2
; %bb.1:
	s_load_dword s10, s[10:11], 0x0
.LBB230_2:
	s_waitcnt lgkmcnt(0)
	v_cmp_eq_f32_e64 s[0:1], s10, 0
	s_and_b64 vcc, exec, s[0:1]
	s_cbranch_vccnz .LBB230_23
; %bb.3:
	s_load_dword s0, s[4:5], 0x0
	s_load_dword s1, s[4:5], 0x50
	s_load_dwordx8 s[16:23], s[4:5], 0x28
	v_and_b32_e32 v12, 63, v0
	v_lshl_or_b32 v0, s6, 8, v0
	s_waitcnt lgkmcnt(0)
	s_and_b32 s0, s0, 1
	s_lshl_b32 s3, s1, 2
	v_lshrrev_b32_e32 v0, 6, v0
	v_mov_b32_e32 v1, 0
	s_cmp_eq_u32 s0, 0
	v_cmp_gt_i64_e64 s[0:1], s[8:9], v[0:1]
	s_mov_b64 s[4:5], -1
	s_cbranch_scc0 .LBB230_13
; %bb.4:
	s_and_saveexec_b64 s[4:5], s[0:1]
	s_cbranch_execz .LBB230_12
; %bb.5:
	v_subrev_co_u32_e32 v13, vcc, s2, v12
	s_mov_b32 s11, 0
	v_subb_co_u32_e64 v14, s[6:7], 0, 0, vcc
	s_mov_b64 s[6:7], 0
	v_mov_b32_e32 v15, s13
	v_mov_b32_e32 v16, s15
	;; [unrolled: 1-line block ×3, first 2 shown]
	v_pk_mov_b32 v[2:3], v[0:1], v[0:1] op_sel:[0,1]
	s_branch .LBB230_7
.LBB230_6:                              ;   in Loop: Header=BB230_7 Depth=1
	s_or_b64 exec, exec, s[24:25]
	v_add_co_u32_e32 v2, vcc, s3, v2
	v_addc_co_u32_e32 v3, vcc, 0, v3, vcc
	v_cmp_le_i64_e32 vcc, s[8:9], v[2:3]
	s_or_b64 s[6:7], vcc, s[6:7]
	s_andn2_b64 exec, exec, s[6:7]
	s_cbranch_execz .LBB230_12
.LBB230_7:                              ; =>This Loop Header: Depth=1
                                        ;     Child Loop BB230_9 Depth 2
                                        ;       Child Loop BB230_10 Depth 3
	v_lshlrev_b64 v[4:5], 3, v[2:3]
	v_add_co_u32_e32 v6, vcc, s14, v4
	v_addc_co_u32_e32 v7, vcc, v16, v5, vcc
	global_load_dwordx2 v[6:7], v[6:7], off
	v_add_co_u32_e32 v4, vcc, s12, v4
	v_addc_co_u32_e32 v5, vcc, v15, v5, vcc
	global_load_dwordx2 v[8:9], v[4:5], off
	s_waitcnt vmcnt(1)
	v_subrev_co_u32_e32 v4, vcc, s2, v6
	v_subb_co_u32_e32 v5, vcc, v7, v17, vcc
	s_waitcnt vmcnt(0)
	v_add_co_u32_e32 v6, vcc, v8, v13
	v_addc_co_u32_e32 v7, vcc, v9, v14, vcc
	v_cmp_lt_i64_e32 vcc, v[6:7], v[4:5]
	s_and_saveexec_b64 s[24:25], vcc
	s_cbranch_execz .LBB230_6
; %bb.8:                                ;   in Loop: Header=BB230_7 Depth=1
	v_lshlrev_b64 v[8:9], 1, v[2:3]
	v_mov_b32_e32 v10, s21
	v_add_co_u32_e32 v8, vcc, s20, v8
	v_addc_co_u32_e32 v9, vcc, v10, v9, vcc
	global_load_ushort v8, v[8:9], off
	s_mov_b64 s[26:27], 0
	s_waitcnt vmcnt(0)
	v_cvt_f32_f16_e32 v8, v8
	v_mul_f32_e32 v18, s10, v8
.LBB230_9:                              ;   Parent Loop BB230_7 Depth=1
                                        ; =>  This Loop Header: Depth=2
                                        ;       Child Loop BB230_10 Depth 3
	v_lshlrev_b64 v[8:9], 3, v[6:7]
	v_mov_b32_e32 v10, s17
	v_add_co_u32_e32 v8, vcc, s16, v8
	v_addc_co_u32_e32 v9, vcc, v10, v9, vcc
	global_load_dwordx2 v[8:9], v[8:9], off
	v_lshlrev_b64 v[10:11], 1, v[6:7]
	v_mov_b32_e32 v19, s19
	v_add_co_u32_e32 v10, vcc, s18, v10
	v_addc_co_u32_e32 v11, vcc, v19, v11, vcc
	global_load_ushort v10, v[10:11], off
	v_mov_b32_e32 v20, s23
	s_mov_b64 s[28:29], 0
	s_waitcnt vmcnt(1)
	v_subrev_co_u32_e32 v8, vcc, s2, v8
	v_subb_co_u32_e32 v9, vcc, v9, v17, vcc
	v_lshlrev_b64 v[8:9], 2, v[8:9]
	v_add_co_u32_e32 v8, vcc, s22, v8
	v_addc_co_u32_e32 v9, vcc, v20, v9, vcc
	global_load_dword v11, v[8:9], off
	s_waitcnt vmcnt(1)
	v_cvt_f32_f16_e32 v10, v10
	v_mul_f32_e32 v19, v18, v10
.LBB230_10:                             ;   Parent Loop BB230_7 Depth=1
                                        ;     Parent Loop BB230_9 Depth=2
                                        ; =>    This Inner Loop Header: Depth=3
	s_waitcnt vmcnt(0)
	v_add_f32_e32 v10, v11, v19
	global_atomic_cmpswap v10, v[8:9], v[10:11], off glc
	s_waitcnt vmcnt(0)
	v_cmp_eq_u32_e32 vcc, v10, v11
	s_or_b64 s[28:29], vcc, s[28:29]
	v_mov_b32_e32 v11, v10
	s_andn2_b64 exec, exec, s[28:29]
	s_cbranch_execnz .LBB230_10
; %bb.11:                               ;   in Loop: Header=BB230_9 Depth=2
	s_or_b64 exec, exec, s[28:29]
	v_add_co_u32_e32 v6, vcc, 64, v6
	v_addc_co_u32_e32 v7, vcc, 0, v7, vcc
	v_cmp_ge_i64_e32 vcc, v[6:7], v[4:5]
	s_or_b64 s[26:27], vcc, s[26:27]
	s_andn2_b64 exec, exec, s[26:27]
	s_cbranch_execnz .LBB230_9
	s_branch .LBB230_6
.LBB230_12:
	s_or_b64 exec, exec, s[4:5]
	s_mov_b64 s[4:5], 0
.LBB230_13:
	s_andn2_b64 vcc, exec, s[4:5]
	s_cbranch_vccnz .LBB230_23
; %bb.14:
	s_and_saveexec_b64 s[4:5], s[0:1]
	s_cbranch_execz .LBB230_23
; %bb.15:
	v_subrev_co_u32_e32 v10, vcc, s2, v12
	s_mov_b32 s4, 0
	v_subb_co_u32_e64 v11, s[0:1], 0, 0, vcc
	s_mov_b64 s[0:1], 0
	v_mov_b32_e32 v12, s13
	v_mov_b32_e32 v13, s15
	;; [unrolled: 1-line block ×3, first 2 shown]
	s_branch .LBB230_17
.LBB230_16:                             ;   in Loop: Header=BB230_17 Depth=1
	s_or_b64 exec, exec, s[4:5]
	v_add_co_u32_e32 v0, vcc, s3, v0
	v_addc_co_u32_e32 v1, vcc, 0, v1, vcc
	v_cmp_le_i64_e32 vcc, s[8:9], v[0:1]
	s_or_b64 s[0:1], vcc, s[0:1]
	s_andn2_b64 exec, exec, s[0:1]
	s_cbranch_execz .LBB230_23
.LBB230_17:                             ; =>This Loop Header: Depth=1
                                        ;     Child Loop BB230_20 Depth 2
                                        ;       Child Loop BB230_22 Depth 3
	v_lshlrev_b64 v[2:3], 3, v[0:1]
	v_add_co_u32_e32 v4, vcc, s14, v2
	v_addc_co_u32_e32 v5, vcc, v13, v3, vcc
	global_load_dwordx2 v[4:5], v[4:5], off
	v_add_co_u32_e32 v2, vcc, s12, v2
	v_addc_co_u32_e32 v3, vcc, v12, v3, vcc
	global_load_dwordx2 v[6:7], v[2:3], off
	s_waitcnt vmcnt(1)
	v_subrev_co_u32_e32 v2, vcc, s2, v4
	v_subb_co_u32_e32 v3, vcc, v5, v14, vcc
	s_waitcnt vmcnt(0)
	v_add_co_u32_e32 v4, vcc, v6, v10
	v_addc_co_u32_e32 v5, vcc, v7, v11, vcc
	v_cmp_lt_i64_e32 vcc, v[4:5], v[2:3]
	s_and_saveexec_b64 s[4:5], vcc
	s_cbranch_execz .LBB230_16
; %bb.18:                               ;   in Loop: Header=BB230_17 Depth=1
	v_lshlrev_b64 v[6:7], 1, v[0:1]
	v_mov_b32_e32 v8, s21
	v_add_co_u32_e32 v6, vcc, s20, v6
	v_addc_co_u32_e32 v7, vcc, v8, v7, vcc
	global_load_ushort v6, v[6:7], off
	s_mov_b64 s[6:7], 0
	s_waitcnt vmcnt(0)
	v_cvt_f32_f16_e32 v6, v6
	v_mul_f32_e32 v15, s10, v6
	s_branch .LBB230_20
.LBB230_19:                             ;   in Loop: Header=BB230_20 Depth=2
	s_or_b64 exec, exec, s[24:25]
	v_add_co_u32_e32 v4, vcc, 64, v4
	v_addc_co_u32_e32 v5, vcc, 0, v5, vcc
	v_cmp_ge_i64_e32 vcc, v[4:5], v[2:3]
	s_or_b64 s[6:7], vcc, s[6:7]
	s_andn2_b64 exec, exec, s[6:7]
	s_cbranch_execz .LBB230_16
.LBB230_20:                             ;   Parent Loop BB230_17 Depth=1
                                        ; =>  This Loop Header: Depth=2
                                        ;       Child Loop BB230_22 Depth 3
	v_lshlrev_b64 v[6:7], 3, v[4:5]
	v_mov_b32_e32 v8, s17
	v_add_co_u32_e32 v6, vcc, s16, v6
	v_addc_co_u32_e32 v7, vcc, v8, v7, vcc
	global_load_dwordx2 v[6:7], v[6:7], off
	s_waitcnt vmcnt(0)
	v_subrev_co_u32_e32 v6, vcc, s2, v6
	v_subb_co_u32_e32 v7, vcc, v7, v14, vcc
	v_cmp_ne_u64_e32 vcc, v[6:7], v[0:1]
	s_and_saveexec_b64 s[24:25], vcc
	s_cbranch_execz .LBB230_19
; %bb.21:                               ;   in Loop: Header=BB230_20 Depth=2
	v_lshlrev_b64 v[8:9], 1, v[4:5]
	v_mov_b32_e32 v16, s19
	v_add_co_u32_e32 v8, vcc, s18, v8
	v_addc_co_u32_e32 v9, vcc, v16, v9, vcc
	global_load_ushort v8, v[8:9], off
	v_lshlrev_b64 v[6:7], 2, v[6:7]
	v_mov_b32_e32 v9, s23
	v_add_co_u32_e32 v6, vcc, s22, v6
	v_addc_co_u32_e32 v7, vcc, v9, v7, vcc
	global_load_dword v9, v[6:7], off
	s_mov_b64 s[26:27], 0
	s_waitcnt vmcnt(1)
	v_cvt_f32_f16_e32 v8, v8
	v_mul_f32_e32 v16, v15, v8
.LBB230_22:                             ;   Parent Loop BB230_17 Depth=1
                                        ;     Parent Loop BB230_20 Depth=2
                                        ; =>    This Inner Loop Header: Depth=3
	s_waitcnt vmcnt(0)
	v_add_f32_e32 v8, v9, v16
	global_atomic_cmpswap v8, v[6:7], v[8:9], off glc
	s_waitcnt vmcnt(0)
	v_cmp_eq_u32_e32 vcc, v8, v9
	s_or_b64 s[26:27], vcc, s[26:27]
	v_mov_b32_e32 v9, v8
	s_andn2_b64 exec, exec, s[26:27]
	s_cbranch_execnz .LBB230_22
	s_branch .LBB230_19
.LBB230_23:
	s_endpgm
	.section	.rodata,"a",@progbits
	.p2align	6, 0x0
	.amdhsa_kernel _ZN9rocsparseL21csrmvt_general_kernelILj256ELj64EllDF16_DF16_ffEEvbbT2_NS_24const_host_device_scalarIT6_EEPKT1_S7_PKS1_PKT3_PKT4_PT5_21rocsparse_index_base_b
		.amdhsa_group_segment_fixed_size 0
		.amdhsa_private_segment_fixed_size 0
		.amdhsa_kernarg_size 336
		.amdhsa_user_sgpr_count 6
		.amdhsa_user_sgpr_private_segment_buffer 1
		.amdhsa_user_sgpr_dispatch_ptr 0
		.amdhsa_user_sgpr_queue_ptr 0
		.amdhsa_user_sgpr_kernarg_segment_ptr 1
		.amdhsa_user_sgpr_dispatch_id 0
		.amdhsa_user_sgpr_flat_scratch_init 0
		.amdhsa_user_sgpr_kernarg_preload_length 0
		.amdhsa_user_sgpr_kernarg_preload_offset 0
		.amdhsa_user_sgpr_private_segment_size 0
		.amdhsa_uses_dynamic_stack 0
		.amdhsa_system_sgpr_private_segment_wavefront_offset 0
		.amdhsa_system_sgpr_workgroup_id_x 1
		.amdhsa_system_sgpr_workgroup_id_y 0
		.amdhsa_system_sgpr_workgroup_id_z 0
		.amdhsa_system_sgpr_workgroup_info 0
		.amdhsa_system_vgpr_workitem_id 0
		.amdhsa_next_free_vgpr 21
		.amdhsa_next_free_sgpr 30
		.amdhsa_accum_offset 24
		.amdhsa_reserve_vcc 1
		.amdhsa_reserve_flat_scratch 0
		.amdhsa_float_round_mode_32 0
		.amdhsa_float_round_mode_16_64 0
		.amdhsa_float_denorm_mode_32 3
		.amdhsa_float_denorm_mode_16_64 3
		.amdhsa_dx10_clamp 1
		.amdhsa_ieee_mode 1
		.amdhsa_fp16_overflow 0
		.amdhsa_tg_split 0
		.amdhsa_exception_fp_ieee_invalid_op 0
		.amdhsa_exception_fp_denorm_src 0
		.amdhsa_exception_fp_ieee_div_zero 0
		.amdhsa_exception_fp_ieee_overflow 0
		.amdhsa_exception_fp_ieee_underflow 0
		.amdhsa_exception_fp_ieee_inexact 0
		.amdhsa_exception_int_div_zero 0
	.end_amdhsa_kernel
	.section	.text._ZN9rocsparseL21csrmvt_general_kernelILj256ELj64EllDF16_DF16_ffEEvbbT2_NS_24const_host_device_scalarIT6_EEPKT1_S7_PKS1_PKT3_PKT4_PT5_21rocsparse_index_base_b,"axG",@progbits,_ZN9rocsparseL21csrmvt_general_kernelILj256ELj64EllDF16_DF16_ffEEvbbT2_NS_24const_host_device_scalarIT6_EEPKT1_S7_PKS1_PKT3_PKT4_PT5_21rocsparse_index_base_b,comdat
.Lfunc_end230:
	.size	_ZN9rocsparseL21csrmvt_general_kernelILj256ELj64EllDF16_DF16_ffEEvbbT2_NS_24const_host_device_scalarIT6_EEPKT1_S7_PKS1_PKT3_PKT4_PT5_21rocsparse_index_base_b, .Lfunc_end230-_ZN9rocsparseL21csrmvt_general_kernelILj256ELj64EllDF16_DF16_ffEEvbbT2_NS_24const_host_device_scalarIT6_EEPKT1_S7_PKS1_PKT3_PKT4_PT5_21rocsparse_index_base_b
                                        ; -- End function
	.section	.AMDGPU.csdata,"",@progbits
; Kernel info:
; codeLenInByte = 936
; NumSgprs: 34
; NumVgprs: 21
; NumAgprs: 0
; TotalNumVgprs: 21
; ScratchSize: 0
; MemoryBound: 0
; FloatMode: 240
; IeeeMode: 1
; LDSByteSize: 0 bytes/workgroup (compile time only)
; SGPRBlocks: 4
; VGPRBlocks: 2
; NumSGPRsForWavesPerEU: 34
; NumVGPRsForWavesPerEU: 21
; AccumOffset: 24
; Occupancy: 8
; WaveLimiterHint : 1
; COMPUTE_PGM_RSRC2:SCRATCH_EN: 0
; COMPUTE_PGM_RSRC2:USER_SGPR: 6
; COMPUTE_PGM_RSRC2:TRAP_HANDLER: 0
; COMPUTE_PGM_RSRC2:TGID_X_EN: 1
; COMPUTE_PGM_RSRC2:TGID_Y_EN: 0
; COMPUTE_PGM_RSRC2:TGID_Z_EN: 0
; COMPUTE_PGM_RSRC2:TIDIG_COMP_CNT: 0
; COMPUTE_PGM_RSRC3_GFX90A:ACCUM_OFFSET: 5
; COMPUTE_PGM_RSRC3_GFX90A:TG_SPLIT: 0
	.section	.text._ZN9rocsparseL21csrmvn_general_kernelILj256ELj2Eii18rocsparse_bfloat16S1_ffEEvbT2_NS_24const_host_device_scalarIT6_EEPKT1_S8_PKS2_PKT3_PKT4_S5_PT5_21rocsparse_index_base_b,"axG",@progbits,_ZN9rocsparseL21csrmvn_general_kernelILj256ELj2Eii18rocsparse_bfloat16S1_ffEEvbT2_NS_24const_host_device_scalarIT6_EEPKT1_S8_PKS2_PKT3_PKT4_S5_PT5_21rocsparse_index_base_b,comdat
	.globl	_ZN9rocsparseL21csrmvn_general_kernelILj256ELj2Eii18rocsparse_bfloat16S1_ffEEvbT2_NS_24const_host_device_scalarIT6_EEPKT1_S8_PKS2_PKT3_PKT4_S5_PT5_21rocsparse_index_base_b ; -- Begin function _ZN9rocsparseL21csrmvn_general_kernelILj256ELj2Eii18rocsparse_bfloat16S1_ffEEvbT2_NS_24const_host_device_scalarIT6_EEPKT1_S8_PKS2_PKT3_PKT4_S5_PT5_21rocsparse_index_base_b
	.p2align	8
	.type	_ZN9rocsparseL21csrmvn_general_kernelILj256ELj2Eii18rocsparse_bfloat16S1_ffEEvbT2_NS_24const_host_device_scalarIT6_EEPKT1_S8_PKS2_PKT3_PKT4_S5_PT5_21rocsparse_index_base_b,@function
_ZN9rocsparseL21csrmvn_general_kernelILj256ELj2Eii18rocsparse_bfloat16S1_ffEEvbT2_NS_24const_host_device_scalarIT6_EEPKT1_S8_PKS2_PKT3_PKT4_S5_PT5_21rocsparse_index_base_b: ; @_ZN9rocsparseL21csrmvn_general_kernelILj256ELj2Eii18rocsparse_bfloat16S1_ffEEvbT2_NS_24const_host_device_scalarIT6_EEPKT1_S8_PKS2_PKT3_PKT4_S5_PT5_21rocsparse_index_base_b
; %bb.0:
	s_load_dwordx2 s[20:21], s[4:5], 0x48
	s_load_dwordx4 s[16:19], s[4:5], 0x8
	s_load_dwordx2 s[22:23], s[4:5], 0x38
	s_waitcnt lgkmcnt(0)
	s_bitcmp1_b32 s21, 0
	s_cselect_b64 s[2:3], -1, 0
	s_xor_b64 s[0:1], s[2:3], -1
	s_and_b64 vcc, exec, s[2:3]
	s_cbranch_vccnz .LBB231_2
; %bb.1:
	s_load_dword s16, s[16:17], 0x0
.LBB231_2:
	s_andn2_b64 vcc, exec, s[0:1]
	s_cbranch_vccnz .LBB231_4
; %bb.3:
	s_load_dword s22, s[22:23], 0x0
.LBB231_4:
	s_waitcnt lgkmcnt(0)
	v_cmp_neq_f32_e64 s[0:1], s16, 0
	v_cmp_neq_f32_e64 s[2:3], s22, 1.0
	s_or_b64 s[0:1], s[0:1], s[2:3]
	s_andn2_b64 vcc, exec, s[0:1]
	s_cbranch_vccnz .LBB231_16
; %bb.5:
	s_load_dword s17, s[4:5], 0x4
	v_lshl_or_b32 v1, s6, 8, v0
	v_lshrrev_b32_e32 v2, 1, v1
	s_waitcnt lgkmcnt(0)
	v_cmp_gt_i32_e32 vcc, s17, v2
	s_and_saveexec_b64 s[0:1], vcc
	s_cbranch_execz .LBB231_16
; %bb.6:
	s_load_dword s0, s[4:5], 0x50
	s_load_dwordx2 s[6:7], s[4:5], 0x40
	s_load_dwordx8 s[8:15], s[4:5], 0x18
	s_ashr_i32 s21, s20, 31
	v_and_b32_e32 v0, 1, v0
	s_waitcnt lgkmcnt(0)
	s_lshl_b32 s23, s0, 7
	s_lshl_b64 s[0:1], s[20:21], 1
	s_sub_u32 s21, s14, s0
	v_cmp_neq_f32_e64 s[2:3], s22, 0
	v_subrev_u32_e32 v6, s20, v0
	s_subb_u32 s26, s15, s1
	v_cmp_eq_u32_e64 s[0:1], 1, v0
	v_cndmask_b32_e64 v0, 0, 1, s[2:3]
	s_mov_b64 s[14:15], 0
	v_mov_b32_e32 v7, s19
	v_mov_b32_e32 v8, s9
	v_cmp_ne_u32_e64 s[2:3], 1, v0
	s_branch .LBB231_9
.LBB231_7:                              ;   in Loop: Header=BB231_9 Depth=1
	global_store_dword v[0:1], v3, off
.LBB231_8:                              ;   in Loop: Header=BB231_9 Depth=1
	s_or_b64 exec, exec, s[24:25]
	v_add_u32_e32 v2, s23, v2
	v_cmp_le_i32_e32 vcc, s17, v2
	s_or_b64 s[14:15], vcc, s[14:15]
	s_andn2_b64 exec, exec, s[14:15]
	s_cbranch_execz .LBB231_16
.LBB231_9:                              ; =>This Loop Header: Depth=1
                                        ;     Child Loop BB231_11 Depth 2
	v_ashrrev_i32_e32 v3, 31, v2
	v_lshlrev_b64 v[0:1], 2, v[2:3]
	v_add_co_u32_e32 v4, vcc, s18, v0
	v_addc_co_u32_e32 v5, vcc, v7, v1, vcc
	v_add_co_u32_e32 v10, vcc, s8, v0
	v_addc_co_u32_e32 v11, vcc, v8, v1, vcc
	global_load_dword v3, v[10:11], off
	global_load_dword v12, v[4:5], off
	s_waitcnt vmcnt(1)
	v_subrev_u32_e32 v9, s20, v3
	s_waitcnt vmcnt(0)
	v_add_u32_e32 v4, v12, v6
	v_cmp_lt_i32_e32 vcc, v4, v9
	v_mov_b32_e32 v3, 0
	s_and_saveexec_b64 s[4:5], vcc
	s_cbranch_execz .LBB231_13
; %bb.10:                               ;   in Loop: Header=BB231_9 Depth=1
	s_mov_b64 s[24:25], 0
	v_mov_b32_e32 v3, 0
.LBB231_11:                             ;   Parent Loop BB231_9 Depth=1
                                        ; =>  This Inner Loop Header: Depth=2
	v_ashrrev_i32_e32 v5, 31, v4
	v_lshlrev_b64 v[10:11], 2, v[4:5]
	v_mov_b32_e32 v12, s11
	v_add_co_u32_e32 v10, vcc, s10, v10
	v_addc_co_u32_e32 v11, vcc, v12, v11, vcc
	global_load_dword v10, v[10:11], off
	v_lshlrev_b64 v[12:13], 1, v[4:5]
	v_mov_b32_e32 v11, s13
	v_add_co_u32_e32 v12, vcc, s12, v12
	v_addc_co_u32_e32 v13, vcc, v11, v13, vcc
	v_mov_b32_e32 v14, s26
	global_load_ushort v5, v[12:13], off
	v_add_u32_e32 v4, 2, v4
	s_waitcnt vmcnt(1)
	v_ashrrev_i32_e32 v11, 31, v10
	v_lshlrev_b64 v[10:11], 1, v[10:11]
	v_add_co_u32_e32 v10, vcc, s21, v10
	v_addc_co_u32_e32 v11, vcc, v14, v11, vcc
	global_load_ushort v10, v[10:11], off
	v_cmp_ge_i32_e32 vcc, v4, v9
	s_waitcnt vmcnt(1)
	v_lshlrev_b32_e32 v5, 16, v5
	v_mul_f32_e32 v5, s16, v5
	s_or_b64 s[24:25], vcc, s[24:25]
	s_waitcnt vmcnt(0)
	v_lshlrev_b32_e32 v10, 16, v10
	v_fmac_f32_e32 v3, v5, v10
	s_andn2_b64 exec, exec, s[24:25]
	s_cbranch_execnz .LBB231_11
; %bb.12:                               ;   in Loop: Header=BB231_9 Depth=1
	s_or_b64 exec, exec, s[24:25]
.LBB231_13:                             ;   in Loop: Header=BB231_9 Depth=1
	s_or_b64 exec, exec, s[4:5]
	v_mov_b32_dpp v4, v3 row_shr:1 row_mask:0xf bank_mask:0xf
	s_and_saveexec_b64 s[24:25], s[0:1]
	s_cbranch_execz .LBB231_8
; %bb.14:                               ;   in Loop: Header=BB231_9 Depth=1
	v_add_f32_e32 v3, v3, v4
	v_mov_b32_e32 v4, s7
	v_add_co_u32_e64 v0, s[4:5], s6, v0
	s_and_b64 vcc, exec, s[2:3]
	v_addc_co_u32_e64 v1, s[4:5], v4, v1, s[4:5]
	s_cbranch_vccnz .LBB231_7
; %bb.15:                               ;   in Loop: Header=BB231_9 Depth=1
	global_load_dword v4, v[0:1], off
	s_waitcnt vmcnt(0)
	v_fmac_f32_e32 v3, s22, v4
	s_branch .LBB231_7
.LBB231_16:
	s_endpgm
	.section	.rodata,"a",@progbits
	.p2align	6, 0x0
	.amdhsa_kernel _ZN9rocsparseL21csrmvn_general_kernelILj256ELj2Eii18rocsparse_bfloat16S1_ffEEvbT2_NS_24const_host_device_scalarIT6_EEPKT1_S8_PKS2_PKT3_PKT4_S5_PT5_21rocsparse_index_base_b
		.amdhsa_group_segment_fixed_size 0
		.amdhsa_private_segment_fixed_size 0
		.amdhsa_kernarg_size 336
		.amdhsa_user_sgpr_count 6
		.amdhsa_user_sgpr_private_segment_buffer 1
		.amdhsa_user_sgpr_dispatch_ptr 0
		.amdhsa_user_sgpr_queue_ptr 0
		.amdhsa_user_sgpr_kernarg_segment_ptr 1
		.amdhsa_user_sgpr_dispatch_id 0
		.amdhsa_user_sgpr_flat_scratch_init 0
		.amdhsa_user_sgpr_kernarg_preload_length 0
		.amdhsa_user_sgpr_kernarg_preload_offset 0
		.amdhsa_user_sgpr_private_segment_size 0
		.amdhsa_uses_dynamic_stack 0
		.amdhsa_system_sgpr_private_segment_wavefront_offset 0
		.amdhsa_system_sgpr_workgroup_id_x 1
		.amdhsa_system_sgpr_workgroup_id_y 0
		.amdhsa_system_sgpr_workgroup_id_z 0
		.amdhsa_system_sgpr_workgroup_info 0
		.amdhsa_system_vgpr_workitem_id 0
		.amdhsa_next_free_vgpr 15
		.amdhsa_next_free_sgpr 27
		.amdhsa_accum_offset 16
		.amdhsa_reserve_vcc 1
		.amdhsa_reserve_flat_scratch 0
		.amdhsa_float_round_mode_32 0
		.amdhsa_float_round_mode_16_64 0
		.amdhsa_float_denorm_mode_32 3
		.amdhsa_float_denorm_mode_16_64 3
		.amdhsa_dx10_clamp 1
		.amdhsa_ieee_mode 1
		.amdhsa_fp16_overflow 0
		.amdhsa_tg_split 0
		.amdhsa_exception_fp_ieee_invalid_op 0
		.amdhsa_exception_fp_denorm_src 0
		.amdhsa_exception_fp_ieee_div_zero 0
		.amdhsa_exception_fp_ieee_overflow 0
		.amdhsa_exception_fp_ieee_underflow 0
		.amdhsa_exception_fp_ieee_inexact 0
		.amdhsa_exception_int_div_zero 0
	.end_amdhsa_kernel
	.section	.text._ZN9rocsparseL21csrmvn_general_kernelILj256ELj2Eii18rocsparse_bfloat16S1_ffEEvbT2_NS_24const_host_device_scalarIT6_EEPKT1_S8_PKS2_PKT3_PKT4_S5_PT5_21rocsparse_index_base_b,"axG",@progbits,_ZN9rocsparseL21csrmvn_general_kernelILj256ELj2Eii18rocsparse_bfloat16S1_ffEEvbT2_NS_24const_host_device_scalarIT6_EEPKT1_S8_PKS2_PKT3_PKT4_S5_PT5_21rocsparse_index_base_b,comdat
.Lfunc_end231:
	.size	_ZN9rocsparseL21csrmvn_general_kernelILj256ELj2Eii18rocsparse_bfloat16S1_ffEEvbT2_NS_24const_host_device_scalarIT6_EEPKT1_S8_PKS2_PKT3_PKT4_S5_PT5_21rocsparse_index_base_b, .Lfunc_end231-_ZN9rocsparseL21csrmvn_general_kernelILj256ELj2Eii18rocsparse_bfloat16S1_ffEEvbT2_NS_24const_host_device_scalarIT6_EEPKT1_S8_PKS2_PKT3_PKT4_S5_PT5_21rocsparse_index_base_b
                                        ; -- End function
	.section	.AMDGPU.csdata,"",@progbits
; Kernel info:
; codeLenInByte = 580
; NumSgprs: 31
; NumVgprs: 15
; NumAgprs: 0
; TotalNumVgprs: 15
; ScratchSize: 0
; MemoryBound: 0
; FloatMode: 240
; IeeeMode: 1
; LDSByteSize: 0 bytes/workgroup (compile time only)
; SGPRBlocks: 3
; VGPRBlocks: 1
; NumSGPRsForWavesPerEU: 31
; NumVGPRsForWavesPerEU: 15
; AccumOffset: 16
; Occupancy: 8
; WaveLimiterHint : 1
; COMPUTE_PGM_RSRC2:SCRATCH_EN: 0
; COMPUTE_PGM_RSRC2:USER_SGPR: 6
; COMPUTE_PGM_RSRC2:TRAP_HANDLER: 0
; COMPUTE_PGM_RSRC2:TGID_X_EN: 1
; COMPUTE_PGM_RSRC2:TGID_Y_EN: 0
; COMPUTE_PGM_RSRC2:TGID_Z_EN: 0
; COMPUTE_PGM_RSRC2:TIDIG_COMP_CNT: 0
; COMPUTE_PGM_RSRC3_GFX90A:ACCUM_OFFSET: 3
; COMPUTE_PGM_RSRC3_GFX90A:TG_SPLIT: 0
	.section	.text._ZN9rocsparseL21csrmvn_general_kernelILj256ELj4Eii18rocsparse_bfloat16S1_ffEEvbT2_NS_24const_host_device_scalarIT6_EEPKT1_S8_PKS2_PKT3_PKT4_S5_PT5_21rocsparse_index_base_b,"axG",@progbits,_ZN9rocsparseL21csrmvn_general_kernelILj256ELj4Eii18rocsparse_bfloat16S1_ffEEvbT2_NS_24const_host_device_scalarIT6_EEPKT1_S8_PKS2_PKT3_PKT4_S5_PT5_21rocsparse_index_base_b,comdat
	.globl	_ZN9rocsparseL21csrmvn_general_kernelILj256ELj4Eii18rocsparse_bfloat16S1_ffEEvbT2_NS_24const_host_device_scalarIT6_EEPKT1_S8_PKS2_PKT3_PKT4_S5_PT5_21rocsparse_index_base_b ; -- Begin function _ZN9rocsparseL21csrmvn_general_kernelILj256ELj4Eii18rocsparse_bfloat16S1_ffEEvbT2_NS_24const_host_device_scalarIT6_EEPKT1_S8_PKS2_PKT3_PKT4_S5_PT5_21rocsparse_index_base_b
	.p2align	8
	.type	_ZN9rocsparseL21csrmvn_general_kernelILj256ELj4Eii18rocsparse_bfloat16S1_ffEEvbT2_NS_24const_host_device_scalarIT6_EEPKT1_S8_PKS2_PKT3_PKT4_S5_PT5_21rocsparse_index_base_b,@function
_ZN9rocsparseL21csrmvn_general_kernelILj256ELj4Eii18rocsparse_bfloat16S1_ffEEvbT2_NS_24const_host_device_scalarIT6_EEPKT1_S8_PKS2_PKT3_PKT4_S5_PT5_21rocsparse_index_base_b: ; @_ZN9rocsparseL21csrmvn_general_kernelILj256ELj4Eii18rocsparse_bfloat16S1_ffEEvbT2_NS_24const_host_device_scalarIT6_EEPKT1_S8_PKS2_PKT3_PKT4_S5_PT5_21rocsparse_index_base_b
; %bb.0:
	s_load_dwordx2 s[20:21], s[4:5], 0x48
	s_load_dwordx4 s[16:19], s[4:5], 0x8
	s_load_dwordx2 s[22:23], s[4:5], 0x38
	s_waitcnt lgkmcnt(0)
	s_bitcmp1_b32 s21, 0
	s_cselect_b64 s[2:3], -1, 0
	s_xor_b64 s[0:1], s[2:3], -1
	s_and_b64 vcc, exec, s[2:3]
	s_cbranch_vccnz .LBB232_2
; %bb.1:
	s_load_dword s16, s[16:17], 0x0
.LBB232_2:
	s_andn2_b64 vcc, exec, s[0:1]
	s_cbranch_vccnz .LBB232_4
; %bb.3:
	s_load_dword s22, s[22:23], 0x0
.LBB232_4:
	s_waitcnt lgkmcnt(0)
	v_cmp_neq_f32_e64 s[0:1], s16, 0
	v_cmp_neq_f32_e64 s[2:3], s22, 1.0
	s_or_b64 s[0:1], s[0:1], s[2:3]
	s_andn2_b64 vcc, exec, s[0:1]
	s_cbranch_vccnz .LBB232_16
; %bb.5:
	s_load_dword s17, s[4:5], 0x4
	v_lshl_or_b32 v1, s6, 8, v0
	v_lshrrev_b32_e32 v2, 2, v1
	s_waitcnt lgkmcnt(0)
	v_cmp_gt_i32_e32 vcc, s17, v2
	s_and_saveexec_b64 s[0:1], vcc
	s_cbranch_execz .LBB232_16
; %bb.6:
	s_load_dword s0, s[4:5], 0x50
	s_load_dwordx2 s[6:7], s[4:5], 0x40
	s_load_dwordx8 s[8:15], s[4:5], 0x18
	s_ashr_i32 s21, s20, 31
	v_and_b32_e32 v0, 3, v0
	s_waitcnt lgkmcnt(0)
	s_lshl_b32 s23, s0, 6
	s_lshl_b64 s[0:1], s[20:21], 1
	s_sub_u32 s21, s14, s0
	v_cmp_neq_f32_e64 s[2:3], s22, 0
	v_subrev_u32_e32 v6, s20, v0
	s_subb_u32 s26, s15, s1
	v_cmp_eq_u32_e64 s[0:1], 3, v0
	v_cndmask_b32_e64 v0, 0, 1, s[2:3]
	s_mov_b64 s[14:15], 0
	v_mov_b32_e32 v7, s19
	v_mov_b32_e32 v8, s9
	v_cmp_ne_u32_e64 s[2:3], 1, v0
	s_branch .LBB232_9
.LBB232_7:                              ;   in Loop: Header=BB232_9 Depth=1
	global_store_dword v[0:1], v3, off
.LBB232_8:                              ;   in Loop: Header=BB232_9 Depth=1
	s_or_b64 exec, exec, s[24:25]
	v_add_u32_e32 v2, s23, v2
	v_cmp_le_i32_e32 vcc, s17, v2
	s_or_b64 s[14:15], vcc, s[14:15]
	s_andn2_b64 exec, exec, s[14:15]
	s_cbranch_execz .LBB232_16
.LBB232_9:                              ; =>This Loop Header: Depth=1
                                        ;     Child Loop BB232_11 Depth 2
	v_ashrrev_i32_e32 v3, 31, v2
	v_lshlrev_b64 v[0:1], 2, v[2:3]
	v_add_co_u32_e32 v4, vcc, s18, v0
	v_addc_co_u32_e32 v5, vcc, v7, v1, vcc
	v_add_co_u32_e32 v10, vcc, s8, v0
	v_addc_co_u32_e32 v11, vcc, v8, v1, vcc
	global_load_dword v3, v[10:11], off
	global_load_dword v12, v[4:5], off
	s_waitcnt vmcnt(1)
	v_subrev_u32_e32 v9, s20, v3
	s_waitcnt vmcnt(0)
	v_add_u32_e32 v4, v12, v6
	v_cmp_lt_i32_e32 vcc, v4, v9
	v_mov_b32_e32 v3, 0
	s_and_saveexec_b64 s[4:5], vcc
	s_cbranch_execz .LBB232_13
; %bb.10:                               ;   in Loop: Header=BB232_9 Depth=1
	s_mov_b64 s[24:25], 0
	v_mov_b32_e32 v3, 0
.LBB232_11:                             ;   Parent Loop BB232_9 Depth=1
                                        ; =>  This Inner Loop Header: Depth=2
	v_ashrrev_i32_e32 v5, 31, v4
	v_lshlrev_b64 v[10:11], 2, v[4:5]
	v_mov_b32_e32 v12, s11
	v_add_co_u32_e32 v10, vcc, s10, v10
	v_addc_co_u32_e32 v11, vcc, v12, v11, vcc
	global_load_dword v10, v[10:11], off
	v_lshlrev_b64 v[12:13], 1, v[4:5]
	v_mov_b32_e32 v11, s13
	v_add_co_u32_e32 v12, vcc, s12, v12
	v_addc_co_u32_e32 v13, vcc, v11, v13, vcc
	v_mov_b32_e32 v14, s26
	global_load_ushort v5, v[12:13], off
	v_add_u32_e32 v4, 4, v4
	s_waitcnt vmcnt(1)
	v_ashrrev_i32_e32 v11, 31, v10
	v_lshlrev_b64 v[10:11], 1, v[10:11]
	v_add_co_u32_e32 v10, vcc, s21, v10
	v_addc_co_u32_e32 v11, vcc, v14, v11, vcc
	global_load_ushort v10, v[10:11], off
	v_cmp_ge_i32_e32 vcc, v4, v9
	s_waitcnt vmcnt(1)
	v_lshlrev_b32_e32 v5, 16, v5
	v_mul_f32_e32 v5, s16, v5
	s_or_b64 s[24:25], vcc, s[24:25]
	s_waitcnt vmcnt(0)
	v_lshlrev_b32_e32 v10, 16, v10
	v_fmac_f32_e32 v3, v5, v10
	s_andn2_b64 exec, exec, s[24:25]
	s_cbranch_execnz .LBB232_11
; %bb.12:                               ;   in Loop: Header=BB232_9 Depth=1
	s_or_b64 exec, exec, s[24:25]
.LBB232_13:                             ;   in Loop: Header=BB232_9 Depth=1
	s_or_b64 exec, exec, s[4:5]
	v_mov_b32_dpp v4, v3 row_shr:1 row_mask:0xf bank_mask:0xf
	v_add_f32_e32 v3, v3, v4
	s_nop 1
	v_mov_b32_dpp v4, v3 row_shr:2 row_mask:0xf bank_mask:0xf
	s_and_saveexec_b64 s[24:25], s[0:1]
	s_cbranch_execz .LBB232_8
; %bb.14:                               ;   in Loop: Header=BB232_9 Depth=1
	v_add_f32_e32 v3, v3, v4
	v_mov_b32_e32 v4, s7
	v_add_co_u32_e64 v0, s[4:5], s6, v0
	s_and_b64 vcc, exec, s[2:3]
	v_addc_co_u32_e64 v1, s[4:5], v4, v1, s[4:5]
	s_cbranch_vccnz .LBB232_7
; %bb.15:                               ;   in Loop: Header=BB232_9 Depth=1
	global_load_dword v4, v[0:1], off
	s_waitcnt vmcnt(0)
	v_fmac_f32_e32 v3, s22, v4
	s_branch .LBB232_7
.LBB232_16:
	s_endpgm
	.section	.rodata,"a",@progbits
	.p2align	6, 0x0
	.amdhsa_kernel _ZN9rocsparseL21csrmvn_general_kernelILj256ELj4Eii18rocsparse_bfloat16S1_ffEEvbT2_NS_24const_host_device_scalarIT6_EEPKT1_S8_PKS2_PKT3_PKT4_S5_PT5_21rocsparse_index_base_b
		.amdhsa_group_segment_fixed_size 0
		.amdhsa_private_segment_fixed_size 0
		.amdhsa_kernarg_size 336
		.amdhsa_user_sgpr_count 6
		.amdhsa_user_sgpr_private_segment_buffer 1
		.amdhsa_user_sgpr_dispatch_ptr 0
		.amdhsa_user_sgpr_queue_ptr 0
		.amdhsa_user_sgpr_kernarg_segment_ptr 1
		.amdhsa_user_sgpr_dispatch_id 0
		.amdhsa_user_sgpr_flat_scratch_init 0
		.amdhsa_user_sgpr_kernarg_preload_length 0
		.amdhsa_user_sgpr_kernarg_preload_offset 0
		.amdhsa_user_sgpr_private_segment_size 0
		.amdhsa_uses_dynamic_stack 0
		.amdhsa_system_sgpr_private_segment_wavefront_offset 0
		.amdhsa_system_sgpr_workgroup_id_x 1
		.amdhsa_system_sgpr_workgroup_id_y 0
		.amdhsa_system_sgpr_workgroup_id_z 0
		.amdhsa_system_sgpr_workgroup_info 0
		.amdhsa_system_vgpr_workitem_id 0
		.amdhsa_next_free_vgpr 15
		.amdhsa_next_free_sgpr 27
		.amdhsa_accum_offset 16
		.amdhsa_reserve_vcc 1
		.amdhsa_reserve_flat_scratch 0
		.amdhsa_float_round_mode_32 0
		.amdhsa_float_round_mode_16_64 0
		.amdhsa_float_denorm_mode_32 3
		.amdhsa_float_denorm_mode_16_64 3
		.amdhsa_dx10_clamp 1
		.amdhsa_ieee_mode 1
		.amdhsa_fp16_overflow 0
		.amdhsa_tg_split 0
		.amdhsa_exception_fp_ieee_invalid_op 0
		.amdhsa_exception_fp_denorm_src 0
		.amdhsa_exception_fp_ieee_div_zero 0
		.amdhsa_exception_fp_ieee_overflow 0
		.amdhsa_exception_fp_ieee_underflow 0
		.amdhsa_exception_fp_ieee_inexact 0
		.amdhsa_exception_int_div_zero 0
	.end_amdhsa_kernel
	.section	.text._ZN9rocsparseL21csrmvn_general_kernelILj256ELj4Eii18rocsparse_bfloat16S1_ffEEvbT2_NS_24const_host_device_scalarIT6_EEPKT1_S8_PKS2_PKT3_PKT4_S5_PT5_21rocsparse_index_base_b,"axG",@progbits,_ZN9rocsparseL21csrmvn_general_kernelILj256ELj4Eii18rocsparse_bfloat16S1_ffEEvbT2_NS_24const_host_device_scalarIT6_EEPKT1_S8_PKS2_PKT3_PKT4_S5_PT5_21rocsparse_index_base_b,comdat
.Lfunc_end232:
	.size	_ZN9rocsparseL21csrmvn_general_kernelILj256ELj4Eii18rocsparse_bfloat16S1_ffEEvbT2_NS_24const_host_device_scalarIT6_EEPKT1_S8_PKS2_PKT3_PKT4_S5_PT5_21rocsparse_index_base_b, .Lfunc_end232-_ZN9rocsparseL21csrmvn_general_kernelILj256ELj4Eii18rocsparse_bfloat16S1_ffEEvbT2_NS_24const_host_device_scalarIT6_EEPKT1_S8_PKS2_PKT3_PKT4_S5_PT5_21rocsparse_index_base_b
                                        ; -- End function
	.section	.AMDGPU.csdata,"",@progbits
; Kernel info:
; codeLenInByte = 596
; NumSgprs: 31
; NumVgprs: 15
; NumAgprs: 0
; TotalNumVgprs: 15
; ScratchSize: 0
; MemoryBound: 0
; FloatMode: 240
; IeeeMode: 1
; LDSByteSize: 0 bytes/workgroup (compile time only)
; SGPRBlocks: 3
; VGPRBlocks: 1
; NumSGPRsForWavesPerEU: 31
; NumVGPRsForWavesPerEU: 15
; AccumOffset: 16
; Occupancy: 8
; WaveLimiterHint : 1
; COMPUTE_PGM_RSRC2:SCRATCH_EN: 0
; COMPUTE_PGM_RSRC2:USER_SGPR: 6
; COMPUTE_PGM_RSRC2:TRAP_HANDLER: 0
; COMPUTE_PGM_RSRC2:TGID_X_EN: 1
; COMPUTE_PGM_RSRC2:TGID_Y_EN: 0
; COMPUTE_PGM_RSRC2:TGID_Z_EN: 0
; COMPUTE_PGM_RSRC2:TIDIG_COMP_CNT: 0
; COMPUTE_PGM_RSRC3_GFX90A:ACCUM_OFFSET: 3
; COMPUTE_PGM_RSRC3_GFX90A:TG_SPLIT: 0
	.section	.text._ZN9rocsparseL21csrmvn_general_kernelILj256ELj8Eii18rocsparse_bfloat16S1_ffEEvbT2_NS_24const_host_device_scalarIT6_EEPKT1_S8_PKS2_PKT3_PKT4_S5_PT5_21rocsparse_index_base_b,"axG",@progbits,_ZN9rocsparseL21csrmvn_general_kernelILj256ELj8Eii18rocsparse_bfloat16S1_ffEEvbT2_NS_24const_host_device_scalarIT6_EEPKT1_S8_PKS2_PKT3_PKT4_S5_PT5_21rocsparse_index_base_b,comdat
	.globl	_ZN9rocsparseL21csrmvn_general_kernelILj256ELj8Eii18rocsparse_bfloat16S1_ffEEvbT2_NS_24const_host_device_scalarIT6_EEPKT1_S8_PKS2_PKT3_PKT4_S5_PT5_21rocsparse_index_base_b ; -- Begin function _ZN9rocsparseL21csrmvn_general_kernelILj256ELj8Eii18rocsparse_bfloat16S1_ffEEvbT2_NS_24const_host_device_scalarIT6_EEPKT1_S8_PKS2_PKT3_PKT4_S5_PT5_21rocsparse_index_base_b
	.p2align	8
	.type	_ZN9rocsparseL21csrmvn_general_kernelILj256ELj8Eii18rocsparse_bfloat16S1_ffEEvbT2_NS_24const_host_device_scalarIT6_EEPKT1_S8_PKS2_PKT3_PKT4_S5_PT5_21rocsparse_index_base_b,@function
_ZN9rocsparseL21csrmvn_general_kernelILj256ELj8Eii18rocsparse_bfloat16S1_ffEEvbT2_NS_24const_host_device_scalarIT6_EEPKT1_S8_PKS2_PKT3_PKT4_S5_PT5_21rocsparse_index_base_b: ; @_ZN9rocsparseL21csrmvn_general_kernelILj256ELj8Eii18rocsparse_bfloat16S1_ffEEvbT2_NS_24const_host_device_scalarIT6_EEPKT1_S8_PKS2_PKT3_PKT4_S5_PT5_21rocsparse_index_base_b
; %bb.0:
	s_load_dwordx2 s[20:21], s[4:5], 0x48
	s_load_dwordx4 s[16:19], s[4:5], 0x8
	s_load_dwordx2 s[22:23], s[4:5], 0x38
	s_waitcnt lgkmcnt(0)
	s_bitcmp1_b32 s21, 0
	s_cselect_b64 s[2:3], -1, 0
	s_xor_b64 s[0:1], s[2:3], -1
	s_and_b64 vcc, exec, s[2:3]
	s_cbranch_vccnz .LBB233_2
; %bb.1:
	s_load_dword s16, s[16:17], 0x0
.LBB233_2:
	s_andn2_b64 vcc, exec, s[0:1]
	s_cbranch_vccnz .LBB233_4
; %bb.3:
	s_load_dword s22, s[22:23], 0x0
.LBB233_4:
	s_waitcnt lgkmcnt(0)
	v_cmp_neq_f32_e64 s[0:1], s16, 0
	v_cmp_neq_f32_e64 s[2:3], s22, 1.0
	s_or_b64 s[0:1], s[0:1], s[2:3]
	s_andn2_b64 vcc, exec, s[0:1]
	s_cbranch_vccnz .LBB233_16
; %bb.5:
	s_load_dword s17, s[4:5], 0x4
	v_lshl_or_b32 v1, s6, 8, v0
	v_lshrrev_b32_e32 v2, 3, v1
	s_waitcnt lgkmcnt(0)
	v_cmp_gt_i32_e32 vcc, s17, v2
	s_and_saveexec_b64 s[0:1], vcc
	s_cbranch_execz .LBB233_16
; %bb.6:
	s_load_dword s0, s[4:5], 0x50
	s_load_dwordx2 s[6:7], s[4:5], 0x40
	s_load_dwordx8 s[8:15], s[4:5], 0x18
	s_ashr_i32 s21, s20, 31
	v_and_b32_e32 v0, 7, v0
	s_waitcnt lgkmcnt(0)
	s_lshl_b32 s23, s0, 5
	s_lshl_b64 s[0:1], s[20:21], 1
	s_sub_u32 s21, s14, s0
	v_cmp_neq_f32_e64 s[2:3], s22, 0
	v_subrev_u32_e32 v6, s20, v0
	s_subb_u32 s26, s15, s1
	v_cmp_eq_u32_e64 s[0:1], 7, v0
	v_cndmask_b32_e64 v0, 0, 1, s[2:3]
	s_mov_b64 s[14:15], 0
	v_mov_b32_e32 v7, s19
	v_mov_b32_e32 v8, s9
	v_cmp_ne_u32_e64 s[2:3], 1, v0
	s_branch .LBB233_9
.LBB233_7:                              ;   in Loop: Header=BB233_9 Depth=1
	global_store_dword v[0:1], v3, off
.LBB233_8:                              ;   in Loop: Header=BB233_9 Depth=1
	s_or_b64 exec, exec, s[24:25]
	v_add_u32_e32 v2, s23, v2
	v_cmp_le_i32_e32 vcc, s17, v2
	s_or_b64 s[14:15], vcc, s[14:15]
	s_andn2_b64 exec, exec, s[14:15]
	s_cbranch_execz .LBB233_16
.LBB233_9:                              ; =>This Loop Header: Depth=1
                                        ;     Child Loop BB233_11 Depth 2
	v_ashrrev_i32_e32 v3, 31, v2
	v_lshlrev_b64 v[0:1], 2, v[2:3]
	v_add_co_u32_e32 v4, vcc, s18, v0
	v_addc_co_u32_e32 v5, vcc, v7, v1, vcc
	v_add_co_u32_e32 v10, vcc, s8, v0
	v_addc_co_u32_e32 v11, vcc, v8, v1, vcc
	global_load_dword v3, v[10:11], off
	global_load_dword v12, v[4:5], off
	s_waitcnt vmcnt(1)
	v_subrev_u32_e32 v9, s20, v3
	s_waitcnt vmcnt(0)
	v_add_u32_e32 v4, v12, v6
	v_cmp_lt_i32_e32 vcc, v4, v9
	v_mov_b32_e32 v3, 0
	s_and_saveexec_b64 s[4:5], vcc
	s_cbranch_execz .LBB233_13
; %bb.10:                               ;   in Loop: Header=BB233_9 Depth=1
	s_mov_b64 s[24:25], 0
	v_mov_b32_e32 v3, 0
.LBB233_11:                             ;   Parent Loop BB233_9 Depth=1
                                        ; =>  This Inner Loop Header: Depth=2
	v_ashrrev_i32_e32 v5, 31, v4
	v_lshlrev_b64 v[10:11], 2, v[4:5]
	v_mov_b32_e32 v12, s11
	v_add_co_u32_e32 v10, vcc, s10, v10
	v_addc_co_u32_e32 v11, vcc, v12, v11, vcc
	global_load_dword v10, v[10:11], off
	v_lshlrev_b64 v[12:13], 1, v[4:5]
	v_mov_b32_e32 v11, s13
	v_add_co_u32_e32 v12, vcc, s12, v12
	v_addc_co_u32_e32 v13, vcc, v11, v13, vcc
	v_mov_b32_e32 v14, s26
	global_load_ushort v5, v[12:13], off
	v_add_u32_e32 v4, 8, v4
	s_waitcnt vmcnt(1)
	v_ashrrev_i32_e32 v11, 31, v10
	v_lshlrev_b64 v[10:11], 1, v[10:11]
	v_add_co_u32_e32 v10, vcc, s21, v10
	v_addc_co_u32_e32 v11, vcc, v14, v11, vcc
	global_load_ushort v10, v[10:11], off
	v_cmp_ge_i32_e32 vcc, v4, v9
	s_waitcnt vmcnt(1)
	v_lshlrev_b32_e32 v5, 16, v5
	v_mul_f32_e32 v5, s16, v5
	s_or_b64 s[24:25], vcc, s[24:25]
	s_waitcnt vmcnt(0)
	v_lshlrev_b32_e32 v10, 16, v10
	v_fmac_f32_e32 v3, v5, v10
	s_andn2_b64 exec, exec, s[24:25]
	s_cbranch_execnz .LBB233_11
; %bb.12:                               ;   in Loop: Header=BB233_9 Depth=1
	s_or_b64 exec, exec, s[24:25]
.LBB233_13:                             ;   in Loop: Header=BB233_9 Depth=1
	s_or_b64 exec, exec, s[4:5]
	v_mov_b32_dpp v4, v3 row_shr:1 row_mask:0xf bank_mask:0xf
	v_add_f32_e32 v3, v3, v4
	s_nop 1
	v_mov_b32_dpp v4, v3 row_shr:2 row_mask:0xf bank_mask:0xf
	v_add_f32_e32 v3, v3, v4
	s_nop 1
	v_mov_b32_dpp v4, v3 row_shr:4 row_mask:0xf bank_mask:0xe
	s_and_saveexec_b64 s[24:25], s[0:1]
	s_cbranch_execz .LBB233_8
; %bb.14:                               ;   in Loop: Header=BB233_9 Depth=1
	v_add_f32_e32 v3, v3, v4
	v_mov_b32_e32 v4, s7
	v_add_co_u32_e64 v0, s[4:5], s6, v0
	s_and_b64 vcc, exec, s[2:3]
	v_addc_co_u32_e64 v1, s[4:5], v4, v1, s[4:5]
	s_cbranch_vccnz .LBB233_7
; %bb.15:                               ;   in Loop: Header=BB233_9 Depth=1
	global_load_dword v4, v[0:1], off
	s_waitcnt vmcnt(0)
	v_fmac_f32_e32 v3, s22, v4
	s_branch .LBB233_7
.LBB233_16:
	s_endpgm
	.section	.rodata,"a",@progbits
	.p2align	6, 0x0
	.amdhsa_kernel _ZN9rocsparseL21csrmvn_general_kernelILj256ELj8Eii18rocsparse_bfloat16S1_ffEEvbT2_NS_24const_host_device_scalarIT6_EEPKT1_S8_PKS2_PKT3_PKT4_S5_PT5_21rocsparse_index_base_b
		.amdhsa_group_segment_fixed_size 0
		.amdhsa_private_segment_fixed_size 0
		.amdhsa_kernarg_size 336
		.amdhsa_user_sgpr_count 6
		.amdhsa_user_sgpr_private_segment_buffer 1
		.amdhsa_user_sgpr_dispatch_ptr 0
		.amdhsa_user_sgpr_queue_ptr 0
		.amdhsa_user_sgpr_kernarg_segment_ptr 1
		.amdhsa_user_sgpr_dispatch_id 0
		.amdhsa_user_sgpr_flat_scratch_init 0
		.amdhsa_user_sgpr_kernarg_preload_length 0
		.amdhsa_user_sgpr_kernarg_preload_offset 0
		.amdhsa_user_sgpr_private_segment_size 0
		.amdhsa_uses_dynamic_stack 0
		.amdhsa_system_sgpr_private_segment_wavefront_offset 0
		.amdhsa_system_sgpr_workgroup_id_x 1
		.amdhsa_system_sgpr_workgroup_id_y 0
		.amdhsa_system_sgpr_workgroup_id_z 0
		.amdhsa_system_sgpr_workgroup_info 0
		.amdhsa_system_vgpr_workitem_id 0
		.amdhsa_next_free_vgpr 15
		.amdhsa_next_free_sgpr 27
		.amdhsa_accum_offset 16
		.amdhsa_reserve_vcc 1
		.amdhsa_reserve_flat_scratch 0
		.amdhsa_float_round_mode_32 0
		.amdhsa_float_round_mode_16_64 0
		.amdhsa_float_denorm_mode_32 3
		.amdhsa_float_denorm_mode_16_64 3
		.amdhsa_dx10_clamp 1
		.amdhsa_ieee_mode 1
		.amdhsa_fp16_overflow 0
		.amdhsa_tg_split 0
		.amdhsa_exception_fp_ieee_invalid_op 0
		.amdhsa_exception_fp_denorm_src 0
		.amdhsa_exception_fp_ieee_div_zero 0
		.amdhsa_exception_fp_ieee_overflow 0
		.amdhsa_exception_fp_ieee_underflow 0
		.amdhsa_exception_fp_ieee_inexact 0
		.amdhsa_exception_int_div_zero 0
	.end_amdhsa_kernel
	.section	.text._ZN9rocsparseL21csrmvn_general_kernelILj256ELj8Eii18rocsparse_bfloat16S1_ffEEvbT2_NS_24const_host_device_scalarIT6_EEPKT1_S8_PKS2_PKT3_PKT4_S5_PT5_21rocsparse_index_base_b,"axG",@progbits,_ZN9rocsparseL21csrmvn_general_kernelILj256ELj8Eii18rocsparse_bfloat16S1_ffEEvbT2_NS_24const_host_device_scalarIT6_EEPKT1_S8_PKS2_PKT3_PKT4_S5_PT5_21rocsparse_index_base_b,comdat
.Lfunc_end233:
	.size	_ZN9rocsparseL21csrmvn_general_kernelILj256ELj8Eii18rocsparse_bfloat16S1_ffEEvbT2_NS_24const_host_device_scalarIT6_EEPKT1_S8_PKS2_PKT3_PKT4_S5_PT5_21rocsparse_index_base_b, .Lfunc_end233-_ZN9rocsparseL21csrmvn_general_kernelILj256ELj8Eii18rocsparse_bfloat16S1_ffEEvbT2_NS_24const_host_device_scalarIT6_EEPKT1_S8_PKS2_PKT3_PKT4_S5_PT5_21rocsparse_index_base_b
                                        ; -- End function
	.section	.AMDGPU.csdata,"",@progbits
; Kernel info:
; codeLenInByte = 612
; NumSgprs: 31
; NumVgprs: 15
; NumAgprs: 0
; TotalNumVgprs: 15
; ScratchSize: 0
; MemoryBound: 0
; FloatMode: 240
; IeeeMode: 1
; LDSByteSize: 0 bytes/workgroup (compile time only)
; SGPRBlocks: 3
; VGPRBlocks: 1
; NumSGPRsForWavesPerEU: 31
; NumVGPRsForWavesPerEU: 15
; AccumOffset: 16
; Occupancy: 8
; WaveLimiterHint : 1
; COMPUTE_PGM_RSRC2:SCRATCH_EN: 0
; COMPUTE_PGM_RSRC2:USER_SGPR: 6
; COMPUTE_PGM_RSRC2:TRAP_HANDLER: 0
; COMPUTE_PGM_RSRC2:TGID_X_EN: 1
; COMPUTE_PGM_RSRC2:TGID_Y_EN: 0
; COMPUTE_PGM_RSRC2:TGID_Z_EN: 0
; COMPUTE_PGM_RSRC2:TIDIG_COMP_CNT: 0
; COMPUTE_PGM_RSRC3_GFX90A:ACCUM_OFFSET: 3
; COMPUTE_PGM_RSRC3_GFX90A:TG_SPLIT: 0
	.section	.text._ZN9rocsparseL21csrmvn_general_kernelILj256ELj16Eii18rocsparse_bfloat16S1_ffEEvbT2_NS_24const_host_device_scalarIT6_EEPKT1_S8_PKS2_PKT3_PKT4_S5_PT5_21rocsparse_index_base_b,"axG",@progbits,_ZN9rocsparseL21csrmvn_general_kernelILj256ELj16Eii18rocsparse_bfloat16S1_ffEEvbT2_NS_24const_host_device_scalarIT6_EEPKT1_S8_PKS2_PKT3_PKT4_S5_PT5_21rocsparse_index_base_b,comdat
	.globl	_ZN9rocsparseL21csrmvn_general_kernelILj256ELj16Eii18rocsparse_bfloat16S1_ffEEvbT2_NS_24const_host_device_scalarIT6_EEPKT1_S8_PKS2_PKT3_PKT4_S5_PT5_21rocsparse_index_base_b ; -- Begin function _ZN9rocsparseL21csrmvn_general_kernelILj256ELj16Eii18rocsparse_bfloat16S1_ffEEvbT2_NS_24const_host_device_scalarIT6_EEPKT1_S8_PKS2_PKT3_PKT4_S5_PT5_21rocsparse_index_base_b
	.p2align	8
	.type	_ZN9rocsparseL21csrmvn_general_kernelILj256ELj16Eii18rocsparse_bfloat16S1_ffEEvbT2_NS_24const_host_device_scalarIT6_EEPKT1_S8_PKS2_PKT3_PKT4_S5_PT5_21rocsparse_index_base_b,@function
_ZN9rocsparseL21csrmvn_general_kernelILj256ELj16Eii18rocsparse_bfloat16S1_ffEEvbT2_NS_24const_host_device_scalarIT6_EEPKT1_S8_PKS2_PKT3_PKT4_S5_PT5_21rocsparse_index_base_b: ; @_ZN9rocsparseL21csrmvn_general_kernelILj256ELj16Eii18rocsparse_bfloat16S1_ffEEvbT2_NS_24const_host_device_scalarIT6_EEPKT1_S8_PKS2_PKT3_PKT4_S5_PT5_21rocsparse_index_base_b
; %bb.0:
	s_load_dwordx2 s[20:21], s[4:5], 0x48
	s_load_dwordx4 s[16:19], s[4:5], 0x8
	s_load_dwordx2 s[22:23], s[4:5], 0x38
	s_waitcnt lgkmcnt(0)
	s_bitcmp1_b32 s21, 0
	s_cselect_b64 s[2:3], -1, 0
	s_xor_b64 s[0:1], s[2:3], -1
	s_and_b64 vcc, exec, s[2:3]
	s_cbranch_vccnz .LBB234_2
; %bb.1:
	s_load_dword s16, s[16:17], 0x0
.LBB234_2:
	s_andn2_b64 vcc, exec, s[0:1]
	s_cbranch_vccnz .LBB234_4
; %bb.3:
	s_load_dword s22, s[22:23], 0x0
.LBB234_4:
	s_waitcnt lgkmcnt(0)
	v_cmp_neq_f32_e64 s[0:1], s16, 0
	v_cmp_neq_f32_e64 s[2:3], s22, 1.0
	s_or_b64 s[0:1], s[0:1], s[2:3]
	s_andn2_b64 vcc, exec, s[0:1]
	s_cbranch_vccnz .LBB234_16
; %bb.5:
	s_load_dword s17, s[4:5], 0x4
	v_lshl_or_b32 v1, s6, 8, v0
	v_lshrrev_b32_e32 v2, 4, v1
	s_waitcnt lgkmcnt(0)
	v_cmp_gt_i32_e32 vcc, s17, v2
	s_and_saveexec_b64 s[0:1], vcc
	s_cbranch_execz .LBB234_16
; %bb.6:
	s_load_dword s0, s[4:5], 0x50
	s_load_dwordx2 s[6:7], s[4:5], 0x40
	s_load_dwordx8 s[8:15], s[4:5], 0x18
	s_ashr_i32 s21, s20, 31
	v_and_b32_e32 v0, 15, v0
	s_waitcnt lgkmcnt(0)
	s_lshl_b32 s23, s0, 4
	s_lshl_b64 s[0:1], s[20:21], 1
	s_sub_u32 s21, s14, s0
	v_cmp_neq_f32_e64 s[2:3], s22, 0
	v_subrev_u32_e32 v6, s20, v0
	s_subb_u32 s26, s15, s1
	v_cmp_eq_u32_e64 s[0:1], 15, v0
	v_cndmask_b32_e64 v0, 0, 1, s[2:3]
	s_mov_b64 s[14:15], 0
	v_mov_b32_e32 v7, s19
	v_mov_b32_e32 v8, s9
	v_cmp_ne_u32_e64 s[2:3], 1, v0
	s_branch .LBB234_9
.LBB234_7:                              ;   in Loop: Header=BB234_9 Depth=1
	global_store_dword v[0:1], v3, off
.LBB234_8:                              ;   in Loop: Header=BB234_9 Depth=1
	s_or_b64 exec, exec, s[24:25]
	v_add_u32_e32 v2, s23, v2
	v_cmp_le_i32_e32 vcc, s17, v2
	s_or_b64 s[14:15], vcc, s[14:15]
	s_andn2_b64 exec, exec, s[14:15]
	s_cbranch_execz .LBB234_16
.LBB234_9:                              ; =>This Loop Header: Depth=1
                                        ;     Child Loop BB234_11 Depth 2
	v_ashrrev_i32_e32 v3, 31, v2
	v_lshlrev_b64 v[0:1], 2, v[2:3]
	v_add_co_u32_e32 v4, vcc, s18, v0
	v_addc_co_u32_e32 v5, vcc, v7, v1, vcc
	v_add_co_u32_e32 v10, vcc, s8, v0
	v_addc_co_u32_e32 v11, vcc, v8, v1, vcc
	global_load_dword v3, v[10:11], off
	global_load_dword v12, v[4:5], off
	s_waitcnt vmcnt(1)
	v_subrev_u32_e32 v9, s20, v3
	s_waitcnt vmcnt(0)
	v_add_u32_e32 v4, v12, v6
	v_cmp_lt_i32_e32 vcc, v4, v9
	v_mov_b32_e32 v3, 0
	s_and_saveexec_b64 s[4:5], vcc
	s_cbranch_execz .LBB234_13
; %bb.10:                               ;   in Loop: Header=BB234_9 Depth=1
	s_mov_b64 s[24:25], 0
	v_mov_b32_e32 v3, 0
.LBB234_11:                             ;   Parent Loop BB234_9 Depth=1
                                        ; =>  This Inner Loop Header: Depth=2
	v_ashrrev_i32_e32 v5, 31, v4
	v_lshlrev_b64 v[10:11], 2, v[4:5]
	v_mov_b32_e32 v12, s11
	v_add_co_u32_e32 v10, vcc, s10, v10
	v_addc_co_u32_e32 v11, vcc, v12, v11, vcc
	global_load_dword v10, v[10:11], off
	v_lshlrev_b64 v[12:13], 1, v[4:5]
	v_mov_b32_e32 v11, s13
	v_add_co_u32_e32 v12, vcc, s12, v12
	v_addc_co_u32_e32 v13, vcc, v11, v13, vcc
	v_mov_b32_e32 v14, s26
	global_load_ushort v5, v[12:13], off
	v_add_u32_e32 v4, 16, v4
	s_waitcnt vmcnt(1)
	v_ashrrev_i32_e32 v11, 31, v10
	v_lshlrev_b64 v[10:11], 1, v[10:11]
	v_add_co_u32_e32 v10, vcc, s21, v10
	v_addc_co_u32_e32 v11, vcc, v14, v11, vcc
	global_load_ushort v10, v[10:11], off
	v_cmp_ge_i32_e32 vcc, v4, v9
	s_waitcnt vmcnt(1)
	v_lshlrev_b32_e32 v5, 16, v5
	v_mul_f32_e32 v5, s16, v5
	s_or_b64 s[24:25], vcc, s[24:25]
	s_waitcnt vmcnt(0)
	v_lshlrev_b32_e32 v10, 16, v10
	v_fmac_f32_e32 v3, v5, v10
	s_andn2_b64 exec, exec, s[24:25]
	s_cbranch_execnz .LBB234_11
; %bb.12:                               ;   in Loop: Header=BB234_9 Depth=1
	s_or_b64 exec, exec, s[24:25]
.LBB234_13:                             ;   in Loop: Header=BB234_9 Depth=1
	s_or_b64 exec, exec, s[4:5]
	v_mov_b32_dpp v4, v3 row_shr:1 row_mask:0xf bank_mask:0xf
	v_add_f32_e32 v3, v3, v4
	s_nop 1
	v_mov_b32_dpp v4, v3 row_shr:2 row_mask:0xf bank_mask:0xf
	v_add_f32_e32 v3, v3, v4
	s_nop 1
	;; [unrolled: 3-line block ×3, first 2 shown]
	v_mov_b32_dpp v4, v3 row_shr:8 row_mask:0xf bank_mask:0xc
	s_and_saveexec_b64 s[24:25], s[0:1]
	s_cbranch_execz .LBB234_8
; %bb.14:                               ;   in Loop: Header=BB234_9 Depth=1
	v_add_f32_e32 v3, v3, v4
	v_mov_b32_e32 v4, s7
	v_add_co_u32_e64 v0, s[4:5], s6, v0
	s_and_b64 vcc, exec, s[2:3]
	v_addc_co_u32_e64 v1, s[4:5], v4, v1, s[4:5]
	s_cbranch_vccnz .LBB234_7
; %bb.15:                               ;   in Loop: Header=BB234_9 Depth=1
	global_load_dword v4, v[0:1], off
	s_waitcnt vmcnt(0)
	v_fmac_f32_e32 v3, s22, v4
	s_branch .LBB234_7
.LBB234_16:
	s_endpgm
	.section	.rodata,"a",@progbits
	.p2align	6, 0x0
	.amdhsa_kernel _ZN9rocsparseL21csrmvn_general_kernelILj256ELj16Eii18rocsparse_bfloat16S1_ffEEvbT2_NS_24const_host_device_scalarIT6_EEPKT1_S8_PKS2_PKT3_PKT4_S5_PT5_21rocsparse_index_base_b
		.amdhsa_group_segment_fixed_size 0
		.amdhsa_private_segment_fixed_size 0
		.amdhsa_kernarg_size 336
		.amdhsa_user_sgpr_count 6
		.amdhsa_user_sgpr_private_segment_buffer 1
		.amdhsa_user_sgpr_dispatch_ptr 0
		.amdhsa_user_sgpr_queue_ptr 0
		.amdhsa_user_sgpr_kernarg_segment_ptr 1
		.amdhsa_user_sgpr_dispatch_id 0
		.amdhsa_user_sgpr_flat_scratch_init 0
		.amdhsa_user_sgpr_kernarg_preload_length 0
		.amdhsa_user_sgpr_kernarg_preload_offset 0
		.amdhsa_user_sgpr_private_segment_size 0
		.amdhsa_uses_dynamic_stack 0
		.amdhsa_system_sgpr_private_segment_wavefront_offset 0
		.amdhsa_system_sgpr_workgroup_id_x 1
		.amdhsa_system_sgpr_workgroup_id_y 0
		.amdhsa_system_sgpr_workgroup_id_z 0
		.amdhsa_system_sgpr_workgroup_info 0
		.amdhsa_system_vgpr_workitem_id 0
		.amdhsa_next_free_vgpr 15
		.amdhsa_next_free_sgpr 27
		.amdhsa_accum_offset 16
		.amdhsa_reserve_vcc 1
		.amdhsa_reserve_flat_scratch 0
		.amdhsa_float_round_mode_32 0
		.amdhsa_float_round_mode_16_64 0
		.amdhsa_float_denorm_mode_32 3
		.amdhsa_float_denorm_mode_16_64 3
		.amdhsa_dx10_clamp 1
		.amdhsa_ieee_mode 1
		.amdhsa_fp16_overflow 0
		.amdhsa_tg_split 0
		.amdhsa_exception_fp_ieee_invalid_op 0
		.amdhsa_exception_fp_denorm_src 0
		.amdhsa_exception_fp_ieee_div_zero 0
		.amdhsa_exception_fp_ieee_overflow 0
		.amdhsa_exception_fp_ieee_underflow 0
		.amdhsa_exception_fp_ieee_inexact 0
		.amdhsa_exception_int_div_zero 0
	.end_amdhsa_kernel
	.section	.text._ZN9rocsparseL21csrmvn_general_kernelILj256ELj16Eii18rocsparse_bfloat16S1_ffEEvbT2_NS_24const_host_device_scalarIT6_EEPKT1_S8_PKS2_PKT3_PKT4_S5_PT5_21rocsparse_index_base_b,"axG",@progbits,_ZN9rocsparseL21csrmvn_general_kernelILj256ELj16Eii18rocsparse_bfloat16S1_ffEEvbT2_NS_24const_host_device_scalarIT6_EEPKT1_S8_PKS2_PKT3_PKT4_S5_PT5_21rocsparse_index_base_b,comdat
.Lfunc_end234:
	.size	_ZN9rocsparseL21csrmvn_general_kernelILj256ELj16Eii18rocsparse_bfloat16S1_ffEEvbT2_NS_24const_host_device_scalarIT6_EEPKT1_S8_PKS2_PKT3_PKT4_S5_PT5_21rocsparse_index_base_b, .Lfunc_end234-_ZN9rocsparseL21csrmvn_general_kernelILj256ELj16Eii18rocsparse_bfloat16S1_ffEEvbT2_NS_24const_host_device_scalarIT6_EEPKT1_S8_PKS2_PKT3_PKT4_S5_PT5_21rocsparse_index_base_b
                                        ; -- End function
	.section	.AMDGPU.csdata,"",@progbits
; Kernel info:
; codeLenInByte = 628
; NumSgprs: 31
; NumVgprs: 15
; NumAgprs: 0
; TotalNumVgprs: 15
; ScratchSize: 0
; MemoryBound: 0
; FloatMode: 240
; IeeeMode: 1
; LDSByteSize: 0 bytes/workgroup (compile time only)
; SGPRBlocks: 3
; VGPRBlocks: 1
; NumSGPRsForWavesPerEU: 31
; NumVGPRsForWavesPerEU: 15
; AccumOffset: 16
; Occupancy: 8
; WaveLimiterHint : 1
; COMPUTE_PGM_RSRC2:SCRATCH_EN: 0
; COMPUTE_PGM_RSRC2:USER_SGPR: 6
; COMPUTE_PGM_RSRC2:TRAP_HANDLER: 0
; COMPUTE_PGM_RSRC2:TGID_X_EN: 1
; COMPUTE_PGM_RSRC2:TGID_Y_EN: 0
; COMPUTE_PGM_RSRC2:TGID_Z_EN: 0
; COMPUTE_PGM_RSRC2:TIDIG_COMP_CNT: 0
; COMPUTE_PGM_RSRC3_GFX90A:ACCUM_OFFSET: 3
; COMPUTE_PGM_RSRC3_GFX90A:TG_SPLIT: 0
	.section	.text._ZN9rocsparseL21csrmvn_general_kernelILj256ELj32Eii18rocsparse_bfloat16S1_ffEEvbT2_NS_24const_host_device_scalarIT6_EEPKT1_S8_PKS2_PKT3_PKT4_S5_PT5_21rocsparse_index_base_b,"axG",@progbits,_ZN9rocsparseL21csrmvn_general_kernelILj256ELj32Eii18rocsparse_bfloat16S1_ffEEvbT2_NS_24const_host_device_scalarIT6_EEPKT1_S8_PKS2_PKT3_PKT4_S5_PT5_21rocsparse_index_base_b,comdat
	.globl	_ZN9rocsparseL21csrmvn_general_kernelILj256ELj32Eii18rocsparse_bfloat16S1_ffEEvbT2_NS_24const_host_device_scalarIT6_EEPKT1_S8_PKS2_PKT3_PKT4_S5_PT5_21rocsparse_index_base_b ; -- Begin function _ZN9rocsparseL21csrmvn_general_kernelILj256ELj32Eii18rocsparse_bfloat16S1_ffEEvbT2_NS_24const_host_device_scalarIT6_EEPKT1_S8_PKS2_PKT3_PKT4_S5_PT5_21rocsparse_index_base_b
	.p2align	8
	.type	_ZN9rocsparseL21csrmvn_general_kernelILj256ELj32Eii18rocsparse_bfloat16S1_ffEEvbT2_NS_24const_host_device_scalarIT6_EEPKT1_S8_PKS2_PKT3_PKT4_S5_PT5_21rocsparse_index_base_b,@function
_ZN9rocsparseL21csrmvn_general_kernelILj256ELj32Eii18rocsparse_bfloat16S1_ffEEvbT2_NS_24const_host_device_scalarIT6_EEPKT1_S8_PKS2_PKT3_PKT4_S5_PT5_21rocsparse_index_base_b: ; @_ZN9rocsparseL21csrmvn_general_kernelILj256ELj32Eii18rocsparse_bfloat16S1_ffEEvbT2_NS_24const_host_device_scalarIT6_EEPKT1_S8_PKS2_PKT3_PKT4_S5_PT5_21rocsparse_index_base_b
; %bb.0:
	s_load_dwordx2 s[20:21], s[4:5], 0x48
	s_load_dwordx4 s[16:19], s[4:5], 0x8
	s_load_dwordx2 s[22:23], s[4:5], 0x38
	s_waitcnt lgkmcnt(0)
	s_bitcmp1_b32 s21, 0
	s_cselect_b64 s[2:3], -1, 0
	s_xor_b64 s[0:1], s[2:3], -1
	s_and_b64 vcc, exec, s[2:3]
	s_cbranch_vccnz .LBB235_2
; %bb.1:
	s_load_dword s16, s[16:17], 0x0
.LBB235_2:
	s_andn2_b64 vcc, exec, s[0:1]
	s_cbranch_vccnz .LBB235_4
; %bb.3:
	s_load_dword s22, s[22:23], 0x0
.LBB235_4:
	s_waitcnt lgkmcnt(0)
	v_cmp_neq_f32_e64 s[0:1], s16, 0
	v_cmp_neq_f32_e64 s[2:3], s22, 1.0
	s_or_b64 s[0:1], s[0:1], s[2:3]
	s_andn2_b64 vcc, exec, s[0:1]
	s_cbranch_vccnz .LBB235_16
; %bb.5:
	s_load_dword s17, s[4:5], 0x4
	v_lshl_or_b32 v1, s6, 8, v0
	v_lshrrev_b32_e32 v2, 5, v1
	s_waitcnt lgkmcnt(0)
	v_cmp_gt_i32_e32 vcc, s17, v2
	s_and_saveexec_b64 s[0:1], vcc
	s_cbranch_execz .LBB235_16
; %bb.6:
	s_load_dword s0, s[4:5], 0x50
	s_load_dwordx2 s[6:7], s[4:5], 0x40
	s_load_dwordx8 s[8:15], s[4:5], 0x18
	s_ashr_i32 s21, s20, 31
	v_and_b32_e32 v0, 31, v0
	s_waitcnt lgkmcnt(0)
	s_lshl_b32 s23, s0, 3
	s_lshl_b64 s[0:1], s[20:21], 1
	s_sub_u32 s21, s14, s0
	v_cmp_neq_f32_e64 s[2:3], s22, 0
	v_subrev_u32_e32 v6, s20, v0
	s_subb_u32 s26, s15, s1
	v_cmp_eq_u32_e64 s[0:1], 31, v0
	v_cndmask_b32_e64 v0, 0, 1, s[2:3]
	s_mov_b64 s[14:15], 0
	v_mov_b32_e32 v7, s19
	v_mov_b32_e32 v8, s9
	v_cmp_ne_u32_e64 s[2:3], 1, v0
	s_branch .LBB235_9
.LBB235_7:                              ;   in Loop: Header=BB235_9 Depth=1
	global_store_dword v[0:1], v3, off
.LBB235_8:                              ;   in Loop: Header=BB235_9 Depth=1
	s_or_b64 exec, exec, s[24:25]
	v_add_u32_e32 v2, s23, v2
	v_cmp_le_i32_e32 vcc, s17, v2
	s_or_b64 s[14:15], vcc, s[14:15]
	s_andn2_b64 exec, exec, s[14:15]
	s_cbranch_execz .LBB235_16
.LBB235_9:                              ; =>This Loop Header: Depth=1
                                        ;     Child Loop BB235_11 Depth 2
	v_ashrrev_i32_e32 v3, 31, v2
	v_lshlrev_b64 v[0:1], 2, v[2:3]
	v_add_co_u32_e32 v4, vcc, s18, v0
	v_addc_co_u32_e32 v5, vcc, v7, v1, vcc
	v_add_co_u32_e32 v10, vcc, s8, v0
	v_addc_co_u32_e32 v11, vcc, v8, v1, vcc
	global_load_dword v3, v[10:11], off
	global_load_dword v12, v[4:5], off
	s_waitcnt vmcnt(1)
	v_subrev_u32_e32 v9, s20, v3
	s_waitcnt vmcnt(0)
	v_add_u32_e32 v4, v12, v6
	v_cmp_lt_i32_e32 vcc, v4, v9
	v_mov_b32_e32 v3, 0
	s_and_saveexec_b64 s[4:5], vcc
	s_cbranch_execz .LBB235_13
; %bb.10:                               ;   in Loop: Header=BB235_9 Depth=1
	s_mov_b64 s[24:25], 0
	v_mov_b32_e32 v3, 0
.LBB235_11:                             ;   Parent Loop BB235_9 Depth=1
                                        ; =>  This Inner Loop Header: Depth=2
	v_ashrrev_i32_e32 v5, 31, v4
	v_lshlrev_b64 v[10:11], 2, v[4:5]
	v_mov_b32_e32 v12, s11
	v_add_co_u32_e32 v10, vcc, s10, v10
	v_addc_co_u32_e32 v11, vcc, v12, v11, vcc
	global_load_dword v10, v[10:11], off
	v_lshlrev_b64 v[12:13], 1, v[4:5]
	v_mov_b32_e32 v11, s13
	v_add_co_u32_e32 v12, vcc, s12, v12
	v_addc_co_u32_e32 v13, vcc, v11, v13, vcc
	v_mov_b32_e32 v14, s26
	global_load_ushort v5, v[12:13], off
	v_add_u32_e32 v4, 32, v4
	s_waitcnt vmcnt(1)
	v_ashrrev_i32_e32 v11, 31, v10
	v_lshlrev_b64 v[10:11], 1, v[10:11]
	v_add_co_u32_e32 v10, vcc, s21, v10
	v_addc_co_u32_e32 v11, vcc, v14, v11, vcc
	global_load_ushort v10, v[10:11], off
	v_cmp_ge_i32_e32 vcc, v4, v9
	s_waitcnt vmcnt(1)
	v_lshlrev_b32_e32 v5, 16, v5
	v_mul_f32_e32 v5, s16, v5
	s_or_b64 s[24:25], vcc, s[24:25]
	s_waitcnt vmcnt(0)
	v_lshlrev_b32_e32 v10, 16, v10
	v_fmac_f32_e32 v3, v5, v10
	s_andn2_b64 exec, exec, s[24:25]
	s_cbranch_execnz .LBB235_11
; %bb.12:                               ;   in Loop: Header=BB235_9 Depth=1
	s_or_b64 exec, exec, s[24:25]
.LBB235_13:                             ;   in Loop: Header=BB235_9 Depth=1
	s_or_b64 exec, exec, s[4:5]
	v_mov_b32_dpp v4, v3 row_shr:1 row_mask:0xf bank_mask:0xf
	v_add_f32_e32 v3, v3, v4
	s_nop 1
	v_mov_b32_dpp v4, v3 row_shr:2 row_mask:0xf bank_mask:0xf
	v_add_f32_e32 v3, v3, v4
	s_nop 1
	v_mov_b32_dpp v4, v3 row_shr:4 row_mask:0xf bank_mask:0xe
	v_add_f32_e32 v3, v3, v4
	s_nop 1
	v_mov_b32_dpp v4, v3 row_shr:8 row_mask:0xf bank_mask:0xc
	v_add_f32_e32 v3, v3, v4
	s_nop 1
	v_mov_b32_dpp v4, v3 row_bcast:15 row_mask:0xa bank_mask:0xf
	s_and_saveexec_b64 s[24:25], s[0:1]
	s_cbranch_execz .LBB235_8
; %bb.14:                               ;   in Loop: Header=BB235_9 Depth=1
	v_add_f32_e32 v3, v3, v4
	v_mov_b32_e32 v4, s7
	v_add_co_u32_e64 v0, s[4:5], s6, v0
	s_and_b64 vcc, exec, s[2:3]
	v_addc_co_u32_e64 v1, s[4:5], v4, v1, s[4:5]
	s_cbranch_vccnz .LBB235_7
; %bb.15:                               ;   in Loop: Header=BB235_9 Depth=1
	global_load_dword v4, v[0:1], off
	s_waitcnt vmcnt(0)
	v_fmac_f32_e32 v3, s22, v4
	s_branch .LBB235_7
.LBB235_16:
	s_endpgm
	.section	.rodata,"a",@progbits
	.p2align	6, 0x0
	.amdhsa_kernel _ZN9rocsparseL21csrmvn_general_kernelILj256ELj32Eii18rocsparse_bfloat16S1_ffEEvbT2_NS_24const_host_device_scalarIT6_EEPKT1_S8_PKS2_PKT3_PKT4_S5_PT5_21rocsparse_index_base_b
		.amdhsa_group_segment_fixed_size 0
		.amdhsa_private_segment_fixed_size 0
		.amdhsa_kernarg_size 336
		.amdhsa_user_sgpr_count 6
		.amdhsa_user_sgpr_private_segment_buffer 1
		.amdhsa_user_sgpr_dispatch_ptr 0
		.amdhsa_user_sgpr_queue_ptr 0
		.amdhsa_user_sgpr_kernarg_segment_ptr 1
		.amdhsa_user_sgpr_dispatch_id 0
		.amdhsa_user_sgpr_flat_scratch_init 0
		.amdhsa_user_sgpr_kernarg_preload_length 0
		.amdhsa_user_sgpr_kernarg_preload_offset 0
		.amdhsa_user_sgpr_private_segment_size 0
		.amdhsa_uses_dynamic_stack 0
		.amdhsa_system_sgpr_private_segment_wavefront_offset 0
		.amdhsa_system_sgpr_workgroup_id_x 1
		.amdhsa_system_sgpr_workgroup_id_y 0
		.amdhsa_system_sgpr_workgroup_id_z 0
		.amdhsa_system_sgpr_workgroup_info 0
		.amdhsa_system_vgpr_workitem_id 0
		.amdhsa_next_free_vgpr 15
		.amdhsa_next_free_sgpr 27
		.amdhsa_accum_offset 16
		.amdhsa_reserve_vcc 1
		.amdhsa_reserve_flat_scratch 0
		.amdhsa_float_round_mode_32 0
		.amdhsa_float_round_mode_16_64 0
		.amdhsa_float_denorm_mode_32 3
		.amdhsa_float_denorm_mode_16_64 3
		.amdhsa_dx10_clamp 1
		.amdhsa_ieee_mode 1
		.amdhsa_fp16_overflow 0
		.amdhsa_tg_split 0
		.amdhsa_exception_fp_ieee_invalid_op 0
		.amdhsa_exception_fp_denorm_src 0
		.amdhsa_exception_fp_ieee_div_zero 0
		.amdhsa_exception_fp_ieee_overflow 0
		.amdhsa_exception_fp_ieee_underflow 0
		.amdhsa_exception_fp_ieee_inexact 0
		.amdhsa_exception_int_div_zero 0
	.end_amdhsa_kernel
	.section	.text._ZN9rocsparseL21csrmvn_general_kernelILj256ELj32Eii18rocsparse_bfloat16S1_ffEEvbT2_NS_24const_host_device_scalarIT6_EEPKT1_S8_PKS2_PKT3_PKT4_S5_PT5_21rocsparse_index_base_b,"axG",@progbits,_ZN9rocsparseL21csrmvn_general_kernelILj256ELj32Eii18rocsparse_bfloat16S1_ffEEvbT2_NS_24const_host_device_scalarIT6_EEPKT1_S8_PKS2_PKT3_PKT4_S5_PT5_21rocsparse_index_base_b,comdat
.Lfunc_end235:
	.size	_ZN9rocsparseL21csrmvn_general_kernelILj256ELj32Eii18rocsparse_bfloat16S1_ffEEvbT2_NS_24const_host_device_scalarIT6_EEPKT1_S8_PKS2_PKT3_PKT4_S5_PT5_21rocsparse_index_base_b, .Lfunc_end235-_ZN9rocsparseL21csrmvn_general_kernelILj256ELj32Eii18rocsparse_bfloat16S1_ffEEvbT2_NS_24const_host_device_scalarIT6_EEPKT1_S8_PKS2_PKT3_PKT4_S5_PT5_21rocsparse_index_base_b
                                        ; -- End function
	.section	.AMDGPU.csdata,"",@progbits
; Kernel info:
; codeLenInByte = 644
; NumSgprs: 31
; NumVgprs: 15
; NumAgprs: 0
; TotalNumVgprs: 15
; ScratchSize: 0
; MemoryBound: 0
; FloatMode: 240
; IeeeMode: 1
; LDSByteSize: 0 bytes/workgroup (compile time only)
; SGPRBlocks: 3
; VGPRBlocks: 1
; NumSGPRsForWavesPerEU: 31
; NumVGPRsForWavesPerEU: 15
; AccumOffset: 16
; Occupancy: 8
; WaveLimiterHint : 1
; COMPUTE_PGM_RSRC2:SCRATCH_EN: 0
; COMPUTE_PGM_RSRC2:USER_SGPR: 6
; COMPUTE_PGM_RSRC2:TRAP_HANDLER: 0
; COMPUTE_PGM_RSRC2:TGID_X_EN: 1
; COMPUTE_PGM_RSRC2:TGID_Y_EN: 0
; COMPUTE_PGM_RSRC2:TGID_Z_EN: 0
; COMPUTE_PGM_RSRC2:TIDIG_COMP_CNT: 0
; COMPUTE_PGM_RSRC3_GFX90A:ACCUM_OFFSET: 3
; COMPUTE_PGM_RSRC3_GFX90A:TG_SPLIT: 0
	.section	.text._ZN9rocsparseL21csrmvn_general_kernelILj256ELj64Eii18rocsparse_bfloat16S1_ffEEvbT2_NS_24const_host_device_scalarIT6_EEPKT1_S8_PKS2_PKT3_PKT4_S5_PT5_21rocsparse_index_base_b,"axG",@progbits,_ZN9rocsparseL21csrmvn_general_kernelILj256ELj64Eii18rocsparse_bfloat16S1_ffEEvbT2_NS_24const_host_device_scalarIT6_EEPKT1_S8_PKS2_PKT3_PKT4_S5_PT5_21rocsparse_index_base_b,comdat
	.globl	_ZN9rocsparseL21csrmvn_general_kernelILj256ELj64Eii18rocsparse_bfloat16S1_ffEEvbT2_NS_24const_host_device_scalarIT6_EEPKT1_S8_PKS2_PKT3_PKT4_S5_PT5_21rocsparse_index_base_b ; -- Begin function _ZN9rocsparseL21csrmvn_general_kernelILj256ELj64Eii18rocsparse_bfloat16S1_ffEEvbT2_NS_24const_host_device_scalarIT6_EEPKT1_S8_PKS2_PKT3_PKT4_S5_PT5_21rocsparse_index_base_b
	.p2align	8
	.type	_ZN9rocsparseL21csrmvn_general_kernelILj256ELj64Eii18rocsparse_bfloat16S1_ffEEvbT2_NS_24const_host_device_scalarIT6_EEPKT1_S8_PKS2_PKT3_PKT4_S5_PT5_21rocsparse_index_base_b,@function
_ZN9rocsparseL21csrmvn_general_kernelILj256ELj64Eii18rocsparse_bfloat16S1_ffEEvbT2_NS_24const_host_device_scalarIT6_EEPKT1_S8_PKS2_PKT3_PKT4_S5_PT5_21rocsparse_index_base_b: ; @_ZN9rocsparseL21csrmvn_general_kernelILj256ELj64Eii18rocsparse_bfloat16S1_ffEEvbT2_NS_24const_host_device_scalarIT6_EEPKT1_S8_PKS2_PKT3_PKT4_S5_PT5_21rocsparse_index_base_b
; %bb.0:
	s_load_dwordx2 s[20:21], s[4:5], 0x48
	s_load_dwordx4 s[16:19], s[4:5], 0x8
	s_load_dwordx2 s[22:23], s[4:5], 0x38
	s_waitcnt lgkmcnt(0)
	s_bitcmp1_b32 s21, 0
	s_cselect_b64 s[2:3], -1, 0
	s_xor_b64 s[0:1], s[2:3], -1
	s_and_b64 vcc, exec, s[2:3]
	s_cbranch_vccnz .LBB236_2
; %bb.1:
	s_load_dword s16, s[16:17], 0x0
.LBB236_2:
	s_andn2_b64 vcc, exec, s[0:1]
	s_cbranch_vccnz .LBB236_4
; %bb.3:
	s_load_dword s22, s[22:23], 0x0
.LBB236_4:
	s_waitcnt lgkmcnt(0)
	v_cmp_neq_f32_e64 s[0:1], s16, 0
	v_cmp_neq_f32_e64 s[2:3], s22, 1.0
	s_or_b64 s[0:1], s[0:1], s[2:3]
	s_andn2_b64 vcc, exec, s[0:1]
	s_cbranch_vccnz .LBB236_16
; %bb.5:
	s_load_dword s17, s[4:5], 0x4
	v_lshl_or_b32 v1, s6, 8, v0
	v_lshrrev_b32_e32 v2, 6, v1
	s_waitcnt lgkmcnt(0)
	v_cmp_gt_i32_e32 vcc, s17, v2
	s_and_saveexec_b64 s[0:1], vcc
	s_cbranch_execz .LBB236_16
; %bb.6:
	s_load_dword s0, s[4:5], 0x50
	s_load_dwordx2 s[6:7], s[4:5], 0x40
	s_load_dwordx8 s[8:15], s[4:5], 0x18
	s_ashr_i32 s21, s20, 31
	v_and_b32_e32 v0, 63, v0
	s_waitcnt lgkmcnt(0)
	s_lshl_b32 s23, s0, 2
	s_lshl_b64 s[0:1], s[20:21], 1
	s_sub_u32 s21, s14, s0
	v_cmp_neq_f32_e64 s[2:3], s22, 0
	v_subrev_u32_e32 v6, s20, v0
	s_subb_u32 s26, s15, s1
	v_cmp_eq_u32_e64 s[0:1], 63, v0
	v_cndmask_b32_e64 v0, 0, 1, s[2:3]
	s_mov_b64 s[14:15], 0
	v_mov_b32_e32 v7, s19
	v_mov_b32_e32 v8, s9
	v_cmp_ne_u32_e64 s[2:3], 1, v0
	s_branch .LBB236_9
.LBB236_7:                              ;   in Loop: Header=BB236_9 Depth=1
	global_store_dword v[0:1], v3, off
.LBB236_8:                              ;   in Loop: Header=BB236_9 Depth=1
	s_or_b64 exec, exec, s[24:25]
	v_add_u32_e32 v2, s23, v2
	v_cmp_le_i32_e32 vcc, s17, v2
	s_or_b64 s[14:15], vcc, s[14:15]
	s_andn2_b64 exec, exec, s[14:15]
	s_cbranch_execz .LBB236_16
.LBB236_9:                              ; =>This Loop Header: Depth=1
                                        ;     Child Loop BB236_11 Depth 2
	v_ashrrev_i32_e32 v3, 31, v2
	v_lshlrev_b64 v[0:1], 2, v[2:3]
	v_add_co_u32_e32 v4, vcc, s18, v0
	v_addc_co_u32_e32 v5, vcc, v7, v1, vcc
	v_add_co_u32_e32 v10, vcc, s8, v0
	v_addc_co_u32_e32 v11, vcc, v8, v1, vcc
	global_load_dword v3, v[10:11], off
	global_load_dword v12, v[4:5], off
	s_waitcnt vmcnt(1)
	v_subrev_u32_e32 v9, s20, v3
	s_waitcnt vmcnt(0)
	v_add_u32_e32 v4, v12, v6
	v_cmp_lt_i32_e32 vcc, v4, v9
	v_mov_b32_e32 v3, 0
	s_and_saveexec_b64 s[4:5], vcc
	s_cbranch_execz .LBB236_13
; %bb.10:                               ;   in Loop: Header=BB236_9 Depth=1
	s_mov_b64 s[24:25], 0
	v_mov_b32_e32 v3, 0
.LBB236_11:                             ;   Parent Loop BB236_9 Depth=1
                                        ; =>  This Inner Loop Header: Depth=2
	v_ashrrev_i32_e32 v5, 31, v4
	v_lshlrev_b64 v[10:11], 2, v[4:5]
	v_mov_b32_e32 v12, s11
	v_add_co_u32_e32 v10, vcc, s10, v10
	v_addc_co_u32_e32 v11, vcc, v12, v11, vcc
	global_load_dword v10, v[10:11], off
	v_lshlrev_b64 v[12:13], 1, v[4:5]
	v_mov_b32_e32 v11, s13
	v_add_co_u32_e32 v12, vcc, s12, v12
	v_addc_co_u32_e32 v13, vcc, v11, v13, vcc
	v_mov_b32_e32 v14, s26
	global_load_ushort v5, v[12:13], off
	v_add_u32_e32 v4, 64, v4
	s_waitcnt vmcnt(1)
	v_ashrrev_i32_e32 v11, 31, v10
	v_lshlrev_b64 v[10:11], 1, v[10:11]
	v_add_co_u32_e32 v10, vcc, s21, v10
	v_addc_co_u32_e32 v11, vcc, v14, v11, vcc
	global_load_ushort v10, v[10:11], off
	v_cmp_ge_i32_e32 vcc, v4, v9
	s_waitcnt vmcnt(1)
	v_lshlrev_b32_e32 v5, 16, v5
	v_mul_f32_e32 v5, s16, v5
	s_or_b64 s[24:25], vcc, s[24:25]
	s_waitcnt vmcnt(0)
	v_lshlrev_b32_e32 v10, 16, v10
	v_fmac_f32_e32 v3, v5, v10
	s_andn2_b64 exec, exec, s[24:25]
	s_cbranch_execnz .LBB236_11
; %bb.12:                               ;   in Loop: Header=BB236_9 Depth=1
	s_or_b64 exec, exec, s[24:25]
.LBB236_13:                             ;   in Loop: Header=BB236_9 Depth=1
	s_or_b64 exec, exec, s[4:5]
	v_mov_b32_dpp v4, v3 row_shr:1 row_mask:0xf bank_mask:0xf
	v_add_f32_e32 v3, v3, v4
	s_nop 1
	v_mov_b32_dpp v4, v3 row_shr:2 row_mask:0xf bank_mask:0xf
	v_add_f32_e32 v3, v3, v4
	s_nop 1
	;; [unrolled: 3-line block ×4, first 2 shown]
	v_mov_b32_dpp v4, v3 row_bcast:15 row_mask:0xa bank_mask:0xf
	v_add_f32_e32 v3, v3, v4
	s_nop 1
	v_mov_b32_dpp v4, v3 row_bcast:31 row_mask:0xc bank_mask:0xf
	s_and_saveexec_b64 s[24:25], s[0:1]
	s_cbranch_execz .LBB236_8
; %bb.14:                               ;   in Loop: Header=BB236_9 Depth=1
	v_add_f32_e32 v3, v3, v4
	v_mov_b32_e32 v4, s7
	v_add_co_u32_e64 v0, s[4:5], s6, v0
	s_and_b64 vcc, exec, s[2:3]
	v_addc_co_u32_e64 v1, s[4:5], v4, v1, s[4:5]
	s_cbranch_vccnz .LBB236_7
; %bb.15:                               ;   in Loop: Header=BB236_9 Depth=1
	global_load_dword v4, v[0:1], off
	s_waitcnt vmcnt(0)
	v_fmac_f32_e32 v3, s22, v4
	s_branch .LBB236_7
.LBB236_16:
	s_endpgm
	.section	.rodata,"a",@progbits
	.p2align	6, 0x0
	.amdhsa_kernel _ZN9rocsparseL21csrmvn_general_kernelILj256ELj64Eii18rocsparse_bfloat16S1_ffEEvbT2_NS_24const_host_device_scalarIT6_EEPKT1_S8_PKS2_PKT3_PKT4_S5_PT5_21rocsparse_index_base_b
		.amdhsa_group_segment_fixed_size 0
		.amdhsa_private_segment_fixed_size 0
		.amdhsa_kernarg_size 336
		.amdhsa_user_sgpr_count 6
		.amdhsa_user_sgpr_private_segment_buffer 1
		.amdhsa_user_sgpr_dispatch_ptr 0
		.amdhsa_user_sgpr_queue_ptr 0
		.amdhsa_user_sgpr_kernarg_segment_ptr 1
		.amdhsa_user_sgpr_dispatch_id 0
		.amdhsa_user_sgpr_flat_scratch_init 0
		.amdhsa_user_sgpr_kernarg_preload_length 0
		.amdhsa_user_sgpr_kernarg_preload_offset 0
		.amdhsa_user_sgpr_private_segment_size 0
		.amdhsa_uses_dynamic_stack 0
		.amdhsa_system_sgpr_private_segment_wavefront_offset 0
		.amdhsa_system_sgpr_workgroup_id_x 1
		.amdhsa_system_sgpr_workgroup_id_y 0
		.amdhsa_system_sgpr_workgroup_id_z 0
		.amdhsa_system_sgpr_workgroup_info 0
		.amdhsa_system_vgpr_workitem_id 0
		.amdhsa_next_free_vgpr 15
		.amdhsa_next_free_sgpr 27
		.amdhsa_accum_offset 16
		.amdhsa_reserve_vcc 1
		.amdhsa_reserve_flat_scratch 0
		.amdhsa_float_round_mode_32 0
		.amdhsa_float_round_mode_16_64 0
		.amdhsa_float_denorm_mode_32 3
		.amdhsa_float_denorm_mode_16_64 3
		.amdhsa_dx10_clamp 1
		.amdhsa_ieee_mode 1
		.amdhsa_fp16_overflow 0
		.amdhsa_tg_split 0
		.amdhsa_exception_fp_ieee_invalid_op 0
		.amdhsa_exception_fp_denorm_src 0
		.amdhsa_exception_fp_ieee_div_zero 0
		.amdhsa_exception_fp_ieee_overflow 0
		.amdhsa_exception_fp_ieee_underflow 0
		.amdhsa_exception_fp_ieee_inexact 0
		.amdhsa_exception_int_div_zero 0
	.end_amdhsa_kernel
	.section	.text._ZN9rocsparseL21csrmvn_general_kernelILj256ELj64Eii18rocsparse_bfloat16S1_ffEEvbT2_NS_24const_host_device_scalarIT6_EEPKT1_S8_PKS2_PKT3_PKT4_S5_PT5_21rocsparse_index_base_b,"axG",@progbits,_ZN9rocsparseL21csrmvn_general_kernelILj256ELj64Eii18rocsparse_bfloat16S1_ffEEvbT2_NS_24const_host_device_scalarIT6_EEPKT1_S8_PKS2_PKT3_PKT4_S5_PT5_21rocsparse_index_base_b,comdat
.Lfunc_end236:
	.size	_ZN9rocsparseL21csrmvn_general_kernelILj256ELj64Eii18rocsparse_bfloat16S1_ffEEvbT2_NS_24const_host_device_scalarIT6_EEPKT1_S8_PKS2_PKT3_PKT4_S5_PT5_21rocsparse_index_base_b, .Lfunc_end236-_ZN9rocsparseL21csrmvn_general_kernelILj256ELj64Eii18rocsparse_bfloat16S1_ffEEvbT2_NS_24const_host_device_scalarIT6_EEPKT1_S8_PKS2_PKT3_PKT4_S5_PT5_21rocsparse_index_base_b
                                        ; -- End function
	.section	.AMDGPU.csdata,"",@progbits
; Kernel info:
; codeLenInByte = 660
; NumSgprs: 31
; NumVgprs: 15
; NumAgprs: 0
; TotalNumVgprs: 15
; ScratchSize: 0
; MemoryBound: 0
; FloatMode: 240
; IeeeMode: 1
; LDSByteSize: 0 bytes/workgroup (compile time only)
; SGPRBlocks: 3
; VGPRBlocks: 1
; NumSGPRsForWavesPerEU: 31
; NumVGPRsForWavesPerEU: 15
; AccumOffset: 16
; Occupancy: 8
; WaveLimiterHint : 1
; COMPUTE_PGM_RSRC2:SCRATCH_EN: 0
; COMPUTE_PGM_RSRC2:USER_SGPR: 6
; COMPUTE_PGM_RSRC2:TRAP_HANDLER: 0
; COMPUTE_PGM_RSRC2:TGID_X_EN: 1
; COMPUTE_PGM_RSRC2:TGID_Y_EN: 0
; COMPUTE_PGM_RSRC2:TGID_Z_EN: 0
; COMPUTE_PGM_RSRC2:TIDIG_COMP_CNT: 0
; COMPUTE_PGM_RSRC3_GFX90A:ACCUM_OFFSET: 3
; COMPUTE_PGM_RSRC3_GFX90A:TG_SPLIT: 0
	.section	.text._ZN9rocsparseL21csrmvt_general_kernelILj256ELj4Eii18rocsparse_bfloat16S1_ffEEvbbT2_NS_24const_host_device_scalarIT6_EEPKT1_S8_PKS2_PKT3_PKT4_PT5_21rocsparse_index_base_b,"axG",@progbits,_ZN9rocsparseL21csrmvt_general_kernelILj256ELj4Eii18rocsparse_bfloat16S1_ffEEvbbT2_NS_24const_host_device_scalarIT6_EEPKT1_S8_PKS2_PKT3_PKT4_PT5_21rocsparse_index_base_b,comdat
	.globl	_ZN9rocsparseL21csrmvt_general_kernelILj256ELj4Eii18rocsparse_bfloat16S1_ffEEvbbT2_NS_24const_host_device_scalarIT6_EEPKT1_S8_PKS2_PKT3_PKT4_PT5_21rocsparse_index_base_b ; -- Begin function _ZN9rocsparseL21csrmvt_general_kernelILj256ELj4Eii18rocsparse_bfloat16S1_ffEEvbbT2_NS_24const_host_device_scalarIT6_EEPKT1_S8_PKS2_PKT3_PKT4_PT5_21rocsparse_index_base_b
	.p2align	8
	.type	_ZN9rocsparseL21csrmvt_general_kernelILj256ELj4Eii18rocsparse_bfloat16S1_ffEEvbbT2_NS_24const_host_device_scalarIT6_EEPKT1_S8_PKS2_PKT3_PKT4_PT5_21rocsparse_index_base_b,@function
_ZN9rocsparseL21csrmvt_general_kernelILj256ELj4Eii18rocsparse_bfloat16S1_ffEEvbbT2_NS_24const_host_device_scalarIT6_EEPKT1_S8_PKS2_PKT3_PKT4_PT5_21rocsparse_index_base_b: ; @_ZN9rocsparseL21csrmvt_general_kernelILj256ELj4Eii18rocsparse_bfloat16S1_ffEEvbbT2_NS_24const_host_device_scalarIT6_EEPKT1_S8_PKS2_PKT3_PKT4_PT5_21rocsparse_index_base_b
; %bb.0:
	s_load_dwordx2 s[2:3], s[4:5], 0x40
	s_load_dwordx4 s[16:19], s[4:5], 0x8
	s_waitcnt lgkmcnt(0)
	s_bitcmp1_b32 s3, 0
	s_cselect_b64 s[0:1], -1, 0
	s_and_b64 vcc, exec, s[0:1]
	s_cbranch_vccnz .LBB237_2
; %bb.1:
	s_load_dword s16, s[16:17], 0x0
.LBB237_2:
	s_waitcnt lgkmcnt(0)
	v_cmp_eq_f32_e64 s[0:1], s16, 0
	s_and_b64 vcc, exec, s[0:1]
	s_cbranch_vccnz .LBB237_23
; %bb.3:
	s_load_dwordx2 s[20:21], s[4:5], 0x0
	s_load_dword s0, s[4:5], 0x48
	s_load_dwordx2 s[22:23], s[4:5], 0x38
	s_load_dwordx8 s[8:15], s[4:5], 0x18
	v_and_b32_e32 v1, 3, v0
	v_lshl_or_b32 v0, s6, 8, v0
	s_waitcnt lgkmcnt(0)
	s_and_b32 s1, s20, 1
	s_lshl_b32 s3, s0, 6
	v_lshrrev_b32_e32 v0, 2, v0
	s_cmp_eq_u32 s1, 0
	v_cmp_gt_i32_e64 s[0:1], s21, v0
	s_mov_b64 s[4:5], -1
	s_cbranch_scc0 .LBB237_13
; %bb.4:
	s_and_saveexec_b64 s[4:5], s[0:1]
	s_cbranch_execz .LBB237_12
; %bb.5:
	v_subrev_u32_e32 v10, s2, v1
	s_mov_b64 s[6:7], 0
	v_mov_b32_e32 v11, s19
	v_mov_b32_e32 v12, s9
	;; [unrolled: 1-line block ×3, first 2 shown]
	s_branch .LBB237_7
.LBB237_6:                              ;   in Loop: Header=BB237_7 Depth=1
	s_or_b64 exec, exec, s[24:25]
	v_add_u32_e32 v2, s3, v2
	v_cmp_le_i32_e32 vcc, s21, v2
	s_or_b64 s[6:7], vcc, s[6:7]
	s_andn2_b64 exec, exec, s[6:7]
	s_cbranch_execz .LBB237_12
.LBB237_7:                              ; =>This Loop Header: Depth=1
                                        ;     Child Loop BB237_9 Depth 2
                                        ;       Child Loop BB237_10 Depth 3
	v_ashrrev_i32_e32 v3, 31, v2
	v_lshlrev_b64 v[4:5], 2, v[2:3]
	v_add_co_u32_e32 v6, vcc, s18, v4
	v_addc_co_u32_e32 v7, vcc, v11, v5, vcc
	v_add_co_u32_e32 v4, vcc, s8, v4
	v_addc_co_u32_e32 v5, vcc, v12, v5, vcc
	global_load_dword v8, v[4:5], off
	global_load_dword v9, v[6:7], off
	s_waitcnt vmcnt(1)
	v_subrev_u32_e32 v13, s2, v8
	s_waitcnt vmcnt(0)
	v_add_u32_e32 v4, v9, v10
	v_cmp_lt_i32_e32 vcc, v4, v13
	s_and_saveexec_b64 s[24:25], vcc
	s_cbranch_execz .LBB237_6
; %bb.8:                                ;   in Loop: Header=BB237_7 Depth=1
	v_lshlrev_b64 v[6:7], 1, v[2:3]
	v_mov_b32_e32 v3, s15
	v_add_co_u32_e32 v6, vcc, s14, v6
	v_addc_co_u32_e32 v7, vcc, v3, v7, vcc
	global_load_ushort v3, v[6:7], off
	s_mov_b64 s[26:27], 0
	s_waitcnt vmcnt(0)
	v_lshlrev_b32_e32 v3, 16, v3
	v_mul_f32_e32 v3, s16, v3
.LBB237_9:                              ;   Parent Loop BB237_7 Depth=1
                                        ; =>  This Loop Header: Depth=2
                                        ;       Child Loop BB237_10 Depth 3
	v_ashrrev_i32_e32 v5, 31, v4
	v_lshlrev_b64 v[6:7], 2, v[4:5]
	v_mov_b32_e32 v8, s11
	v_add_co_u32_e32 v6, vcc, s10, v6
	v_addc_co_u32_e32 v7, vcc, v8, v7, vcc
	global_load_dword v8, v[6:7], off
	v_lshlrev_b64 v[6:7], 1, v[4:5]
	v_mov_b32_e32 v9, s13
	v_add_co_u32_e32 v6, vcc, s12, v6
	v_addc_co_u32_e32 v7, vcc, v9, v7, vcc
	global_load_ushort v5, v[6:7], off
	v_mov_b32_e32 v14, s23
	s_mov_b64 s[28:29], 0
	s_waitcnt vmcnt(1)
	v_subrev_u32_e32 v6, s2, v8
	v_ashrrev_i32_e32 v7, 31, v6
	v_lshlrev_b64 v[6:7], 2, v[6:7]
	v_add_co_u32_e32 v6, vcc, s22, v6
	v_addc_co_u32_e32 v7, vcc, v14, v7, vcc
	global_load_dword v9, v[6:7], off
	s_waitcnt vmcnt(1)
	v_lshlrev_b32_e32 v5, 16, v5
	v_mul_f32_e32 v5, v3, v5
.LBB237_10:                             ;   Parent Loop BB237_7 Depth=1
                                        ;     Parent Loop BB237_9 Depth=2
                                        ; =>    This Inner Loop Header: Depth=3
	s_waitcnt vmcnt(0)
	v_add_f32_e32 v8, v9, v5
	global_atomic_cmpswap v8, v[6:7], v[8:9], off glc
	s_waitcnt vmcnt(0)
	v_cmp_eq_u32_e32 vcc, v8, v9
	s_or_b64 s[28:29], vcc, s[28:29]
	v_mov_b32_e32 v9, v8
	s_andn2_b64 exec, exec, s[28:29]
	s_cbranch_execnz .LBB237_10
; %bb.11:                               ;   in Loop: Header=BB237_9 Depth=2
	s_or_b64 exec, exec, s[28:29]
	v_add_u32_e32 v4, 4, v4
	v_cmp_ge_i32_e32 vcc, v4, v13
	s_or_b64 s[26:27], vcc, s[26:27]
	s_andn2_b64 exec, exec, s[26:27]
	s_cbranch_execnz .LBB237_9
	s_branch .LBB237_6
.LBB237_12:
	s_or_b64 exec, exec, s[4:5]
	s_mov_b64 s[4:5], 0
.LBB237_13:
	s_andn2_b64 vcc, exec, s[4:5]
	s_cbranch_vccnz .LBB237_23
; %bb.14:
	s_and_saveexec_b64 s[4:5], s[0:1]
	s_cbranch_execz .LBB237_23
; %bb.15:
	v_subrev_u32_e32 v8, s2, v1
	s_mov_b64 s[0:1], 0
	v_mov_b32_e32 v9, s19
	v_mov_b32_e32 v10, s9
	s_branch .LBB237_17
.LBB237_16:                             ;   in Loop: Header=BB237_17 Depth=1
	s_or_b64 exec, exec, s[4:5]
	v_add_u32_e32 v0, s3, v0
	v_cmp_le_i32_e32 vcc, s21, v0
	s_or_b64 s[0:1], vcc, s[0:1]
	s_andn2_b64 exec, exec, s[0:1]
	s_cbranch_execz .LBB237_23
.LBB237_17:                             ; =>This Loop Header: Depth=1
                                        ;     Child Loop BB237_20 Depth 2
                                        ;       Child Loop BB237_22 Depth 3
	v_ashrrev_i32_e32 v1, 31, v0
	v_lshlrev_b64 v[2:3], 2, v[0:1]
	v_add_co_u32_e32 v4, vcc, s18, v2
	v_addc_co_u32_e32 v5, vcc, v9, v3, vcc
	v_add_co_u32_e32 v2, vcc, s8, v2
	v_addc_co_u32_e32 v3, vcc, v10, v3, vcc
	global_load_dword v6, v[2:3], off
	global_load_dword v7, v[4:5], off
	s_waitcnt vmcnt(1)
	v_subrev_u32_e32 v11, s2, v6
	s_waitcnt vmcnt(0)
	v_add_u32_e32 v2, v7, v8
	v_cmp_lt_i32_e32 vcc, v2, v11
	s_and_saveexec_b64 s[4:5], vcc
	s_cbranch_execz .LBB237_16
; %bb.18:                               ;   in Loop: Header=BB237_17 Depth=1
	v_lshlrev_b64 v[4:5], 1, v[0:1]
	v_mov_b32_e32 v1, s15
	v_add_co_u32_e32 v4, vcc, s14, v4
	v_addc_co_u32_e32 v5, vcc, v1, v5, vcc
	global_load_ushort v1, v[4:5], off
	s_mov_b64 s[6:7], 0
	s_waitcnt vmcnt(0)
	v_lshlrev_b32_e32 v1, 16, v1
	v_mul_f32_e32 v1, s16, v1
	s_branch .LBB237_20
.LBB237_19:                             ;   in Loop: Header=BB237_20 Depth=2
	s_or_b64 exec, exec, s[24:25]
	v_add_u32_e32 v2, 4, v2
	v_cmp_ge_i32_e32 vcc, v2, v11
	s_or_b64 s[6:7], vcc, s[6:7]
	s_andn2_b64 exec, exec, s[6:7]
	s_cbranch_execz .LBB237_16
.LBB237_20:                             ;   Parent Loop BB237_17 Depth=1
                                        ; =>  This Loop Header: Depth=2
                                        ;       Child Loop BB237_22 Depth 3
	v_ashrrev_i32_e32 v3, 31, v2
	v_lshlrev_b64 v[4:5], 2, v[2:3]
	v_mov_b32_e32 v6, s11
	v_add_co_u32_e32 v4, vcc, s10, v4
	v_addc_co_u32_e32 v5, vcc, v6, v5, vcc
	global_load_dword v4, v[4:5], off
	s_waitcnt vmcnt(0)
	v_subrev_u32_e32 v4, s2, v4
	v_cmp_ne_u32_e32 vcc, v4, v0
	s_and_saveexec_b64 s[24:25], vcc
	s_cbranch_execz .LBB237_19
; %bb.21:                               ;   in Loop: Header=BB237_20 Depth=2
	v_lshlrev_b64 v[6:7], 1, v[2:3]
	v_mov_b32_e32 v3, s13
	v_add_co_u32_e32 v6, vcc, s12, v6
	v_ashrrev_i32_e32 v5, 31, v4
	v_addc_co_u32_e32 v7, vcc, v3, v7, vcc
	v_lshlrev_b64 v[4:5], 2, v[4:5]
	v_mov_b32_e32 v3, s23
	global_load_ushort v6, v[6:7], off
	v_add_co_u32_e32 v4, vcc, s22, v4
	v_addc_co_u32_e32 v5, vcc, v3, v5, vcc
	global_load_dword v7, v[4:5], off
	s_mov_b64 s[26:27], 0
	s_waitcnt vmcnt(1)
	v_lshlrev_b32_e32 v3, 16, v6
	v_mul_f32_e32 v3, v1, v3
.LBB237_22:                             ;   Parent Loop BB237_17 Depth=1
                                        ;     Parent Loop BB237_20 Depth=2
                                        ; =>    This Inner Loop Header: Depth=3
	s_waitcnt vmcnt(0)
	v_add_f32_e32 v6, v7, v3
	global_atomic_cmpswap v6, v[4:5], v[6:7], off glc
	s_waitcnt vmcnt(0)
	v_cmp_eq_u32_e32 vcc, v6, v7
	s_or_b64 s[26:27], vcc, s[26:27]
	v_mov_b32_e32 v7, v6
	s_andn2_b64 exec, exec, s[26:27]
	s_cbranch_execnz .LBB237_22
	s_branch .LBB237_19
.LBB237_23:
	s_endpgm
	.section	.rodata,"a",@progbits
	.p2align	6, 0x0
	.amdhsa_kernel _ZN9rocsparseL21csrmvt_general_kernelILj256ELj4Eii18rocsparse_bfloat16S1_ffEEvbbT2_NS_24const_host_device_scalarIT6_EEPKT1_S8_PKS2_PKT3_PKT4_PT5_21rocsparse_index_base_b
		.amdhsa_group_segment_fixed_size 0
		.amdhsa_private_segment_fixed_size 0
		.amdhsa_kernarg_size 328
		.amdhsa_user_sgpr_count 6
		.amdhsa_user_sgpr_private_segment_buffer 1
		.amdhsa_user_sgpr_dispatch_ptr 0
		.amdhsa_user_sgpr_queue_ptr 0
		.amdhsa_user_sgpr_kernarg_segment_ptr 1
		.amdhsa_user_sgpr_dispatch_id 0
		.amdhsa_user_sgpr_flat_scratch_init 0
		.amdhsa_user_sgpr_kernarg_preload_length 0
		.amdhsa_user_sgpr_kernarg_preload_offset 0
		.amdhsa_user_sgpr_private_segment_size 0
		.amdhsa_uses_dynamic_stack 0
		.amdhsa_system_sgpr_private_segment_wavefront_offset 0
		.amdhsa_system_sgpr_workgroup_id_x 1
		.amdhsa_system_sgpr_workgroup_id_y 0
		.amdhsa_system_sgpr_workgroup_id_z 0
		.amdhsa_system_sgpr_workgroup_info 0
		.amdhsa_system_vgpr_workitem_id 0
		.amdhsa_next_free_vgpr 15
		.amdhsa_next_free_sgpr 30
		.amdhsa_accum_offset 16
		.amdhsa_reserve_vcc 1
		.amdhsa_reserve_flat_scratch 0
		.amdhsa_float_round_mode_32 0
		.amdhsa_float_round_mode_16_64 0
		.amdhsa_float_denorm_mode_32 3
		.amdhsa_float_denorm_mode_16_64 3
		.amdhsa_dx10_clamp 1
		.amdhsa_ieee_mode 1
		.amdhsa_fp16_overflow 0
		.amdhsa_tg_split 0
		.amdhsa_exception_fp_ieee_invalid_op 0
		.amdhsa_exception_fp_denorm_src 0
		.amdhsa_exception_fp_ieee_div_zero 0
		.amdhsa_exception_fp_ieee_overflow 0
		.amdhsa_exception_fp_ieee_underflow 0
		.amdhsa_exception_fp_ieee_inexact 0
		.amdhsa_exception_int_div_zero 0
	.end_amdhsa_kernel
	.section	.text._ZN9rocsparseL21csrmvt_general_kernelILj256ELj4Eii18rocsparse_bfloat16S1_ffEEvbbT2_NS_24const_host_device_scalarIT6_EEPKT1_S8_PKS2_PKT3_PKT4_PT5_21rocsparse_index_base_b,"axG",@progbits,_ZN9rocsparseL21csrmvt_general_kernelILj256ELj4Eii18rocsparse_bfloat16S1_ffEEvbbT2_NS_24const_host_device_scalarIT6_EEPKT1_S8_PKS2_PKT3_PKT4_PT5_21rocsparse_index_base_b,comdat
.Lfunc_end237:
	.size	_ZN9rocsparseL21csrmvt_general_kernelILj256ELj4Eii18rocsparse_bfloat16S1_ffEEvbbT2_NS_24const_host_device_scalarIT6_EEPKT1_S8_PKS2_PKT3_PKT4_PT5_21rocsparse_index_base_b, .Lfunc_end237-_ZN9rocsparseL21csrmvt_general_kernelILj256ELj4Eii18rocsparse_bfloat16S1_ffEEvbbT2_NS_24const_host_device_scalarIT6_EEPKT1_S8_PKS2_PKT3_PKT4_PT5_21rocsparse_index_base_b
                                        ; -- End function
	.section	.AMDGPU.csdata,"",@progbits
; Kernel info:
; codeLenInByte = 888
; NumSgprs: 34
; NumVgprs: 15
; NumAgprs: 0
; TotalNumVgprs: 15
; ScratchSize: 0
; MemoryBound: 0
; FloatMode: 240
; IeeeMode: 1
; LDSByteSize: 0 bytes/workgroup (compile time only)
; SGPRBlocks: 4
; VGPRBlocks: 1
; NumSGPRsForWavesPerEU: 34
; NumVGPRsForWavesPerEU: 15
; AccumOffset: 16
; Occupancy: 8
; WaveLimiterHint : 1
; COMPUTE_PGM_RSRC2:SCRATCH_EN: 0
; COMPUTE_PGM_RSRC2:USER_SGPR: 6
; COMPUTE_PGM_RSRC2:TRAP_HANDLER: 0
; COMPUTE_PGM_RSRC2:TGID_X_EN: 1
; COMPUTE_PGM_RSRC2:TGID_Y_EN: 0
; COMPUTE_PGM_RSRC2:TGID_Z_EN: 0
; COMPUTE_PGM_RSRC2:TIDIG_COMP_CNT: 0
; COMPUTE_PGM_RSRC3_GFX90A:ACCUM_OFFSET: 3
; COMPUTE_PGM_RSRC3_GFX90A:TG_SPLIT: 0
	.section	.text._ZN9rocsparseL21csrmvt_general_kernelILj256ELj8Eii18rocsparse_bfloat16S1_ffEEvbbT2_NS_24const_host_device_scalarIT6_EEPKT1_S8_PKS2_PKT3_PKT4_PT5_21rocsparse_index_base_b,"axG",@progbits,_ZN9rocsparseL21csrmvt_general_kernelILj256ELj8Eii18rocsparse_bfloat16S1_ffEEvbbT2_NS_24const_host_device_scalarIT6_EEPKT1_S8_PKS2_PKT3_PKT4_PT5_21rocsparse_index_base_b,comdat
	.globl	_ZN9rocsparseL21csrmvt_general_kernelILj256ELj8Eii18rocsparse_bfloat16S1_ffEEvbbT2_NS_24const_host_device_scalarIT6_EEPKT1_S8_PKS2_PKT3_PKT4_PT5_21rocsparse_index_base_b ; -- Begin function _ZN9rocsparseL21csrmvt_general_kernelILj256ELj8Eii18rocsparse_bfloat16S1_ffEEvbbT2_NS_24const_host_device_scalarIT6_EEPKT1_S8_PKS2_PKT3_PKT4_PT5_21rocsparse_index_base_b
	.p2align	8
	.type	_ZN9rocsparseL21csrmvt_general_kernelILj256ELj8Eii18rocsparse_bfloat16S1_ffEEvbbT2_NS_24const_host_device_scalarIT6_EEPKT1_S8_PKS2_PKT3_PKT4_PT5_21rocsparse_index_base_b,@function
_ZN9rocsparseL21csrmvt_general_kernelILj256ELj8Eii18rocsparse_bfloat16S1_ffEEvbbT2_NS_24const_host_device_scalarIT6_EEPKT1_S8_PKS2_PKT3_PKT4_PT5_21rocsparse_index_base_b: ; @_ZN9rocsparseL21csrmvt_general_kernelILj256ELj8Eii18rocsparse_bfloat16S1_ffEEvbbT2_NS_24const_host_device_scalarIT6_EEPKT1_S8_PKS2_PKT3_PKT4_PT5_21rocsparse_index_base_b
; %bb.0:
	s_load_dwordx2 s[2:3], s[4:5], 0x40
	s_load_dwordx4 s[16:19], s[4:5], 0x8
	s_waitcnt lgkmcnt(0)
	s_bitcmp1_b32 s3, 0
	s_cselect_b64 s[0:1], -1, 0
	s_and_b64 vcc, exec, s[0:1]
	s_cbranch_vccnz .LBB238_2
; %bb.1:
	s_load_dword s16, s[16:17], 0x0
.LBB238_2:
	s_waitcnt lgkmcnt(0)
	v_cmp_eq_f32_e64 s[0:1], s16, 0
	s_and_b64 vcc, exec, s[0:1]
	s_cbranch_vccnz .LBB238_23
; %bb.3:
	s_load_dwordx2 s[20:21], s[4:5], 0x0
	s_load_dword s0, s[4:5], 0x48
	s_load_dwordx2 s[22:23], s[4:5], 0x38
	s_load_dwordx8 s[8:15], s[4:5], 0x18
	v_and_b32_e32 v1, 7, v0
	v_lshl_or_b32 v0, s6, 8, v0
	s_waitcnt lgkmcnt(0)
	s_and_b32 s1, s20, 1
	s_lshl_b32 s3, s0, 5
	v_lshrrev_b32_e32 v0, 3, v0
	s_cmp_eq_u32 s1, 0
	v_cmp_gt_i32_e64 s[0:1], s21, v0
	s_mov_b64 s[4:5], -1
	s_cbranch_scc0 .LBB238_13
; %bb.4:
	s_and_saveexec_b64 s[4:5], s[0:1]
	s_cbranch_execz .LBB238_12
; %bb.5:
	v_subrev_u32_e32 v10, s2, v1
	s_mov_b64 s[6:7], 0
	v_mov_b32_e32 v11, s19
	v_mov_b32_e32 v12, s9
	;; [unrolled: 1-line block ×3, first 2 shown]
	s_branch .LBB238_7
.LBB238_6:                              ;   in Loop: Header=BB238_7 Depth=1
	s_or_b64 exec, exec, s[24:25]
	v_add_u32_e32 v2, s3, v2
	v_cmp_le_i32_e32 vcc, s21, v2
	s_or_b64 s[6:7], vcc, s[6:7]
	s_andn2_b64 exec, exec, s[6:7]
	s_cbranch_execz .LBB238_12
.LBB238_7:                              ; =>This Loop Header: Depth=1
                                        ;     Child Loop BB238_9 Depth 2
                                        ;       Child Loop BB238_10 Depth 3
	v_ashrrev_i32_e32 v3, 31, v2
	v_lshlrev_b64 v[4:5], 2, v[2:3]
	v_add_co_u32_e32 v6, vcc, s18, v4
	v_addc_co_u32_e32 v7, vcc, v11, v5, vcc
	v_add_co_u32_e32 v4, vcc, s8, v4
	v_addc_co_u32_e32 v5, vcc, v12, v5, vcc
	global_load_dword v8, v[4:5], off
	global_load_dword v9, v[6:7], off
	s_waitcnt vmcnt(1)
	v_subrev_u32_e32 v13, s2, v8
	s_waitcnt vmcnt(0)
	v_add_u32_e32 v4, v9, v10
	v_cmp_lt_i32_e32 vcc, v4, v13
	s_and_saveexec_b64 s[24:25], vcc
	s_cbranch_execz .LBB238_6
; %bb.8:                                ;   in Loop: Header=BB238_7 Depth=1
	v_lshlrev_b64 v[6:7], 1, v[2:3]
	v_mov_b32_e32 v3, s15
	v_add_co_u32_e32 v6, vcc, s14, v6
	v_addc_co_u32_e32 v7, vcc, v3, v7, vcc
	global_load_ushort v3, v[6:7], off
	s_mov_b64 s[26:27], 0
	s_waitcnt vmcnt(0)
	v_lshlrev_b32_e32 v3, 16, v3
	v_mul_f32_e32 v3, s16, v3
.LBB238_9:                              ;   Parent Loop BB238_7 Depth=1
                                        ; =>  This Loop Header: Depth=2
                                        ;       Child Loop BB238_10 Depth 3
	v_ashrrev_i32_e32 v5, 31, v4
	v_lshlrev_b64 v[6:7], 2, v[4:5]
	v_mov_b32_e32 v8, s11
	v_add_co_u32_e32 v6, vcc, s10, v6
	v_addc_co_u32_e32 v7, vcc, v8, v7, vcc
	global_load_dword v8, v[6:7], off
	v_lshlrev_b64 v[6:7], 1, v[4:5]
	v_mov_b32_e32 v9, s13
	v_add_co_u32_e32 v6, vcc, s12, v6
	v_addc_co_u32_e32 v7, vcc, v9, v7, vcc
	global_load_ushort v5, v[6:7], off
	v_mov_b32_e32 v14, s23
	s_mov_b64 s[28:29], 0
	s_waitcnt vmcnt(1)
	v_subrev_u32_e32 v6, s2, v8
	v_ashrrev_i32_e32 v7, 31, v6
	v_lshlrev_b64 v[6:7], 2, v[6:7]
	v_add_co_u32_e32 v6, vcc, s22, v6
	v_addc_co_u32_e32 v7, vcc, v14, v7, vcc
	global_load_dword v9, v[6:7], off
	s_waitcnt vmcnt(1)
	v_lshlrev_b32_e32 v5, 16, v5
	v_mul_f32_e32 v5, v3, v5
.LBB238_10:                             ;   Parent Loop BB238_7 Depth=1
                                        ;     Parent Loop BB238_9 Depth=2
                                        ; =>    This Inner Loop Header: Depth=3
	s_waitcnt vmcnt(0)
	v_add_f32_e32 v8, v9, v5
	global_atomic_cmpswap v8, v[6:7], v[8:9], off glc
	s_waitcnt vmcnt(0)
	v_cmp_eq_u32_e32 vcc, v8, v9
	s_or_b64 s[28:29], vcc, s[28:29]
	v_mov_b32_e32 v9, v8
	s_andn2_b64 exec, exec, s[28:29]
	s_cbranch_execnz .LBB238_10
; %bb.11:                               ;   in Loop: Header=BB238_9 Depth=2
	s_or_b64 exec, exec, s[28:29]
	v_add_u32_e32 v4, 8, v4
	v_cmp_ge_i32_e32 vcc, v4, v13
	s_or_b64 s[26:27], vcc, s[26:27]
	s_andn2_b64 exec, exec, s[26:27]
	s_cbranch_execnz .LBB238_9
	s_branch .LBB238_6
.LBB238_12:
	s_or_b64 exec, exec, s[4:5]
	s_mov_b64 s[4:5], 0
.LBB238_13:
	s_andn2_b64 vcc, exec, s[4:5]
	s_cbranch_vccnz .LBB238_23
; %bb.14:
	s_and_saveexec_b64 s[4:5], s[0:1]
	s_cbranch_execz .LBB238_23
; %bb.15:
	v_subrev_u32_e32 v8, s2, v1
	s_mov_b64 s[0:1], 0
	v_mov_b32_e32 v9, s19
	v_mov_b32_e32 v10, s9
	s_branch .LBB238_17
.LBB238_16:                             ;   in Loop: Header=BB238_17 Depth=1
	s_or_b64 exec, exec, s[4:5]
	v_add_u32_e32 v0, s3, v0
	v_cmp_le_i32_e32 vcc, s21, v0
	s_or_b64 s[0:1], vcc, s[0:1]
	s_andn2_b64 exec, exec, s[0:1]
	s_cbranch_execz .LBB238_23
.LBB238_17:                             ; =>This Loop Header: Depth=1
                                        ;     Child Loop BB238_20 Depth 2
                                        ;       Child Loop BB238_22 Depth 3
	v_ashrrev_i32_e32 v1, 31, v0
	v_lshlrev_b64 v[2:3], 2, v[0:1]
	v_add_co_u32_e32 v4, vcc, s18, v2
	v_addc_co_u32_e32 v5, vcc, v9, v3, vcc
	v_add_co_u32_e32 v2, vcc, s8, v2
	v_addc_co_u32_e32 v3, vcc, v10, v3, vcc
	global_load_dword v6, v[2:3], off
	global_load_dword v7, v[4:5], off
	s_waitcnt vmcnt(1)
	v_subrev_u32_e32 v11, s2, v6
	s_waitcnt vmcnt(0)
	v_add_u32_e32 v2, v7, v8
	v_cmp_lt_i32_e32 vcc, v2, v11
	s_and_saveexec_b64 s[4:5], vcc
	s_cbranch_execz .LBB238_16
; %bb.18:                               ;   in Loop: Header=BB238_17 Depth=1
	v_lshlrev_b64 v[4:5], 1, v[0:1]
	v_mov_b32_e32 v1, s15
	v_add_co_u32_e32 v4, vcc, s14, v4
	v_addc_co_u32_e32 v5, vcc, v1, v5, vcc
	global_load_ushort v1, v[4:5], off
	s_mov_b64 s[6:7], 0
	s_waitcnt vmcnt(0)
	v_lshlrev_b32_e32 v1, 16, v1
	v_mul_f32_e32 v1, s16, v1
	s_branch .LBB238_20
.LBB238_19:                             ;   in Loop: Header=BB238_20 Depth=2
	s_or_b64 exec, exec, s[24:25]
	v_add_u32_e32 v2, 8, v2
	v_cmp_ge_i32_e32 vcc, v2, v11
	s_or_b64 s[6:7], vcc, s[6:7]
	s_andn2_b64 exec, exec, s[6:7]
	s_cbranch_execz .LBB238_16
.LBB238_20:                             ;   Parent Loop BB238_17 Depth=1
                                        ; =>  This Loop Header: Depth=2
                                        ;       Child Loop BB238_22 Depth 3
	v_ashrrev_i32_e32 v3, 31, v2
	v_lshlrev_b64 v[4:5], 2, v[2:3]
	v_mov_b32_e32 v6, s11
	v_add_co_u32_e32 v4, vcc, s10, v4
	v_addc_co_u32_e32 v5, vcc, v6, v5, vcc
	global_load_dword v4, v[4:5], off
	s_waitcnt vmcnt(0)
	v_subrev_u32_e32 v4, s2, v4
	v_cmp_ne_u32_e32 vcc, v4, v0
	s_and_saveexec_b64 s[24:25], vcc
	s_cbranch_execz .LBB238_19
; %bb.21:                               ;   in Loop: Header=BB238_20 Depth=2
	v_lshlrev_b64 v[6:7], 1, v[2:3]
	v_mov_b32_e32 v3, s13
	v_add_co_u32_e32 v6, vcc, s12, v6
	v_ashrrev_i32_e32 v5, 31, v4
	v_addc_co_u32_e32 v7, vcc, v3, v7, vcc
	v_lshlrev_b64 v[4:5], 2, v[4:5]
	v_mov_b32_e32 v3, s23
	global_load_ushort v6, v[6:7], off
	v_add_co_u32_e32 v4, vcc, s22, v4
	v_addc_co_u32_e32 v5, vcc, v3, v5, vcc
	global_load_dword v7, v[4:5], off
	s_mov_b64 s[26:27], 0
	s_waitcnt vmcnt(1)
	v_lshlrev_b32_e32 v3, 16, v6
	v_mul_f32_e32 v3, v1, v3
.LBB238_22:                             ;   Parent Loop BB238_17 Depth=1
                                        ;     Parent Loop BB238_20 Depth=2
                                        ; =>    This Inner Loop Header: Depth=3
	s_waitcnt vmcnt(0)
	v_add_f32_e32 v6, v7, v3
	global_atomic_cmpswap v6, v[4:5], v[6:7], off glc
	s_waitcnt vmcnt(0)
	v_cmp_eq_u32_e32 vcc, v6, v7
	s_or_b64 s[26:27], vcc, s[26:27]
	v_mov_b32_e32 v7, v6
	s_andn2_b64 exec, exec, s[26:27]
	s_cbranch_execnz .LBB238_22
	s_branch .LBB238_19
.LBB238_23:
	s_endpgm
	.section	.rodata,"a",@progbits
	.p2align	6, 0x0
	.amdhsa_kernel _ZN9rocsparseL21csrmvt_general_kernelILj256ELj8Eii18rocsparse_bfloat16S1_ffEEvbbT2_NS_24const_host_device_scalarIT6_EEPKT1_S8_PKS2_PKT3_PKT4_PT5_21rocsparse_index_base_b
		.amdhsa_group_segment_fixed_size 0
		.amdhsa_private_segment_fixed_size 0
		.amdhsa_kernarg_size 328
		.amdhsa_user_sgpr_count 6
		.amdhsa_user_sgpr_private_segment_buffer 1
		.amdhsa_user_sgpr_dispatch_ptr 0
		.amdhsa_user_sgpr_queue_ptr 0
		.amdhsa_user_sgpr_kernarg_segment_ptr 1
		.amdhsa_user_sgpr_dispatch_id 0
		.amdhsa_user_sgpr_flat_scratch_init 0
		.amdhsa_user_sgpr_kernarg_preload_length 0
		.amdhsa_user_sgpr_kernarg_preload_offset 0
		.amdhsa_user_sgpr_private_segment_size 0
		.amdhsa_uses_dynamic_stack 0
		.amdhsa_system_sgpr_private_segment_wavefront_offset 0
		.amdhsa_system_sgpr_workgroup_id_x 1
		.amdhsa_system_sgpr_workgroup_id_y 0
		.amdhsa_system_sgpr_workgroup_id_z 0
		.amdhsa_system_sgpr_workgroup_info 0
		.amdhsa_system_vgpr_workitem_id 0
		.amdhsa_next_free_vgpr 15
		.amdhsa_next_free_sgpr 30
		.amdhsa_accum_offset 16
		.amdhsa_reserve_vcc 1
		.amdhsa_reserve_flat_scratch 0
		.amdhsa_float_round_mode_32 0
		.amdhsa_float_round_mode_16_64 0
		.amdhsa_float_denorm_mode_32 3
		.amdhsa_float_denorm_mode_16_64 3
		.amdhsa_dx10_clamp 1
		.amdhsa_ieee_mode 1
		.amdhsa_fp16_overflow 0
		.amdhsa_tg_split 0
		.amdhsa_exception_fp_ieee_invalid_op 0
		.amdhsa_exception_fp_denorm_src 0
		.amdhsa_exception_fp_ieee_div_zero 0
		.amdhsa_exception_fp_ieee_overflow 0
		.amdhsa_exception_fp_ieee_underflow 0
		.amdhsa_exception_fp_ieee_inexact 0
		.amdhsa_exception_int_div_zero 0
	.end_amdhsa_kernel
	.section	.text._ZN9rocsparseL21csrmvt_general_kernelILj256ELj8Eii18rocsparse_bfloat16S1_ffEEvbbT2_NS_24const_host_device_scalarIT6_EEPKT1_S8_PKS2_PKT3_PKT4_PT5_21rocsparse_index_base_b,"axG",@progbits,_ZN9rocsparseL21csrmvt_general_kernelILj256ELj8Eii18rocsparse_bfloat16S1_ffEEvbbT2_NS_24const_host_device_scalarIT6_EEPKT1_S8_PKS2_PKT3_PKT4_PT5_21rocsparse_index_base_b,comdat
.Lfunc_end238:
	.size	_ZN9rocsparseL21csrmvt_general_kernelILj256ELj8Eii18rocsparse_bfloat16S1_ffEEvbbT2_NS_24const_host_device_scalarIT6_EEPKT1_S8_PKS2_PKT3_PKT4_PT5_21rocsparse_index_base_b, .Lfunc_end238-_ZN9rocsparseL21csrmvt_general_kernelILj256ELj8Eii18rocsparse_bfloat16S1_ffEEvbbT2_NS_24const_host_device_scalarIT6_EEPKT1_S8_PKS2_PKT3_PKT4_PT5_21rocsparse_index_base_b
                                        ; -- End function
	.section	.AMDGPU.csdata,"",@progbits
; Kernel info:
; codeLenInByte = 888
; NumSgprs: 34
; NumVgprs: 15
; NumAgprs: 0
; TotalNumVgprs: 15
; ScratchSize: 0
; MemoryBound: 0
; FloatMode: 240
; IeeeMode: 1
; LDSByteSize: 0 bytes/workgroup (compile time only)
; SGPRBlocks: 4
; VGPRBlocks: 1
; NumSGPRsForWavesPerEU: 34
; NumVGPRsForWavesPerEU: 15
; AccumOffset: 16
; Occupancy: 8
; WaveLimiterHint : 1
; COMPUTE_PGM_RSRC2:SCRATCH_EN: 0
; COMPUTE_PGM_RSRC2:USER_SGPR: 6
; COMPUTE_PGM_RSRC2:TRAP_HANDLER: 0
; COMPUTE_PGM_RSRC2:TGID_X_EN: 1
; COMPUTE_PGM_RSRC2:TGID_Y_EN: 0
; COMPUTE_PGM_RSRC2:TGID_Z_EN: 0
; COMPUTE_PGM_RSRC2:TIDIG_COMP_CNT: 0
; COMPUTE_PGM_RSRC3_GFX90A:ACCUM_OFFSET: 3
; COMPUTE_PGM_RSRC3_GFX90A:TG_SPLIT: 0
	.section	.text._ZN9rocsparseL21csrmvt_general_kernelILj256ELj16Eii18rocsparse_bfloat16S1_ffEEvbbT2_NS_24const_host_device_scalarIT6_EEPKT1_S8_PKS2_PKT3_PKT4_PT5_21rocsparse_index_base_b,"axG",@progbits,_ZN9rocsparseL21csrmvt_general_kernelILj256ELj16Eii18rocsparse_bfloat16S1_ffEEvbbT2_NS_24const_host_device_scalarIT6_EEPKT1_S8_PKS2_PKT3_PKT4_PT5_21rocsparse_index_base_b,comdat
	.globl	_ZN9rocsparseL21csrmvt_general_kernelILj256ELj16Eii18rocsparse_bfloat16S1_ffEEvbbT2_NS_24const_host_device_scalarIT6_EEPKT1_S8_PKS2_PKT3_PKT4_PT5_21rocsparse_index_base_b ; -- Begin function _ZN9rocsparseL21csrmvt_general_kernelILj256ELj16Eii18rocsparse_bfloat16S1_ffEEvbbT2_NS_24const_host_device_scalarIT6_EEPKT1_S8_PKS2_PKT3_PKT4_PT5_21rocsparse_index_base_b
	.p2align	8
	.type	_ZN9rocsparseL21csrmvt_general_kernelILj256ELj16Eii18rocsparse_bfloat16S1_ffEEvbbT2_NS_24const_host_device_scalarIT6_EEPKT1_S8_PKS2_PKT3_PKT4_PT5_21rocsparse_index_base_b,@function
_ZN9rocsparseL21csrmvt_general_kernelILj256ELj16Eii18rocsparse_bfloat16S1_ffEEvbbT2_NS_24const_host_device_scalarIT6_EEPKT1_S8_PKS2_PKT3_PKT4_PT5_21rocsparse_index_base_b: ; @_ZN9rocsparseL21csrmvt_general_kernelILj256ELj16Eii18rocsparse_bfloat16S1_ffEEvbbT2_NS_24const_host_device_scalarIT6_EEPKT1_S8_PKS2_PKT3_PKT4_PT5_21rocsparse_index_base_b
; %bb.0:
	s_load_dwordx2 s[2:3], s[4:5], 0x40
	s_load_dwordx4 s[16:19], s[4:5], 0x8
	s_waitcnt lgkmcnt(0)
	s_bitcmp1_b32 s3, 0
	s_cselect_b64 s[0:1], -1, 0
	s_and_b64 vcc, exec, s[0:1]
	s_cbranch_vccnz .LBB239_2
; %bb.1:
	s_load_dword s16, s[16:17], 0x0
.LBB239_2:
	s_waitcnt lgkmcnt(0)
	v_cmp_eq_f32_e64 s[0:1], s16, 0
	s_and_b64 vcc, exec, s[0:1]
	s_cbranch_vccnz .LBB239_23
; %bb.3:
	s_load_dwordx2 s[20:21], s[4:5], 0x0
	s_load_dword s0, s[4:5], 0x48
	s_load_dwordx2 s[22:23], s[4:5], 0x38
	s_load_dwordx8 s[8:15], s[4:5], 0x18
	v_and_b32_e32 v1, 15, v0
	v_lshl_or_b32 v0, s6, 8, v0
	s_waitcnt lgkmcnt(0)
	s_and_b32 s1, s20, 1
	s_lshl_b32 s3, s0, 4
	v_lshrrev_b32_e32 v0, 4, v0
	s_cmp_eq_u32 s1, 0
	v_cmp_gt_i32_e64 s[0:1], s21, v0
	s_mov_b64 s[4:5], -1
	s_cbranch_scc0 .LBB239_13
; %bb.4:
	s_and_saveexec_b64 s[4:5], s[0:1]
	s_cbranch_execz .LBB239_12
; %bb.5:
	v_subrev_u32_e32 v10, s2, v1
	s_mov_b64 s[6:7], 0
	v_mov_b32_e32 v11, s19
	v_mov_b32_e32 v12, s9
	;; [unrolled: 1-line block ×3, first 2 shown]
	s_branch .LBB239_7
.LBB239_6:                              ;   in Loop: Header=BB239_7 Depth=1
	s_or_b64 exec, exec, s[24:25]
	v_add_u32_e32 v2, s3, v2
	v_cmp_le_i32_e32 vcc, s21, v2
	s_or_b64 s[6:7], vcc, s[6:7]
	s_andn2_b64 exec, exec, s[6:7]
	s_cbranch_execz .LBB239_12
.LBB239_7:                              ; =>This Loop Header: Depth=1
                                        ;     Child Loop BB239_9 Depth 2
                                        ;       Child Loop BB239_10 Depth 3
	v_ashrrev_i32_e32 v3, 31, v2
	v_lshlrev_b64 v[4:5], 2, v[2:3]
	v_add_co_u32_e32 v6, vcc, s18, v4
	v_addc_co_u32_e32 v7, vcc, v11, v5, vcc
	v_add_co_u32_e32 v4, vcc, s8, v4
	v_addc_co_u32_e32 v5, vcc, v12, v5, vcc
	global_load_dword v8, v[4:5], off
	global_load_dword v9, v[6:7], off
	s_waitcnt vmcnt(1)
	v_subrev_u32_e32 v13, s2, v8
	s_waitcnt vmcnt(0)
	v_add_u32_e32 v4, v9, v10
	v_cmp_lt_i32_e32 vcc, v4, v13
	s_and_saveexec_b64 s[24:25], vcc
	s_cbranch_execz .LBB239_6
; %bb.8:                                ;   in Loop: Header=BB239_7 Depth=1
	v_lshlrev_b64 v[6:7], 1, v[2:3]
	v_mov_b32_e32 v3, s15
	v_add_co_u32_e32 v6, vcc, s14, v6
	v_addc_co_u32_e32 v7, vcc, v3, v7, vcc
	global_load_ushort v3, v[6:7], off
	s_mov_b64 s[26:27], 0
	s_waitcnt vmcnt(0)
	v_lshlrev_b32_e32 v3, 16, v3
	v_mul_f32_e32 v3, s16, v3
.LBB239_9:                              ;   Parent Loop BB239_7 Depth=1
                                        ; =>  This Loop Header: Depth=2
                                        ;       Child Loop BB239_10 Depth 3
	v_ashrrev_i32_e32 v5, 31, v4
	v_lshlrev_b64 v[6:7], 2, v[4:5]
	v_mov_b32_e32 v8, s11
	v_add_co_u32_e32 v6, vcc, s10, v6
	v_addc_co_u32_e32 v7, vcc, v8, v7, vcc
	global_load_dword v8, v[6:7], off
	v_lshlrev_b64 v[6:7], 1, v[4:5]
	v_mov_b32_e32 v9, s13
	v_add_co_u32_e32 v6, vcc, s12, v6
	v_addc_co_u32_e32 v7, vcc, v9, v7, vcc
	global_load_ushort v5, v[6:7], off
	v_mov_b32_e32 v14, s23
	s_mov_b64 s[28:29], 0
	s_waitcnt vmcnt(1)
	v_subrev_u32_e32 v6, s2, v8
	v_ashrrev_i32_e32 v7, 31, v6
	v_lshlrev_b64 v[6:7], 2, v[6:7]
	v_add_co_u32_e32 v6, vcc, s22, v6
	v_addc_co_u32_e32 v7, vcc, v14, v7, vcc
	global_load_dword v9, v[6:7], off
	s_waitcnt vmcnt(1)
	v_lshlrev_b32_e32 v5, 16, v5
	v_mul_f32_e32 v5, v3, v5
.LBB239_10:                             ;   Parent Loop BB239_7 Depth=1
                                        ;     Parent Loop BB239_9 Depth=2
                                        ; =>    This Inner Loop Header: Depth=3
	s_waitcnt vmcnt(0)
	v_add_f32_e32 v8, v9, v5
	global_atomic_cmpswap v8, v[6:7], v[8:9], off glc
	s_waitcnt vmcnt(0)
	v_cmp_eq_u32_e32 vcc, v8, v9
	s_or_b64 s[28:29], vcc, s[28:29]
	v_mov_b32_e32 v9, v8
	s_andn2_b64 exec, exec, s[28:29]
	s_cbranch_execnz .LBB239_10
; %bb.11:                               ;   in Loop: Header=BB239_9 Depth=2
	s_or_b64 exec, exec, s[28:29]
	v_add_u32_e32 v4, 16, v4
	v_cmp_ge_i32_e32 vcc, v4, v13
	s_or_b64 s[26:27], vcc, s[26:27]
	s_andn2_b64 exec, exec, s[26:27]
	s_cbranch_execnz .LBB239_9
	s_branch .LBB239_6
.LBB239_12:
	s_or_b64 exec, exec, s[4:5]
	s_mov_b64 s[4:5], 0
.LBB239_13:
	s_andn2_b64 vcc, exec, s[4:5]
	s_cbranch_vccnz .LBB239_23
; %bb.14:
	s_and_saveexec_b64 s[4:5], s[0:1]
	s_cbranch_execz .LBB239_23
; %bb.15:
	v_subrev_u32_e32 v8, s2, v1
	s_mov_b64 s[0:1], 0
	v_mov_b32_e32 v9, s19
	v_mov_b32_e32 v10, s9
	s_branch .LBB239_17
.LBB239_16:                             ;   in Loop: Header=BB239_17 Depth=1
	s_or_b64 exec, exec, s[4:5]
	v_add_u32_e32 v0, s3, v0
	v_cmp_le_i32_e32 vcc, s21, v0
	s_or_b64 s[0:1], vcc, s[0:1]
	s_andn2_b64 exec, exec, s[0:1]
	s_cbranch_execz .LBB239_23
.LBB239_17:                             ; =>This Loop Header: Depth=1
                                        ;     Child Loop BB239_20 Depth 2
                                        ;       Child Loop BB239_22 Depth 3
	v_ashrrev_i32_e32 v1, 31, v0
	v_lshlrev_b64 v[2:3], 2, v[0:1]
	v_add_co_u32_e32 v4, vcc, s18, v2
	v_addc_co_u32_e32 v5, vcc, v9, v3, vcc
	v_add_co_u32_e32 v2, vcc, s8, v2
	v_addc_co_u32_e32 v3, vcc, v10, v3, vcc
	global_load_dword v6, v[2:3], off
	global_load_dword v7, v[4:5], off
	s_waitcnt vmcnt(1)
	v_subrev_u32_e32 v11, s2, v6
	s_waitcnt vmcnt(0)
	v_add_u32_e32 v2, v7, v8
	v_cmp_lt_i32_e32 vcc, v2, v11
	s_and_saveexec_b64 s[4:5], vcc
	s_cbranch_execz .LBB239_16
; %bb.18:                               ;   in Loop: Header=BB239_17 Depth=1
	v_lshlrev_b64 v[4:5], 1, v[0:1]
	v_mov_b32_e32 v1, s15
	v_add_co_u32_e32 v4, vcc, s14, v4
	v_addc_co_u32_e32 v5, vcc, v1, v5, vcc
	global_load_ushort v1, v[4:5], off
	s_mov_b64 s[6:7], 0
	s_waitcnt vmcnt(0)
	v_lshlrev_b32_e32 v1, 16, v1
	v_mul_f32_e32 v1, s16, v1
	s_branch .LBB239_20
.LBB239_19:                             ;   in Loop: Header=BB239_20 Depth=2
	s_or_b64 exec, exec, s[24:25]
	v_add_u32_e32 v2, 16, v2
	v_cmp_ge_i32_e32 vcc, v2, v11
	s_or_b64 s[6:7], vcc, s[6:7]
	s_andn2_b64 exec, exec, s[6:7]
	s_cbranch_execz .LBB239_16
.LBB239_20:                             ;   Parent Loop BB239_17 Depth=1
                                        ; =>  This Loop Header: Depth=2
                                        ;       Child Loop BB239_22 Depth 3
	v_ashrrev_i32_e32 v3, 31, v2
	v_lshlrev_b64 v[4:5], 2, v[2:3]
	v_mov_b32_e32 v6, s11
	v_add_co_u32_e32 v4, vcc, s10, v4
	v_addc_co_u32_e32 v5, vcc, v6, v5, vcc
	global_load_dword v4, v[4:5], off
	s_waitcnt vmcnt(0)
	v_subrev_u32_e32 v4, s2, v4
	v_cmp_ne_u32_e32 vcc, v4, v0
	s_and_saveexec_b64 s[24:25], vcc
	s_cbranch_execz .LBB239_19
; %bb.21:                               ;   in Loop: Header=BB239_20 Depth=2
	v_lshlrev_b64 v[6:7], 1, v[2:3]
	v_mov_b32_e32 v3, s13
	v_add_co_u32_e32 v6, vcc, s12, v6
	v_ashrrev_i32_e32 v5, 31, v4
	v_addc_co_u32_e32 v7, vcc, v3, v7, vcc
	v_lshlrev_b64 v[4:5], 2, v[4:5]
	v_mov_b32_e32 v3, s23
	global_load_ushort v6, v[6:7], off
	v_add_co_u32_e32 v4, vcc, s22, v4
	v_addc_co_u32_e32 v5, vcc, v3, v5, vcc
	global_load_dword v7, v[4:5], off
	s_mov_b64 s[26:27], 0
	s_waitcnt vmcnt(1)
	v_lshlrev_b32_e32 v3, 16, v6
	v_mul_f32_e32 v3, v1, v3
.LBB239_22:                             ;   Parent Loop BB239_17 Depth=1
                                        ;     Parent Loop BB239_20 Depth=2
                                        ; =>    This Inner Loop Header: Depth=3
	s_waitcnt vmcnt(0)
	v_add_f32_e32 v6, v7, v3
	global_atomic_cmpswap v6, v[4:5], v[6:7], off glc
	s_waitcnt vmcnt(0)
	v_cmp_eq_u32_e32 vcc, v6, v7
	s_or_b64 s[26:27], vcc, s[26:27]
	v_mov_b32_e32 v7, v6
	s_andn2_b64 exec, exec, s[26:27]
	s_cbranch_execnz .LBB239_22
	s_branch .LBB239_19
.LBB239_23:
	s_endpgm
	.section	.rodata,"a",@progbits
	.p2align	6, 0x0
	.amdhsa_kernel _ZN9rocsparseL21csrmvt_general_kernelILj256ELj16Eii18rocsparse_bfloat16S1_ffEEvbbT2_NS_24const_host_device_scalarIT6_EEPKT1_S8_PKS2_PKT3_PKT4_PT5_21rocsparse_index_base_b
		.amdhsa_group_segment_fixed_size 0
		.amdhsa_private_segment_fixed_size 0
		.amdhsa_kernarg_size 328
		.amdhsa_user_sgpr_count 6
		.amdhsa_user_sgpr_private_segment_buffer 1
		.amdhsa_user_sgpr_dispatch_ptr 0
		.amdhsa_user_sgpr_queue_ptr 0
		.amdhsa_user_sgpr_kernarg_segment_ptr 1
		.amdhsa_user_sgpr_dispatch_id 0
		.amdhsa_user_sgpr_flat_scratch_init 0
		.amdhsa_user_sgpr_kernarg_preload_length 0
		.amdhsa_user_sgpr_kernarg_preload_offset 0
		.amdhsa_user_sgpr_private_segment_size 0
		.amdhsa_uses_dynamic_stack 0
		.amdhsa_system_sgpr_private_segment_wavefront_offset 0
		.amdhsa_system_sgpr_workgroup_id_x 1
		.amdhsa_system_sgpr_workgroup_id_y 0
		.amdhsa_system_sgpr_workgroup_id_z 0
		.amdhsa_system_sgpr_workgroup_info 0
		.amdhsa_system_vgpr_workitem_id 0
		.amdhsa_next_free_vgpr 15
		.amdhsa_next_free_sgpr 30
		.amdhsa_accum_offset 16
		.amdhsa_reserve_vcc 1
		.amdhsa_reserve_flat_scratch 0
		.amdhsa_float_round_mode_32 0
		.amdhsa_float_round_mode_16_64 0
		.amdhsa_float_denorm_mode_32 3
		.amdhsa_float_denorm_mode_16_64 3
		.amdhsa_dx10_clamp 1
		.amdhsa_ieee_mode 1
		.amdhsa_fp16_overflow 0
		.amdhsa_tg_split 0
		.amdhsa_exception_fp_ieee_invalid_op 0
		.amdhsa_exception_fp_denorm_src 0
		.amdhsa_exception_fp_ieee_div_zero 0
		.amdhsa_exception_fp_ieee_overflow 0
		.amdhsa_exception_fp_ieee_underflow 0
		.amdhsa_exception_fp_ieee_inexact 0
		.amdhsa_exception_int_div_zero 0
	.end_amdhsa_kernel
	.section	.text._ZN9rocsparseL21csrmvt_general_kernelILj256ELj16Eii18rocsparse_bfloat16S1_ffEEvbbT2_NS_24const_host_device_scalarIT6_EEPKT1_S8_PKS2_PKT3_PKT4_PT5_21rocsparse_index_base_b,"axG",@progbits,_ZN9rocsparseL21csrmvt_general_kernelILj256ELj16Eii18rocsparse_bfloat16S1_ffEEvbbT2_NS_24const_host_device_scalarIT6_EEPKT1_S8_PKS2_PKT3_PKT4_PT5_21rocsparse_index_base_b,comdat
.Lfunc_end239:
	.size	_ZN9rocsparseL21csrmvt_general_kernelILj256ELj16Eii18rocsparse_bfloat16S1_ffEEvbbT2_NS_24const_host_device_scalarIT6_EEPKT1_S8_PKS2_PKT3_PKT4_PT5_21rocsparse_index_base_b, .Lfunc_end239-_ZN9rocsparseL21csrmvt_general_kernelILj256ELj16Eii18rocsparse_bfloat16S1_ffEEvbbT2_NS_24const_host_device_scalarIT6_EEPKT1_S8_PKS2_PKT3_PKT4_PT5_21rocsparse_index_base_b
                                        ; -- End function
	.section	.AMDGPU.csdata,"",@progbits
; Kernel info:
; codeLenInByte = 888
; NumSgprs: 34
; NumVgprs: 15
; NumAgprs: 0
; TotalNumVgprs: 15
; ScratchSize: 0
; MemoryBound: 0
; FloatMode: 240
; IeeeMode: 1
; LDSByteSize: 0 bytes/workgroup (compile time only)
; SGPRBlocks: 4
; VGPRBlocks: 1
; NumSGPRsForWavesPerEU: 34
; NumVGPRsForWavesPerEU: 15
; AccumOffset: 16
; Occupancy: 8
; WaveLimiterHint : 1
; COMPUTE_PGM_RSRC2:SCRATCH_EN: 0
; COMPUTE_PGM_RSRC2:USER_SGPR: 6
; COMPUTE_PGM_RSRC2:TRAP_HANDLER: 0
; COMPUTE_PGM_RSRC2:TGID_X_EN: 1
; COMPUTE_PGM_RSRC2:TGID_Y_EN: 0
; COMPUTE_PGM_RSRC2:TGID_Z_EN: 0
; COMPUTE_PGM_RSRC2:TIDIG_COMP_CNT: 0
; COMPUTE_PGM_RSRC3_GFX90A:ACCUM_OFFSET: 3
; COMPUTE_PGM_RSRC3_GFX90A:TG_SPLIT: 0
	.section	.text._ZN9rocsparseL21csrmvt_general_kernelILj256ELj32Eii18rocsparse_bfloat16S1_ffEEvbbT2_NS_24const_host_device_scalarIT6_EEPKT1_S8_PKS2_PKT3_PKT4_PT5_21rocsparse_index_base_b,"axG",@progbits,_ZN9rocsparseL21csrmvt_general_kernelILj256ELj32Eii18rocsparse_bfloat16S1_ffEEvbbT2_NS_24const_host_device_scalarIT6_EEPKT1_S8_PKS2_PKT3_PKT4_PT5_21rocsparse_index_base_b,comdat
	.globl	_ZN9rocsparseL21csrmvt_general_kernelILj256ELj32Eii18rocsparse_bfloat16S1_ffEEvbbT2_NS_24const_host_device_scalarIT6_EEPKT1_S8_PKS2_PKT3_PKT4_PT5_21rocsparse_index_base_b ; -- Begin function _ZN9rocsparseL21csrmvt_general_kernelILj256ELj32Eii18rocsparse_bfloat16S1_ffEEvbbT2_NS_24const_host_device_scalarIT6_EEPKT1_S8_PKS2_PKT3_PKT4_PT5_21rocsparse_index_base_b
	.p2align	8
	.type	_ZN9rocsparseL21csrmvt_general_kernelILj256ELj32Eii18rocsparse_bfloat16S1_ffEEvbbT2_NS_24const_host_device_scalarIT6_EEPKT1_S8_PKS2_PKT3_PKT4_PT5_21rocsparse_index_base_b,@function
_ZN9rocsparseL21csrmvt_general_kernelILj256ELj32Eii18rocsparse_bfloat16S1_ffEEvbbT2_NS_24const_host_device_scalarIT6_EEPKT1_S8_PKS2_PKT3_PKT4_PT5_21rocsparse_index_base_b: ; @_ZN9rocsparseL21csrmvt_general_kernelILj256ELj32Eii18rocsparse_bfloat16S1_ffEEvbbT2_NS_24const_host_device_scalarIT6_EEPKT1_S8_PKS2_PKT3_PKT4_PT5_21rocsparse_index_base_b
; %bb.0:
	s_load_dwordx2 s[2:3], s[4:5], 0x40
	s_load_dwordx4 s[16:19], s[4:5], 0x8
	s_waitcnt lgkmcnt(0)
	s_bitcmp1_b32 s3, 0
	s_cselect_b64 s[0:1], -1, 0
	s_and_b64 vcc, exec, s[0:1]
	s_cbranch_vccnz .LBB240_2
; %bb.1:
	s_load_dword s16, s[16:17], 0x0
.LBB240_2:
	s_waitcnt lgkmcnt(0)
	v_cmp_eq_f32_e64 s[0:1], s16, 0
	s_and_b64 vcc, exec, s[0:1]
	s_cbranch_vccnz .LBB240_23
; %bb.3:
	s_load_dwordx2 s[20:21], s[4:5], 0x0
	s_load_dword s0, s[4:5], 0x48
	s_load_dwordx2 s[22:23], s[4:5], 0x38
	s_load_dwordx8 s[8:15], s[4:5], 0x18
	v_and_b32_e32 v1, 31, v0
	v_lshl_or_b32 v0, s6, 8, v0
	s_waitcnt lgkmcnt(0)
	s_and_b32 s1, s20, 1
	s_lshl_b32 s3, s0, 3
	v_lshrrev_b32_e32 v0, 5, v0
	s_cmp_eq_u32 s1, 0
	v_cmp_gt_i32_e64 s[0:1], s21, v0
	s_mov_b64 s[4:5], -1
	s_cbranch_scc0 .LBB240_13
; %bb.4:
	s_and_saveexec_b64 s[4:5], s[0:1]
	s_cbranch_execz .LBB240_12
; %bb.5:
	v_subrev_u32_e32 v10, s2, v1
	s_mov_b64 s[6:7], 0
	v_mov_b32_e32 v11, s19
	v_mov_b32_e32 v12, s9
	;; [unrolled: 1-line block ×3, first 2 shown]
	s_branch .LBB240_7
.LBB240_6:                              ;   in Loop: Header=BB240_7 Depth=1
	s_or_b64 exec, exec, s[24:25]
	v_add_u32_e32 v2, s3, v2
	v_cmp_le_i32_e32 vcc, s21, v2
	s_or_b64 s[6:7], vcc, s[6:7]
	s_andn2_b64 exec, exec, s[6:7]
	s_cbranch_execz .LBB240_12
.LBB240_7:                              ; =>This Loop Header: Depth=1
                                        ;     Child Loop BB240_9 Depth 2
                                        ;       Child Loop BB240_10 Depth 3
	v_ashrrev_i32_e32 v3, 31, v2
	v_lshlrev_b64 v[4:5], 2, v[2:3]
	v_add_co_u32_e32 v6, vcc, s18, v4
	v_addc_co_u32_e32 v7, vcc, v11, v5, vcc
	v_add_co_u32_e32 v4, vcc, s8, v4
	v_addc_co_u32_e32 v5, vcc, v12, v5, vcc
	global_load_dword v8, v[4:5], off
	global_load_dword v9, v[6:7], off
	s_waitcnt vmcnt(1)
	v_subrev_u32_e32 v13, s2, v8
	s_waitcnt vmcnt(0)
	v_add_u32_e32 v4, v9, v10
	v_cmp_lt_i32_e32 vcc, v4, v13
	s_and_saveexec_b64 s[24:25], vcc
	s_cbranch_execz .LBB240_6
; %bb.8:                                ;   in Loop: Header=BB240_7 Depth=1
	v_lshlrev_b64 v[6:7], 1, v[2:3]
	v_mov_b32_e32 v3, s15
	v_add_co_u32_e32 v6, vcc, s14, v6
	v_addc_co_u32_e32 v7, vcc, v3, v7, vcc
	global_load_ushort v3, v[6:7], off
	s_mov_b64 s[26:27], 0
	s_waitcnt vmcnt(0)
	v_lshlrev_b32_e32 v3, 16, v3
	v_mul_f32_e32 v3, s16, v3
.LBB240_9:                              ;   Parent Loop BB240_7 Depth=1
                                        ; =>  This Loop Header: Depth=2
                                        ;       Child Loop BB240_10 Depth 3
	v_ashrrev_i32_e32 v5, 31, v4
	v_lshlrev_b64 v[6:7], 2, v[4:5]
	v_mov_b32_e32 v8, s11
	v_add_co_u32_e32 v6, vcc, s10, v6
	v_addc_co_u32_e32 v7, vcc, v8, v7, vcc
	global_load_dword v8, v[6:7], off
	v_lshlrev_b64 v[6:7], 1, v[4:5]
	v_mov_b32_e32 v9, s13
	v_add_co_u32_e32 v6, vcc, s12, v6
	v_addc_co_u32_e32 v7, vcc, v9, v7, vcc
	global_load_ushort v5, v[6:7], off
	v_mov_b32_e32 v14, s23
	s_mov_b64 s[28:29], 0
	s_waitcnt vmcnt(1)
	v_subrev_u32_e32 v6, s2, v8
	v_ashrrev_i32_e32 v7, 31, v6
	v_lshlrev_b64 v[6:7], 2, v[6:7]
	v_add_co_u32_e32 v6, vcc, s22, v6
	v_addc_co_u32_e32 v7, vcc, v14, v7, vcc
	global_load_dword v9, v[6:7], off
	s_waitcnt vmcnt(1)
	v_lshlrev_b32_e32 v5, 16, v5
	v_mul_f32_e32 v5, v3, v5
.LBB240_10:                             ;   Parent Loop BB240_7 Depth=1
                                        ;     Parent Loop BB240_9 Depth=2
                                        ; =>    This Inner Loop Header: Depth=3
	s_waitcnt vmcnt(0)
	v_add_f32_e32 v8, v9, v5
	global_atomic_cmpswap v8, v[6:7], v[8:9], off glc
	s_waitcnt vmcnt(0)
	v_cmp_eq_u32_e32 vcc, v8, v9
	s_or_b64 s[28:29], vcc, s[28:29]
	v_mov_b32_e32 v9, v8
	s_andn2_b64 exec, exec, s[28:29]
	s_cbranch_execnz .LBB240_10
; %bb.11:                               ;   in Loop: Header=BB240_9 Depth=2
	s_or_b64 exec, exec, s[28:29]
	v_add_u32_e32 v4, 32, v4
	v_cmp_ge_i32_e32 vcc, v4, v13
	s_or_b64 s[26:27], vcc, s[26:27]
	s_andn2_b64 exec, exec, s[26:27]
	s_cbranch_execnz .LBB240_9
	s_branch .LBB240_6
.LBB240_12:
	s_or_b64 exec, exec, s[4:5]
	s_mov_b64 s[4:5], 0
.LBB240_13:
	s_andn2_b64 vcc, exec, s[4:5]
	s_cbranch_vccnz .LBB240_23
; %bb.14:
	s_and_saveexec_b64 s[4:5], s[0:1]
	s_cbranch_execz .LBB240_23
; %bb.15:
	v_subrev_u32_e32 v8, s2, v1
	s_mov_b64 s[0:1], 0
	v_mov_b32_e32 v9, s19
	v_mov_b32_e32 v10, s9
	s_branch .LBB240_17
.LBB240_16:                             ;   in Loop: Header=BB240_17 Depth=1
	s_or_b64 exec, exec, s[4:5]
	v_add_u32_e32 v0, s3, v0
	v_cmp_le_i32_e32 vcc, s21, v0
	s_or_b64 s[0:1], vcc, s[0:1]
	s_andn2_b64 exec, exec, s[0:1]
	s_cbranch_execz .LBB240_23
.LBB240_17:                             ; =>This Loop Header: Depth=1
                                        ;     Child Loop BB240_20 Depth 2
                                        ;       Child Loop BB240_22 Depth 3
	v_ashrrev_i32_e32 v1, 31, v0
	v_lshlrev_b64 v[2:3], 2, v[0:1]
	v_add_co_u32_e32 v4, vcc, s18, v2
	v_addc_co_u32_e32 v5, vcc, v9, v3, vcc
	v_add_co_u32_e32 v2, vcc, s8, v2
	v_addc_co_u32_e32 v3, vcc, v10, v3, vcc
	global_load_dword v6, v[2:3], off
	global_load_dword v7, v[4:5], off
	s_waitcnt vmcnt(1)
	v_subrev_u32_e32 v11, s2, v6
	s_waitcnt vmcnt(0)
	v_add_u32_e32 v2, v7, v8
	v_cmp_lt_i32_e32 vcc, v2, v11
	s_and_saveexec_b64 s[4:5], vcc
	s_cbranch_execz .LBB240_16
; %bb.18:                               ;   in Loop: Header=BB240_17 Depth=1
	v_lshlrev_b64 v[4:5], 1, v[0:1]
	v_mov_b32_e32 v1, s15
	v_add_co_u32_e32 v4, vcc, s14, v4
	v_addc_co_u32_e32 v5, vcc, v1, v5, vcc
	global_load_ushort v1, v[4:5], off
	s_mov_b64 s[6:7], 0
	s_waitcnt vmcnt(0)
	v_lshlrev_b32_e32 v1, 16, v1
	v_mul_f32_e32 v1, s16, v1
	s_branch .LBB240_20
.LBB240_19:                             ;   in Loop: Header=BB240_20 Depth=2
	s_or_b64 exec, exec, s[24:25]
	v_add_u32_e32 v2, 32, v2
	v_cmp_ge_i32_e32 vcc, v2, v11
	s_or_b64 s[6:7], vcc, s[6:7]
	s_andn2_b64 exec, exec, s[6:7]
	s_cbranch_execz .LBB240_16
.LBB240_20:                             ;   Parent Loop BB240_17 Depth=1
                                        ; =>  This Loop Header: Depth=2
                                        ;       Child Loop BB240_22 Depth 3
	v_ashrrev_i32_e32 v3, 31, v2
	v_lshlrev_b64 v[4:5], 2, v[2:3]
	v_mov_b32_e32 v6, s11
	v_add_co_u32_e32 v4, vcc, s10, v4
	v_addc_co_u32_e32 v5, vcc, v6, v5, vcc
	global_load_dword v4, v[4:5], off
	s_waitcnt vmcnt(0)
	v_subrev_u32_e32 v4, s2, v4
	v_cmp_ne_u32_e32 vcc, v4, v0
	s_and_saveexec_b64 s[24:25], vcc
	s_cbranch_execz .LBB240_19
; %bb.21:                               ;   in Loop: Header=BB240_20 Depth=2
	v_lshlrev_b64 v[6:7], 1, v[2:3]
	v_mov_b32_e32 v3, s13
	v_add_co_u32_e32 v6, vcc, s12, v6
	v_ashrrev_i32_e32 v5, 31, v4
	v_addc_co_u32_e32 v7, vcc, v3, v7, vcc
	v_lshlrev_b64 v[4:5], 2, v[4:5]
	v_mov_b32_e32 v3, s23
	global_load_ushort v6, v[6:7], off
	v_add_co_u32_e32 v4, vcc, s22, v4
	v_addc_co_u32_e32 v5, vcc, v3, v5, vcc
	global_load_dword v7, v[4:5], off
	s_mov_b64 s[26:27], 0
	s_waitcnt vmcnt(1)
	v_lshlrev_b32_e32 v3, 16, v6
	v_mul_f32_e32 v3, v1, v3
.LBB240_22:                             ;   Parent Loop BB240_17 Depth=1
                                        ;     Parent Loop BB240_20 Depth=2
                                        ; =>    This Inner Loop Header: Depth=3
	s_waitcnt vmcnt(0)
	v_add_f32_e32 v6, v7, v3
	global_atomic_cmpswap v6, v[4:5], v[6:7], off glc
	s_waitcnt vmcnt(0)
	v_cmp_eq_u32_e32 vcc, v6, v7
	s_or_b64 s[26:27], vcc, s[26:27]
	v_mov_b32_e32 v7, v6
	s_andn2_b64 exec, exec, s[26:27]
	s_cbranch_execnz .LBB240_22
	s_branch .LBB240_19
.LBB240_23:
	s_endpgm
	.section	.rodata,"a",@progbits
	.p2align	6, 0x0
	.amdhsa_kernel _ZN9rocsparseL21csrmvt_general_kernelILj256ELj32Eii18rocsparse_bfloat16S1_ffEEvbbT2_NS_24const_host_device_scalarIT6_EEPKT1_S8_PKS2_PKT3_PKT4_PT5_21rocsparse_index_base_b
		.amdhsa_group_segment_fixed_size 0
		.amdhsa_private_segment_fixed_size 0
		.amdhsa_kernarg_size 328
		.amdhsa_user_sgpr_count 6
		.amdhsa_user_sgpr_private_segment_buffer 1
		.amdhsa_user_sgpr_dispatch_ptr 0
		.amdhsa_user_sgpr_queue_ptr 0
		.amdhsa_user_sgpr_kernarg_segment_ptr 1
		.amdhsa_user_sgpr_dispatch_id 0
		.amdhsa_user_sgpr_flat_scratch_init 0
		.amdhsa_user_sgpr_kernarg_preload_length 0
		.amdhsa_user_sgpr_kernarg_preload_offset 0
		.amdhsa_user_sgpr_private_segment_size 0
		.amdhsa_uses_dynamic_stack 0
		.amdhsa_system_sgpr_private_segment_wavefront_offset 0
		.amdhsa_system_sgpr_workgroup_id_x 1
		.amdhsa_system_sgpr_workgroup_id_y 0
		.amdhsa_system_sgpr_workgroup_id_z 0
		.amdhsa_system_sgpr_workgroup_info 0
		.amdhsa_system_vgpr_workitem_id 0
		.amdhsa_next_free_vgpr 15
		.amdhsa_next_free_sgpr 30
		.amdhsa_accum_offset 16
		.amdhsa_reserve_vcc 1
		.amdhsa_reserve_flat_scratch 0
		.amdhsa_float_round_mode_32 0
		.amdhsa_float_round_mode_16_64 0
		.amdhsa_float_denorm_mode_32 3
		.amdhsa_float_denorm_mode_16_64 3
		.amdhsa_dx10_clamp 1
		.amdhsa_ieee_mode 1
		.amdhsa_fp16_overflow 0
		.amdhsa_tg_split 0
		.amdhsa_exception_fp_ieee_invalid_op 0
		.amdhsa_exception_fp_denorm_src 0
		.amdhsa_exception_fp_ieee_div_zero 0
		.amdhsa_exception_fp_ieee_overflow 0
		.amdhsa_exception_fp_ieee_underflow 0
		.amdhsa_exception_fp_ieee_inexact 0
		.amdhsa_exception_int_div_zero 0
	.end_amdhsa_kernel
	.section	.text._ZN9rocsparseL21csrmvt_general_kernelILj256ELj32Eii18rocsparse_bfloat16S1_ffEEvbbT2_NS_24const_host_device_scalarIT6_EEPKT1_S8_PKS2_PKT3_PKT4_PT5_21rocsparse_index_base_b,"axG",@progbits,_ZN9rocsparseL21csrmvt_general_kernelILj256ELj32Eii18rocsparse_bfloat16S1_ffEEvbbT2_NS_24const_host_device_scalarIT6_EEPKT1_S8_PKS2_PKT3_PKT4_PT5_21rocsparse_index_base_b,comdat
.Lfunc_end240:
	.size	_ZN9rocsparseL21csrmvt_general_kernelILj256ELj32Eii18rocsparse_bfloat16S1_ffEEvbbT2_NS_24const_host_device_scalarIT6_EEPKT1_S8_PKS2_PKT3_PKT4_PT5_21rocsparse_index_base_b, .Lfunc_end240-_ZN9rocsparseL21csrmvt_general_kernelILj256ELj32Eii18rocsparse_bfloat16S1_ffEEvbbT2_NS_24const_host_device_scalarIT6_EEPKT1_S8_PKS2_PKT3_PKT4_PT5_21rocsparse_index_base_b
                                        ; -- End function
	.section	.AMDGPU.csdata,"",@progbits
; Kernel info:
; codeLenInByte = 888
; NumSgprs: 34
; NumVgprs: 15
; NumAgprs: 0
; TotalNumVgprs: 15
; ScratchSize: 0
; MemoryBound: 0
; FloatMode: 240
; IeeeMode: 1
; LDSByteSize: 0 bytes/workgroup (compile time only)
; SGPRBlocks: 4
; VGPRBlocks: 1
; NumSGPRsForWavesPerEU: 34
; NumVGPRsForWavesPerEU: 15
; AccumOffset: 16
; Occupancy: 8
; WaveLimiterHint : 1
; COMPUTE_PGM_RSRC2:SCRATCH_EN: 0
; COMPUTE_PGM_RSRC2:USER_SGPR: 6
; COMPUTE_PGM_RSRC2:TRAP_HANDLER: 0
; COMPUTE_PGM_RSRC2:TGID_X_EN: 1
; COMPUTE_PGM_RSRC2:TGID_Y_EN: 0
; COMPUTE_PGM_RSRC2:TGID_Z_EN: 0
; COMPUTE_PGM_RSRC2:TIDIG_COMP_CNT: 0
; COMPUTE_PGM_RSRC3_GFX90A:ACCUM_OFFSET: 3
; COMPUTE_PGM_RSRC3_GFX90A:TG_SPLIT: 0
	.section	.text._ZN9rocsparseL21csrmvt_general_kernelILj256ELj64Eii18rocsparse_bfloat16S1_ffEEvbbT2_NS_24const_host_device_scalarIT6_EEPKT1_S8_PKS2_PKT3_PKT4_PT5_21rocsparse_index_base_b,"axG",@progbits,_ZN9rocsparseL21csrmvt_general_kernelILj256ELj64Eii18rocsparse_bfloat16S1_ffEEvbbT2_NS_24const_host_device_scalarIT6_EEPKT1_S8_PKS2_PKT3_PKT4_PT5_21rocsparse_index_base_b,comdat
	.globl	_ZN9rocsparseL21csrmvt_general_kernelILj256ELj64Eii18rocsparse_bfloat16S1_ffEEvbbT2_NS_24const_host_device_scalarIT6_EEPKT1_S8_PKS2_PKT3_PKT4_PT5_21rocsparse_index_base_b ; -- Begin function _ZN9rocsparseL21csrmvt_general_kernelILj256ELj64Eii18rocsparse_bfloat16S1_ffEEvbbT2_NS_24const_host_device_scalarIT6_EEPKT1_S8_PKS2_PKT3_PKT4_PT5_21rocsparse_index_base_b
	.p2align	8
	.type	_ZN9rocsparseL21csrmvt_general_kernelILj256ELj64Eii18rocsparse_bfloat16S1_ffEEvbbT2_NS_24const_host_device_scalarIT6_EEPKT1_S8_PKS2_PKT3_PKT4_PT5_21rocsparse_index_base_b,@function
_ZN9rocsparseL21csrmvt_general_kernelILj256ELj64Eii18rocsparse_bfloat16S1_ffEEvbbT2_NS_24const_host_device_scalarIT6_EEPKT1_S8_PKS2_PKT3_PKT4_PT5_21rocsparse_index_base_b: ; @_ZN9rocsparseL21csrmvt_general_kernelILj256ELj64Eii18rocsparse_bfloat16S1_ffEEvbbT2_NS_24const_host_device_scalarIT6_EEPKT1_S8_PKS2_PKT3_PKT4_PT5_21rocsparse_index_base_b
; %bb.0:
	s_load_dwordx2 s[2:3], s[4:5], 0x40
	s_load_dwordx4 s[16:19], s[4:5], 0x8
	s_waitcnt lgkmcnt(0)
	s_bitcmp1_b32 s3, 0
	s_cselect_b64 s[0:1], -1, 0
	s_and_b64 vcc, exec, s[0:1]
	s_cbranch_vccnz .LBB241_2
; %bb.1:
	s_load_dword s16, s[16:17], 0x0
.LBB241_2:
	s_waitcnt lgkmcnt(0)
	v_cmp_eq_f32_e64 s[0:1], s16, 0
	s_and_b64 vcc, exec, s[0:1]
	s_cbranch_vccnz .LBB241_23
; %bb.3:
	s_load_dwordx2 s[20:21], s[4:5], 0x0
	s_load_dword s0, s[4:5], 0x48
	s_load_dwordx2 s[22:23], s[4:5], 0x38
	s_load_dwordx8 s[8:15], s[4:5], 0x18
	v_and_b32_e32 v1, 63, v0
	v_lshl_or_b32 v0, s6, 8, v0
	s_waitcnt lgkmcnt(0)
	s_and_b32 s1, s20, 1
	s_lshl_b32 s3, s0, 2
	v_lshrrev_b32_e32 v0, 6, v0
	s_cmp_eq_u32 s1, 0
	v_cmp_gt_i32_e64 s[0:1], s21, v0
	s_mov_b64 s[4:5], -1
	s_cbranch_scc0 .LBB241_13
; %bb.4:
	s_and_saveexec_b64 s[4:5], s[0:1]
	s_cbranch_execz .LBB241_12
; %bb.5:
	v_subrev_u32_e32 v10, s2, v1
	s_mov_b64 s[6:7], 0
	v_mov_b32_e32 v11, s19
	v_mov_b32_e32 v12, s9
	;; [unrolled: 1-line block ×3, first 2 shown]
	s_branch .LBB241_7
.LBB241_6:                              ;   in Loop: Header=BB241_7 Depth=1
	s_or_b64 exec, exec, s[24:25]
	v_add_u32_e32 v2, s3, v2
	v_cmp_le_i32_e32 vcc, s21, v2
	s_or_b64 s[6:7], vcc, s[6:7]
	s_andn2_b64 exec, exec, s[6:7]
	s_cbranch_execz .LBB241_12
.LBB241_7:                              ; =>This Loop Header: Depth=1
                                        ;     Child Loop BB241_9 Depth 2
                                        ;       Child Loop BB241_10 Depth 3
	v_ashrrev_i32_e32 v3, 31, v2
	v_lshlrev_b64 v[4:5], 2, v[2:3]
	v_add_co_u32_e32 v6, vcc, s18, v4
	v_addc_co_u32_e32 v7, vcc, v11, v5, vcc
	v_add_co_u32_e32 v4, vcc, s8, v4
	v_addc_co_u32_e32 v5, vcc, v12, v5, vcc
	global_load_dword v8, v[4:5], off
	global_load_dword v9, v[6:7], off
	s_waitcnt vmcnt(1)
	v_subrev_u32_e32 v13, s2, v8
	s_waitcnt vmcnt(0)
	v_add_u32_e32 v4, v9, v10
	v_cmp_lt_i32_e32 vcc, v4, v13
	s_and_saveexec_b64 s[24:25], vcc
	s_cbranch_execz .LBB241_6
; %bb.8:                                ;   in Loop: Header=BB241_7 Depth=1
	v_lshlrev_b64 v[6:7], 1, v[2:3]
	v_mov_b32_e32 v3, s15
	v_add_co_u32_e32 v6, vcc, s14, v6
	v_addc_co_u32_e32 v7, vcc, v3, v7, vcc
	global_load_ushort v3, v[6:7], off
	s_mov_b64 s[26:27], 0
	s_waitcnt vmcnt(0)
	v_lshlrev_b32_e32 v3, 16, v3
	v_mul_f32_e32 v3, s16, v3
.LBB241_9:                              ;   Parent Loop BB241_7 Depth=1
                                        ; =>  This Loop Header: Depth=2
                                        ;       Child Loop BB241_10 Depth 3
	v_ashrrev_i32_e32 v5, 31, v4
	v_lshlrev_b64 v[6:7], 2, v[4:5]
	v_mov_b32_e32 v8, s11
	v_add_co_u32_e32 v6, vcc, s10, v6
	v_addc_co_u32_e32 v7, vcc, v8, v7, vcc
	global_load_dword v8, v[6:7], off
	v_lshlrev_b64 v[6:7], 1, v[4:5]
	v_mov_b32_e32 v9, s13
	v_add_co_u32_e32 v6, vcc, s12, v6
	v_addc_co_u32_e32 v7, vcc, v9, v7, vcc
	global_load_ushort v5, v[6:7], off
	v_mov_b32_e32 v14, s23
	s_mov_b64 s[28:29], 0
	s_waitcnt vmcnt(1)
	v_subrev_u32_e32 v6, s2, v8
	v_ashrrev_i32_e32 v7, 31, v6
	v_lshlrev_b64 v[6:7], 2, v[6:7]
	v_add_co_u32_e32 v6, vcc, s22, v6
	v_addc_co_u32_e32 v7, vcc, v14, v7, vcc
	global_load_dword v9, v[6:7], off
	s_waitcnt vmcnt(1)
	v_lshlrev_b32_e32 v5, 16, v5
	v_mul_f32_e32 v5, v3, v5
.LBB241_10:                             ;   Parent Loop BB241_7 Depth=1
                                        ;     Parent Loop BB241_9 Depth=2
                                        ; =>    This Inner Loop Header: Depth=3
	s_waitcnt vmcnt(0)
	v_add_f32_e32 v8, v9, v5
	global_atomic_cmpswap v8, v[6:7], v[8:9], off glc
	s_waitcnt vmcnt(0)
	v_cmp_eq_u32_e32 vcc, v8, v9
	s_or_b64 s[28:29], vcc, s[28:29]
	v_mov_b32_e32 v9, v8
	s_andn2_b64 exec, exec, s[28:29]
	s_cbranch_execnz .LBB241_10
; %bb.11:                               ;   in Loop: Header=BB241_9 Depth=2
	s_or_b64 exec, exec, s[28:29]
	v_add_u32_e32 v4, 64, v4
	v_cmp_ge_i32_e32 vcc, v4, v13
	s_or_b64 s[26:27], vcc, s[26:27]
	s_andn2_b64 exec, exec, s[26:27]
	s_cbranch_execnz .LBB241_9
	s_branch .LBB241_6
.LBB241_12:
	s_or_b64 exec, exec, s[4:5]
	s_mov_b64 s[4:5], 0
.LBB241_13:
	s_andn2_b64 vcc, exec, s[4:5]
	s_cbranch_vccnz .LBB241_23
; %bb.14:
	s_and_saveexec_b64 s[4:5], s[0:1]
	s_cbranch_execz .LBB241_23
; %bb.15:
	v_subrev_u32_e32 v8, s2, v1
	s_mov_b64 s[0:1], 0
	v_mov_b32_e32 v9, s19
	v_mov_b32_e32 v10, s9
	s_branch .LBB241_17
.LBB241_16:                             ;   in Loop: Header=BB241_17 Depth=1
	s_or_b64 exec, exec, s[4:5]
	v_add_u32_e32 v0, s3, v0
	v_cmp_le_i32_e32 vcc, s21, v0
	s_or_b64 s[0:1], vcc, s[0:1]
	s_andn2_b64 exec, exec, s[0:1]
	s_cbranch_execz .LBB241_23
.LBB241_17:                             ; =>This Loop Header: Depth=1
                                        ;     Child Loop BB241_20 Depth 2
                                        ;       Child Loop BB241_22 Depth 3
	v_ashrrev_i32_e32 v1, 31, v0
	v_lshlrev_b64 v[2:3], 2, v[0:1]
	v_add_co_u32_e32 v4, vcc, s18, v2
	v_addc_co_u32_e32 v5, vcc, v9, v3, vcc
	v_add_co_u32_e32 v2, vcc, s8, v2
	v_addc_co_u32_e32 v3, vcc, v10, v3, vcc
	global_load_dword v6, v[2:3], off
	global_load_dword v7, v[4:5], off
	s_waitcnt vmcnt(1)
	v_subrev_u32_e32 v11, s2, v6
	s_waitcnt vmcnt(0)
	v_add_u32_e32 v2, v7, v8
	v_cmp_lt_i32_e32 vcc, v2, v11
	s_and_saveexec_b64 s[4:5], vcc
	s_cbranch_execz .LBB241_16
; %bb.18:                               ;   in Loop: Header=BB241_17 Depth=1
	v_lshlrev_b64 v[4:5], 1, v[0:1]
	v_mov_b32_e32 v1, s15
	v_add_co_u32_e32 v4, vcc, s14, v4
	v_addc_co_u32_e32 v5, vcc, v1, v5, vcc
	global_load_ushort v1, v[4:5], off
	s_mov_b64 s[6:7], 0
	s_waitcnt vmcnt(0)
	v_lshlrev_b32_e32 v1, 16, v1
	v_mul_f32_e32 v1, s16, v1
	s_branch .LBB241_20
.LBB241_19:                             ;   in Loop: Header=BB241_20 Depth=2
	s_or_b64 exec, exec, s[24:25]
	v_add_u32_e32 v2, 64, v2
	v_cmp_ge_i32_e32 vcc, v2, v11
	s_or_b64 s[6:7], vcc, s[6:7]
	s_andn2_b64 exec, exec, s[6:7]
	s_cbranch_execz .LBB241_16
.LBB241_20:                             ;   Parent Loop BB241_17 Depth=1
                                        ; =>  This Loop Header: Depth=2
                                        ;       Child Loop BB241_22 Depth 3
	v_ashrrev_i32_e32 v3, 31, v2
	v_lshlrev_b64 v[4:5], 2, v[2:3]
	v_mov_b32_e32 v6, s11
	v_add_co_u32_e32 v4, vcc, s10, v4
	v_addc_co_u32_e32 v5, vcc, v6, v5, vcc
	global_load_dword v4, v[4:5], off
	s_waitcnt vmcnt(0)
	v_subrev_u32_e32 v4, s2, v4
	v_cmp_ne_u32_e32 vcc, v4, v0
	s_and_saveexec_b64 s[24:25], vcc
	s_cbranch_execz .LBB241_19
; %bb.21:                               ;   in Loop: Header=BB241_20 Depth=2
	v_lshlrev_b64 v[6:7], 1, v[2:3]
	v_mov_b32_e32 v3, s13
	v_add_co_u32_e32 v6, vcc, s12, v6
	v_ashrrev_i32_e32 v5, 31, v4
	v_addc_co_u32_e32 v7, vcc, v3, v7, vcc
	v_lshlrev_b64 v[4:5], 2, v[4:5]
	v_mov_b32_e32 v3, s23
	global_load_ushort v6, v[6:7], off
	v_add_co_u32_e32 v4, vcc, s22, v4
	v_addc_co_u32_e32 v5, vcc, v3, v5, vcc
	global_load_dword v7, v[4:5], off
	s_mov_b64 s[26:27], 0
	s_waitcnt vmcnt(1)
	v_lshlrev_b32_e32 v3, 16, v6
	v_mul_f32_e32 v3, v1, v3
.LBB241_22:                             ;   Parent Loop BB241_17 Depth=1
                                        ;     Parent Loop BB241_20 Depth=2
                                        ; =>    This Inner Loop Header: Depth=3
	s_waitcnt vmcnt(0)
	v_add_f32_e32 v6, v7, v3
	global_atomic_cmpswap v6, v[4:5], v[6:7], off glc
	s_waitcnt vmcnt(0)
	v_cmp_eq_u32_e32 vcc, v6, v7
	s_or_b64 s[26:27], vcc, s[26:27]
	v_mov_b32_e32 v7, v6
	s_andn2_b64 exec, exec, s[26:27]
	s_cbranch_execnz .LBB241_22
	s_branch .LBB241_19
.LBB241_23:
	s_endpgm
	.section	.rodata,"a",@progbits
	.p2align	6, 0x0
	.amdhsa_kernel _ZN9rocsparseL21csrmvt_general_kernelILj256ELj64Eii18rocsparse_bfloat16S1_ffEEvbbT2_NS_24const_host_device_scalarIT6_EEPKT1_S8_PKS2_PKT3_PKT4_PT5_21rocsparse_index_base_b
		.amdhsa_group_segment_fixed_size 0
		.amdhsa_private_segment_fixed_size 0
		.amdhsa_kernarg_size 328
		.amdhsa_user_sgpr_count 6
		.amdhsa_user_sgpr_private_segment_buffer 1
		.amdhsa_user_sgpr_dispatch_ptr 0
		.amdhsa_user_sgpr_queue_ptr 0
		.amdhsa_user_sgpr_kernarg_segment_ptr 1
		.amdhsa_user_sgpr_dispatch_id 0
		.amdhsa_user_sgpr_flat_scratch_init 0
		.amdhsa_user_sgpr_kernarg_preload_length 0
		.amdhsa_user_sgpr_kernarg_preload_offset 0
		.amdhsa_user_sgpr_private_segment_size 0
		.amdhsa_uses_dynamic_stack 0
		.amdhsa_system_sgpr_private_segment_wavefront_offset 0
		.amdhsa_system_sgpr_workgroup_id_x 1
		.amdhsa_system_sgpr_workgroup_id_y 0
		.amdhsa_system_sgpr_workgroup_id_z 0
		.amdhsa_system_sgpr_workgroup_info 0
		.amdhsa_system_vgpr_workitem_id 0
		.amdhsa_next_free_vgpr 15
		.amdhsa_next_free_sgpr 30
		.amdhsa_accum_offset 16
		.amdhsa_reserve_vcc 1
		.amdhsa_reserve_flat_scratch 0
		.amdhsa_float_round_mode_32 0
		.amdhsa_float_round_mode_16_64 0
		.amdhsa_float_denorm_mode_32 3
		.amdhsa_float_denorm_mode_16_64 3
		.amdhsa_dx10_clamp 1
		.amdhsa_ieee_mode 1
		.amdhsa_fp16_overflow 0
		.amdhsa_tg_split 0
		.amdhsa_exception_fp_ieee_invalid_op 0
		.amdhsa_exception_fp_denorm_src 0
		.amdhsa_exception_fp_ieee_div_zero 0
		.amdhsa_exception_fp_ieee_overflow 0
		.amdhsa_exception_fp_ieee_underflow 0
		.amdhsa_exception_fp_ieee_inexact 0
		.amdhsa_exception_int_div_zero 0
	.end_amdhsa_kernel
	.section	.text._ZN9rocsparseL21csrmvt_general_kernelILj256ELj64Eii18rocsparse_bfloat16S1_ffEEvbbT2_NS_24const_host_device_scalarIT6_EEPKT1_S8_PKS2_PKT3_PKT4_PT5_21rocsparse_index_base_b,"axG",@progbits,_ZN9rocsparseL21csrmvt_general_kernelILj256ELj64Eii18rocsparse_bfloat16S1_ffEEvbbT2_NS_24const_host_device_scalarIT6_EEPKT1_S8_PKS2_PKT3_PKT4_PT5_21rocsparse_index_base_b,comdat
.Lfunc_end241:
	.size	_ZN9rocsparseL21csrmvt_general_kernelILj256ELj64Eii18rocsparse_bfloat16S1_ffEEvbbT2_NS_24const_host_device_scalarIT6_EEPKT1_S8_PKS2_PKT3_PKT4_PT5_21rocsparse_index_base_b, .Lfunc_end241-_ZN9rocsparseL21csrmvt_general_kernelILj256ELj64Eii18rocsparse_bfloat16S1_ffEEvbbT2_NS_24const_host_device_scalarIT6_EEPKT1_S8_PKS2_PKT3_PKT4_PT5_21rocsparse_index_base_b
                                        ; -- End function
	.section	.AMDGPU.csdata,"",@progbits
; Kernel info:
; codeLenInByte = 888
; NumSgprs: 34
; NumVgprs: 15
; NumAgprs: 0
; TotalNumVgprs: 15
; ScratchSize: 0
; MemoryBound: 0
; FloatMode: 240
; IeeeMode: 1
; LDSByteSize: 0 bytes/workgroup (compile time only)
; SGPRBlocks: 4
; VGPRBlocks: 1
; NumSGPRsForWavesPerEU: 34
; NumVGPRsForWavesPerEU: 15
; AccumOffset: 16
; Occupancy: 8
; WaveLimiterHint : 1
; COMPUTE_PGM_RSRC2:SCRATCH_EN: 0
; COMPUTE_PGM_RSRC2:USER_SGPR: 6
; COMPUTE_PGM_RSRC2:TRAP_HANDLER: 0
; COMPUTE_PGM_RSRC2:TGID_X_EN: 1
; COMPUTE_PGM_RSRC2:TGID_Y_EN: 0
; COMPUTE_PGM_RSRC2:TGID_Z_EN: 0
; COMPUTE_PGM_RSRC2:TIDIG_COMP_CNT: 0
; COMPUTE_PGM_RSRC3_GFX90A:ACCUM_OFFSET: 3
; COMPUTE_PGM_RSRC3_GFX90A:TG_SPLIT: 0
	.section	.text._ZN9rocsparseL21csrmvn_general_kernelILj256ELj2Eli18rocsparse_bfloat16S1_ffEEvbT2_NS_24const_host_device_scalarIT6_EEPKT1_S8_PKS2_PKT3_PKT4_S5_PT5_21rocsparse_index_base_b,"axG",@progbits,_ZN9rocsparseL21csrmvn_general_kernelILj256ELj2Eli18rocsparse_bfloat16S1_ffEEvbT2_NS_24const_host_device_scalarIT6_EEPKT1_S8_PKS2_PKT3_PKT4_S5_PT5_21rocsparse_index_base_b,comdat
	.globl	_ZN9rocsparseL21csrmvn_general_kernelILj256ELj2Eli18rocsparse_bfloat16S1_ffEEvbT2_NS_24const_host_device_scalarIT6_EEPKT1_S8_PKS2_PKT3_PKT4_S5_PT5_21rocsparse_index_base_b ; -- Begin function _ZN9rocsparseL21csrmvn_general_kernelILj256ELj2Eli18rocsparse_bfloat16S1_ffEEvbT2_NS_24const_host_device_scalarIT6_EEPKT1_S8_PKS2_PKT3_PKT4_S5_PT5_21rocsparse_index_base_b
	.p2align	8
	.type	_ZN9rocsparseL21csrmvn_general_kernelILj256ELj2Eli18rocsparse_bfloat16S1_ffEEvbT2_NS_24const_host_device_scalarIT6_EEPKT1_S8_PKS2_PKT3_PKT4_S5_PT5_21rocsparse_index_base_b,@function
_ZN9rocsparseL21csrmvn_general_kernelILj256ELj2Eli18rocsparse_bfloat16S1_ffEEvbT2_NS_24const_host_device_scalarIT6_EEPKT1_S8_PKS2_PKT3_PKT4_S5_PT5_21rocsparse_index_base_b: ; @_ZN9rocsparseL21csrmvn_general_kernelILj256ELj2Eli18rocsparse_bfloat16S1_ffEEvbT2_NS_24const_host_device_scalarIT6_EEPKT1_S8_PKS2_PKT3_PKT4_S5_PT5_21rocsparse_index_base_b
; %bb.0:
	s_load_dwordx2 s[20:21], s[4:5], 0x48
	s_load_dwordx4 s[16:19], s[4:5], 0x8
	s_load_dwordx2 s[22:23], s[4:5], 0x38
	s_waitcnt lgkmcnt(0)
	s_bitcmp1_b32 s21, 0
	s_cselect_b64 s[2:3], -1, 0
	s_xor_b64 s[0:1], s[2:3], -1
	s_and_b64 vcc, exec, s[2:3]
	s_cbranch_vccnz .LBB242_2
; %bb.1:
	s_load_dword s16, s[16:17], 0x0
.LBB242_2:
	s_andn2_b64 vcc, exec, s[0:1]
	s_cbranch_vccnz .LBB242_4
; %bb.3:
	s_load_dword s22, s[22:23], 0x0
.LBB242_4:
	s_waitcnt lgkmcnt(0)
	v_cmp_neq_f32_e64 s[0:1], s16, 0
	v_cmp_neq_f32_e64 s[2:3], s22, 1.0
	s_or_b64 s[0:1], s[0:1], s[2:3]
	s_andn2_b64 vcc, exec, s[0:1]
	s_cbranch_vccnz .LBB242_16
; %bb.5:
	s_load_dword s17, s[4:5], 0x4
	v_lshl_or_b32 v1, s6, 8, v0
	v_lshrrev_b32_e32 v2, 1, v1
	s_waitcnt lgkmcnt(0)
	v_cmp_gt_i32_e32 vcc, s17, v2
	s_and_saveexec_b64 s[0:1], vcc
	s_cbranch_execz .LBB242_16
; %bb.6:
	s_load_dword s0, s[4:5], 0x50
	s_load_dwordx2 s[6:7], s[4:5], 0x40
	s_load_dwordx8 s[8:15], s[4:5], 0x18
	v_and_b32_e32 v0, 1, v0
	v_subrev_co_u32_e32 v10, vcc, s20, v0
	s_waitcnt lgkmcnt(0)
	s_lshl_b32 s21, s0, 7
	v_subb_co_u32_e64 v11, s[0:1], 0, 0, vcc
	s_ashr_i32 s1, s20, 31
	s_mov_b32 s0, s20
	s_lshl_b64 s[0:1], s[0:1], 1
	s_sub_u32 s23, s14, s0
	s_mov_b32 s2, 0
	s_subb_u32 s3, s15, s1
	v_mov_b32_e32 v14, s2
	v_mov_b32_e32 v15, s3
	v_cmp_neq_f32_e64 s[2:3], s22, 0
	v_cmp_eq_u32_e64 s[0:1], 1, v0
	v_cndmask_b32_e64 v0, 0, 1, s[2:3]
	s_mov_b64 s[14:15], 0
	v_mov_b32_e32 v12, s19
	v_mov_b32_e32 v13, s9
	v_cmp_ne_u32_e64 s[2:3], 1, v0
	s_branch .LBB242_9
.LBB242_7:                              ;   in Loop: Header=BB242_9 Depth=1
	global_store_dword v[0:1], v4, off
.LBB242_8:                              ;   in Loop: Header=BB242_9 Depth=1
	s_or_b64 exec, exec, s[24:25]
	v_add_u32_e32 v2, s21, v2
	v_cmp_le_i32_e32 vcc, s17, v2
	s_or_b64 s[14:15], vcc, s[14:15]
	s_andn2_b64 exec, exec, s[14:15]
	s_cbranch_execz .LBB242_16
.LBB242_9:                              ; =>This Loop Header: Depth=1
                                        ;     Child Loop BB242_11 Depth 2
	v_ashrrev_i32_e32 v3, 31, v2
	v_lshlrev_b64 v[0:1], 3, v[2:3]
	v_add_co_u32_e32 v4, vcc, s8, v0
	v_addc_co_u32_e32 v5, vcc, v13, v1, vcc
	global_load_dwordx2 v[4:5], v[4:5], off
	v_add_co_u32_e32 v0, vcc, s18, v0
	v_addc_co_u32_e32 v1, vcc, v12, v1, vcc
	global_load_dwordx2 v[6:7], v[0:1], off
	v_mov_b32_e32 v16, 0
	s_waitcnt vmcnt(1)
	v_subrev_co_u32_e32 v0, vcc, s20, v4
	v_subb_co_u32_e32 v1, vcc, v5, v14, vcc
	s_waitcnt vmcnt(0)
	v_add_co_u32_e32 v4, vcc, v6, v10
	v_addc_co_u32_e32 v5, vcc, v7, v11, vcc
	v_cmp_lt_i64_e32 vcc, v[4:5], v[0:1]
	s_and_saveexec_b64 s[4:5], vcc
	s_cbranch_execz .LBB242_13
; %bb.10:                               ;   in Loop: Header=BB242_9 Depth=1
	v_lshlrev_b64 v[6:7], 1, v[4:5]
	v_mov_b32_e32 v8, s13
	v_add_co_u32_e32 v6, vcc, s12, v6
	v_addc_co_u32_e32 v7, vcc, v8, v7, vcc
	v_lshlrev_b64 v[8:9], 2, v[4:5]
	v_mov_b32_e32 v16, s11
	v_add_co_u32_e32 v8, vcc, s10, v8
	v_addc_co_u32_e32 v9, vcc, v16, v9, vcc
	s_mov_b64 s[24:25], 0
	v_mov_b32_e32 v16, 0
.LBB242_11:                             ;   Parent Loop BB242_9 Depth=1
                                        ; =>  This Inner Loop Header: Depth=2
	global_load_dword v18, v[8:9], off
	global_load_ushort v17, v[6:7], off
	s_waitcnt vmcnt(1)
	v_ashrrev_i32_e32 v19, 31, v18
	v_lshlrev_b64 v[18:19], 1, v[18:19]
	v_add_co_u32_e32 v18, vcc, s23, v18
	v_addc_co_u32_e32 v19, vcc, v15, v19, vcc
	global_load_ushort v18, v[18:19], off
	v_add_co_u32_e32 v4, vcc, 2, v4
	v_addc_co_u32_e32 v5, vcc, 0, v5, vcc
	v_add_co_u32_e32 v6, vcc, 4, v6
	v_addc_co_u32_e32 v7, vcc, 0, v7, vcc
	;; [unrolled: 2-line block ×3, first 2 shown]
	s_waitcnt vmcnt(1)
	v_lshlrev_b32_e32 v17, 16, v17
	v_cmp_ge_i64_e32 vcc, v[4:5], v[0:1]
	v_mul_f32_e32 v17, s16, v17
	s_or_b64 s[24:25], vcc, s[24:25]
	s_waitcnt vmcnt(0)
	v_lshlrev_b32_e32 v18, 16, v18
	v_fmac_f32_e32 v16, v17, v18
	s_andn2_b64 exec, exec, s[24:25]
	s_cbranch_execnz .LBB242_11
; %bb.12:                               ;   in Loop: Header=BB242_9 Depth=1
	s_or_b64 exec, exec, s[24:25]
.LBB242_13:                             ;   in Loop: Header=BB242_9 Depth=1
	s_or_b64 exec, exec, s[4:5]
	v_mov_b32_dpp v0, v16 row_shr:1 row_mask:0xf bank_mask:0xf
	s_and_saveexec_b64 s[24:25], s[0:1]
	s_cbranch_execz .LBB242_8
; %bb.14:                               ;   in Loop: Header=BB242_9 Depth=1
	v_add_f32_e32 v4, v16, v0
	v_lshlrev_b64 v[0:1], 2, v[2:3]
	v_mov_b32_e32 v3, s7
	v_add_co_u32_e64 v0, s[4:5], s6, v0
	s_and_b64 vcc, exec, s[2:3]
	v_addc_co_u32_e64 v1, s[4:5], v3, v1, s[4:5]
	s_cbranch_vccnz .LBB242_7
; %bb.15:                               ;   in Loop: Header=BB242_9 Depth=1
	global_load_dword v3, v[0:1], off
	s_waitcnt vmcnt(0)
	v_fmac_f32_e32 v4, s22, v3
	s_branch .LBB242_7
.LBB242_16:
	s_endpgm
	.section	.rodata,"a",@progbits
	.p2align	6, 0x0
	.amdhsa_kernel _ZN9rocsparseL21csrmvn_general_kernelILj256ELj2Eli18rocsparse_bfloat16S1_ffEEvbT2_NS_24const_host_device_scalarIT6_EEPKT1_S8_PKS2_PKT3_PKT4_S5_PT5_21rocsparse_index_base_b
		.amdhsa_group_segment_fixed_size 0
		.amdhsa_private_segment_fixed_size 0
		.amdhsa_kernarg_size 336
		.amdhsa_user_sgpr_count 6
		.amdhsa_user_sgpr_private_segment_buffer 1
		.amdhsa_user_sgpr_dispatch_ptr 0
		.amdhsa_user_sgpr_queue_ptr 0
		.amdhsa_user_sgpr_kernarg_segment_ptr 1
		.amdhsa_user_sgpr_dispatch_id 0
		.amdhsa_user_sgpr_flat_scratch_init 0
		.amdhsa_user_sgpr_kernarg_preload_length 0
		.amdhsa_user_sgpr_kernarg_preload_offset 0
		.amdhsa_user_sgpr_private_segment_size 0
		.amdhsa_uses_dynamic_stack 0
		.amdhsa_system_sgpr_private_segment_wavefront_offset 0
		.amdhsa_system_sgpr_workgroup_id_x 1
		.amdhsa_system_sgpr_workgroup_id_y 0
		.amdhsa_system_sgpr_workgroup_id_z 0
		.amdhsa_system_sgpr_workgroup_info 0
		.amdhsa_system_vgpr_workitem_id 0
		.amdhsa_next_free_vgpr 20
		.amdhsa_next_free_sgpr 26
		.amdhsa_accum_offset 20
		.amdhsa_reserve_vcc 1
		.amdhsa_reserve_flat_scratch 0
		.amdhsa_float_round_mode_32 0
		.amdhsa_float_round_mode_16_64 0
		.amdhsa_float_denorm_mode_32 3
		.amdhsa_float_denorm_mode_16_64 3
		.amdhsa_dx10_clamp 1
		.amdhsa_ieee_mode 1
		.amdhsa_fp16_overflow 0
		.amdhsa_tg_split 0
		.amdhsa_exception_fp_ieee_invalid_op 0
		.amdhsa_exception_fp_denorm_src 0
		.amdhsa_exception_fp_ieee_div_zero 0
		.amdhsa_exception_fp_ieee_overflow 0
		.amdhsa_exception_fp_ieee_underflow 0
		.amdhsa_exception_fp_ieee_inexact 0
		.amdhsa_exception_int_div_zero 0
	.end_amdhsa_kernel
	.section	.text._ZN9rocsparseL21csrmvn_general_kernelILj256ELj2Eli18rocsparse_bfloat16S1_ffEEvbT2_NS_24const_host_device_scalarIT6_EEPKT1_S8_PKS2_PKT3_PKT4_S5_PT5_21rocsparse_index_base_b,"axG",@progbits,_ZN9rocsparseL21csrmvn_general_kernelILj256ELj2Eli18rocsparse_bfloat16S1_ffEEvbT2_NS_24const_host_device_scalarIT6_EEPKT1_S8_PKS2_PKT3_PKT4_S5_PT5_21rocsparse_index_base_b,comdat
.Lfunc_end242:
	.size	_ZN9rocsparseL21csrmvn_general_kernelILj256ELj2Eli18rocsparse_bfloat16S1_ffEEvbT2_NS_24const_host_device_scalarIT6_EEPKT1_S8_PKS2_PKT3_PKT4_S5_PT5_21rocsparse_index_base_b, .Lfunc_end242-_ZN9rocsparseL21csrmvn_general_kernelILj256ELj2Eli18rocsparse_bfloat16S1_ffEEvbT2_NS_24const_host_device_scalarIT6_EEPKT1_S8_PKS2_PKT3_PKT4_S5_PT5_21rocsparse_index_base_b
                                        ; -- End function
	.section	.AMDGPU.csdata,"",@progbits
; Kernel info:
; codeLenInByte = 632
; NumSgprs: 30
; NumVgprs: 20
; NumAgprs: 0
; TotalNumVgprs: 20
; ScratchSize: 0
; MemoryBound: 0
; FloatMode: 240
; IeeeMode: 1
; LDSByteSize: 0 bytes/workgroup (compile time only)
; SGPRBlocks: 3
; VGPRBlocks: 2
; NumSGPRsForWavesPerEU: 30
; NumVGPRsForWavesPerEU: 20
; AccumOffset: 20
; Occupancy: 8
; WaveLimiterHint : 1
; COMPUTE_PGM_RSRC2:SCRATCH_EN: 0
; COMPUTE_PGM_RSRC2:USER_SGPR: 6
; COMPUTE_PGM_RSRC2:TRAP_HANDLER: 0
; COMPUTE_PGM_RSRC2:TGID_X_EN: 1
; COMPUTE_PGM_RSRC2:TGID_Y_EN: 0
; COMPUTE_PGM_RSRC2:TGID_Z_EN: 0
; COMPUTE_PGM_RSRC2:TIDIG_COMP_CNT: 0
; COMPUTE_PGM_RSRC3_GFX90A:ACCUM_OFFSET: 4
; COMPUTE_PGM_RSRC3_GFX90A:TG_SPLIT: 0
	.section	.text._ZN9rocsparseL21csrmvn_general_kernelILj256ELj4Eli18rocsparse_bfloat16S1_ffEEvbT2_NS_24const_host_device_scalarIT6_EEPKT1_S8_PKS2_PKT3_PKT4_S5_PT5_21rocsparse_index_base_b,"axG",@progbits,_ZN9rocsparseL21csrmvn_general_kernelILj256ELj4Eli18rocsparse_bfloat16S1_ffEEvbT2_NS_24const_host_device_scalarIT6_EEPKT1_S8_PKS2_PKT3_PKT4_S5_PT5_21rocsparse_index_base_b,comdat
	.globl	_ZN9rocsparseL21csrmvn_general_kernelILj256ELj4Eli18rocsparse_bfloat16S1_ffEEvbT2_NS_24const_host_device_scalarIT6_EEPKT1_S8_PKS2_PKT3_PKT4_S5_PT5_21rocsparse_index_base_b ; -- Begin function _ZN9rocsparseL21csrmvn_general_kernelILj256ELj4Eli18rocsparse_bfloat16S1_ffEEvbT2_NS_24const_host_device_scalarIT6_EEPKT1_S8_PKS2_PKT3_PKT4_S5_PT5_21rocsparse_index_base_b
	.p2align	8
	.type	_ZN9rocsparseL21csrmvn_general_kernelILj256ELj4Eli18rocsparse_bfloat16S1_ffEEvbT2_NS_24const_host_device_scalarIT6_EEPKT1_S8_PKS2_PKT3_PKT4_S5_PT5_21rocsparse_index_base_b,@function
_ZN9rocsparseL21csrmvn_general_kernelILj256ELj4Eli18rocsparse_bfloat16S1_ffEEvbT2_NS_24const_host_device_scalarIT6_EEPKT1_S8_PKS2_PKT3_PKT4_S5_PT5_21rocsparse_index_base_b: ; @_ZN9rocsparseL21csrmvn_general_kernelILj256ELj4Eli18rocsparse_bfloat16S1_ffEEvbT2_NS_24const_host_device_scalarIT6_EEPKT1_S8_PKS2_PKT3_PKT4_S5_PT5_21rocsparse_index_base_b
; %bb.0:
	s_load_dwordx2 s[20:21], s[4:5], 0x48
	s_load_dwordx4 s[16:19], s[4:5], 0x8
	s_load_dwordx2 s[22:23], s[4:5], 0x38
	s_waitcnt lgkmcnt(0)
	s_bitcmp1_b32 s21, 0
	s_cselect_b64 s[2:3], -1, 0
	s_xor_b64 s[0:1], s[2:3], -1
	s_and_b64 vcc, exec, s[2:3]
	s_cbranch_vccnz .LBB243_2
; %bb.1:
	s_load_dword s16, s[16:17], 0x0
.LBB243_2:
	s_andn2_b64 vcc, exec, s[0:1]
	s_cbranch_vccnz .LBB243_4
; %bb.3:
	s_load_dword s22, s[22:23], 0x0
.LBB243_4:
	s_waitcnt lgkmcnt(0)
	v_cmp_neq_f32_e64 s[0:1], s16, 0
	v_cmp_neq_f32_e64 s[2:3], s22, 1.0
	s_or_b64 s[0:1], s[0:1], s[2:3]
	s_andn2_b64 vcc, exec, s[0:1]
	s_cbranch_vccnz .LBB243_16
; %bb.5:
	s_load_dword s17, s[4:5], 0x4
	v_lshl_or_b32 v1, s6, 8, v0
	v_lshrrev_b32_e32 v2, 2, v1
	s_waitcnt lgkmcnt(0)
	v_cmp_gt_i32_e32 vcc, s17, v2
	s_and_saveexec_b64 s[0:1], vcc
	s_cbranch_execz .LBB243_16
; %bb.6:
	s_load_dword s0, s[4:5], 0x50
	s_load_dwordx2 s[6:7], s[4:5], 0x40
	s_load_dwordx8 s[8:15], s[4:5], 0x18
	v_and_b32_e32 v0, 3, v0
	v_subrev_co_u32_e32 v10, vcc, s20, v0
	s_waitcnt lgkmcnt(0)
	s_lshl_b32 s21, s0, 6
	v_subb_co_u32_e64 v11, s[0:1], 0, 0, vcc
	s_ashr_i32 s1, s20, 31
	s_mov_b32 s0, s20
	s_lshl_b64 s[0:1], s[0:1], 1
	s_sub_u32 s23, s14, s0
	s_mov_b32 s2, 0
	s_subb_u32 s3, s15, s1
	v_mov_b32_e32 v14, s2
	v_mov_b32_e32 v15, s3
	v_cmp_neq_f32_e64 s[2:3], s22, 0
	v_cmp_eq_u32_e64 s[0:1], 3, v0
	v_cndmask_b32_e64 v0, 0, 1, s[2:3]
	s_mov_b64 s[14:15], 0
	v_mov_b32_e32 v12, s19
	v_mov_b32_e32 v13, s9
	v_cmp_ne_u32_e64 s[2:3], 1, v0
	s_branch .LBB243_9
.LBB243_7:                              ;   in Loop: Header=BB243_9 Depth=1
	global_store_dword v[0:1], v4, off
.LBB243_8:                              ;   in Loop: Header=BB243_9 Depth=1
	s_or_b64 exec, exec, s[24:25]
	v_add_u32_e32 v2, s21, v2
	v_cmp_le_i32_e32 vcc, s17, v2
	s_or_b64 s[14:15], vcc, s[14:15]
	s_andn2_b64 exec, exec, s[14:15]
	s_cbranch_execz .LBB243_16
.LBB243_9:                              ; =>This Loop Header: Depth=1
                                        ;     Child Loop BB243_11 Depth 2
	v_ashrrev_i32_e32 v3, 31, v2
	v_lshlrev_b64 v[0:1], 3, v[2:3]
	v_add_co_u32_e32 v4, vcc, s8, v0
	v_addc_co_u32_e32 v5, vcc, v13, v1, vcc
	global_load_dwordx2 v[4:5], v[4:5], off
	v_add_co_u32_e32 v0, vcc, s18, v0
	v_addc_co_u32_e32 v1, vcc, v12, v1, vcc
	global_load_dwordx2 v[6:7], v[0:1], off
	v_mov_b32_e32 v16, 0
	s_waitcnt vmcnt(1)
	v_subrev_co_u32_e32 v0, vcc, s20, v4
	v_subb_co_u32_e32 v1, vcc, v5, v14, vcc
	s_waitcnt vmcnt(0)
	v_add_co_u32_e32 v4, vcc, v6, v10
	v_addc_co_u32_e32 v5, vcc, v7, v11, vcc
	v_cmp_lt_i64_e32 vcc, v[4:5], v[0:1]
	s_and_saveexec_b64 s[4:5], vcc
	s_cbranch_execz .LBB243_13
; %bb.10:                               ;   in Loop: Header=BB243_9 Depth=1
	v_lshlrev_b64 v[6:7], 1, v[4:5]
	v_mov_b32_e32 v8, s13
	v_add_co_u32_e32 v6, vcc, s12, v6
	v_addc_co_u32_e32 v7, vcc, v8, v7, vcc
	v_lshlrev_b64 v[8:9], 2, v[4:5]
	v_mov_b32_e32 v16, s11
	v_add_co_u32_e32 v8, vcc, s10, v8
	v_addc_co_u32_e32 v9, vcc, v16, v9, vcc
	s_mov_b64 s[24:25], 0
	v_mov_b32_e32 v16, 0
.LBB243_11:                             ;   Parent Loop BB243_9 Depth=1
                                        ; =>  This Inner Loop Header: Depth=2
	global_load_dword v18, v[8:9], off
	global_load_ushort v17, v[6:7], off
	s_waitcnt vmcnt(1)
	v_ashrrev_i32_e32 v19, 31, v18
	v_lshlrev_b64 v[18:19], 1, v[18:19]
	v_add_co_u32_e32 v18, vcc, s23, v18
	v_addc_co_u32_e32 v19, vcc, v15, v19, vcc
	global_load_ushort v18, v[18:19], off
	v_add_co_u32_e32 v4, vcc, 4, v4
	v_addc_co_u32_e32 v5, vcc, 0, v5, vcc
	v_add_co_u32_e32 v6, vcc, 8, v6
	v_addc_co_u32_e32 v7, vcc, 0, v7, vcc
	;; [unrolled: 2-line block ×3, first 2 shown]
	s_waitcnt vmcnt(1)
	v_lshlrev_b32_e32 v17, 16, v17
	v_cmp_ge_i64_e32 vcc, v[4:5], v[0:1]
	v_mul_f32_e32 v17, s16, v17
	s_or_b64 s[24:25], vcc, s[24:25]
	s_waitcnt vmcnt(0)
	v_lshlrev_b32_e32 v18, 16, v18
	v_fmac_f32_e32 v16, v17, v18
	s_andn2_b64 exec, exec, s[24:25]
	s_cbranch_execnz .LBB243_11
; %bb.12:                               ;   in Loop: Header=BB243_9 Depth=1
	s_or_b64 exec, exec, s[24:25]
.LBB243_13:                             ;   in Loop: Header=BB243_9 Depth=1
	s_or_b64 exec, exec, s[4:5]
	v_mov_b32_dpp v0, v16 row_shr:1 row_mask:0xf bank_mask:0xf
	v_add_f32_e32 v0, v16, v0
	s_nop 1
	v_mov_b32_dpp v1, v0 row_shr:2 row_mask:0xf bank_mask:0xf
	s_and_saveexec_b64 s[24:25], s[0:1]
	s_cbranch_execz .LBB243_8
; %bb.14:                               ;   in Loop: Header=BB243_9 Depth=1
	v_add_f32_e32 v4, v0, v1
	v_lshlrev_b64 v[0:1], 2, v[2:3]
	v_mov_b32_e32 v3, s7
	v_add_co_u32_e64 v0, s[4:5], s6, v0
	s_and_b64 vcc, exec, s[2:3]
	v_addc_co_u32_e64 v1, s[4:5], v3, v1, s[4:5]
	s_cbranch_vccnz .LBB243_7
; %bb.15:                               ;   in Loop: Header=BB243_9 Depth=1
	global_load_dword v3, v[0:1], off
	s_waitcnt vmcnt(0)
	v_fmac_f32_e32 v4, s22, v3
	s_branch .LBB243_7
.LBB243_16:
	s_endpgm
	.section	.rodata,"a",@progbits
	.p2align	6, 0x0
	.amdhsa_kernel _ZN9rocsparseL21csrmvn_general_kernelILj256ELj4Eli18rocsparse_bfloat16S1_ffEEvbT2_NS_24const_host_device_scalarIT6_EEPKT1_S8_PKS2_PKT3_PKT4_S5_PT5_21rocsparse_index_base_b
		.amdhsa_group_segment_fixed_size 0
		.amdhsa_private_segment_fixed_size 0
		.amdhsa_kernarg_size 336
		.amdhsa_user_sgpr_count 6
		.amdhsa_user_sgpr_private_segment_buffer 1
		.amdhsa_user_sgpr_dispatch_ptr 0
		.amdhsa_user_sgpr_queue_ptr 0
		.amdhsa_user_sgpr_kernarg_segment_ptr 1
		.amdhsa_user_sgpr_dispatch_id 0
		.amdhsa_user_sgpr_flat_scratch_init 0
		.amdhsa_user_sgpr_kernarg_preload_length 0
		.amdhsa_user_sgpr_kernarg_preload_offset 0
		.amdhsa_user_sgpr_private_segment_size 0
		.amdhsa_uses_dynamic_stack 0
		.amdhsa_system_sgpr_private_segment_wavefront_offset 0
		.amdhsa_system_sgpr_workgroup_id_x 1
		.amdhsa_system_sgpr_workgroup_id_y 0
		.amdhsa_system_sgpr_workgroup_id_z 0
		.amdhsa_system_sgpr_workgroup_info 0
		.amdhsa_system_vgpr_workitem_id 0
		.amdhsa_next_free_vgpr 20
		.amdhsa_next_free_sgpr 26
		.amdhsa_accum_offset 20
		.amdhsa_reserve_vcc 1
		.amdhsa_reserve_flat_scratch 0
		.amdhsa_float_round_mode_32 0
		.amdhsa_float_round_mode_16_64 0
		.amdhsa_float_denorm_mode_32 3
		.amdhsa_float_denorm_mode_16_64 3
		.amdhsa_dx10_clamp 1
		.amdhsa_ieee_mode 1
		.amdhsa_fp16_overflow 0
		.amdhsa_tg_split 0
		.amdhsa_exception_fp_ieee_invalid_op 0
		.amdhsa_exception_fp_denorm_src 0
		.amdhsa_exception_fp_ieee_div_zero 0
		.amdhsa_exception_fp_ieee_overflow 0
		.amdhsa_exception_fp_ieee_underflow 0
		.amdhsa_exception_fp_ieee_inexact 0
		.amdhsa_exception_int_div_zero 0
	.end_amdhsa_kernel
	.section	.text._ZN9rocsparseL21csrmvn_general_kernelILj256ELj4Eli18rocsparse_bfloat16S1_ffEEvbT2_NS_24const_host_device_scalarIT6_EEPKT1_S8_PKS2_PKT3_PKT4_S5_PT5_21rocsparse_index_base_b,"axG",@progbits,_ZN9rocsparseL21csrmvn_general_kernelILj256ELj4Eli18rocsparse_bfloat16S1_ffEEvbT2_NS_24const_host_device_scalarIT6_EEPKT1_S8_PKS2_PKT3_PKT4_S5_PT5_21rocsparse_index_base_b,comdat
.Lfunc_end243:
	.size	_ZN9rocsparseL21csrmvn_general_kernelILj256ELj4Eli18rocsparse_bfloat16S1_ffEEvbT2_NS_24const_host_device_scalarIT6_EEPKT1_S8_PKS2_PKT3_PKT4_S5_PT5_21rocsparse_index_base_b, .Lfunc_end243-_ZN9rocsparseL21csrmvn_general_kernelILj256ELj4Eli18rocsparse_bfloat16S1_ffEEvbT2_NS_24const_host_device_scalarIT6_EEPKT1_S8_PKS2_PKT3_PKT4_S5_PT5_21rocsparse_index_base_b
                                        ; -- End function
	.section	.AMDGPU.csdata,"",@progbits
; Kernel info:
; codeLenInByte = 648
; NumSgprs: 30
; NumVgprs: 20
; NumAgprs: 0
; TotalNumVgprs: 20
; ScratchSize: 0
; MemoryBound: 0
; FloatMode: 240
; IeeeMode: 1
; LDSByteSize: 0 bytes/workgroup (compile time only)
; SGPRBlocks: 3
; VGPRBlocks: 2
; NumSGPRsForWavesPerEU: 30
; NumVGPRsForWavesPerEU: 20
; AccumOffset: 20
; Occupancy: 8
; WaveLimiterHint : 1
; COMPUTE_PGM_RSRC2:SCRATCH_EN: 0
; COMPUTE_PGM_RSRC2:USER_SGPR: 6
; COMPUTE_PGM_RSRC2:TRAP_HANDLER: 0
; COMPUTE_PGM_RSRC2:TGID_X_EN: 1
; COMPUTE_PGM_RSRC2:TGID_Y_EN: 0
; COMPUTE_PGM_RSRC2:TGID_Z_EN: 0
; COMPUTE_PGM_RSRC2:TIDIG_COMP_CNT: 0
; COMPUTE_PGM_RSRC3_GFX90A:ACCUM_OFFSET: 4
; COMPUTE_PGM_RSRC3_GFX90A:TG_SPLIT: 0
	.section	.text._ZN9rocsparseL21csrmvn_general_kernelILj256ELj8Eli18rocsparse_bfloat16S1_ffEEvbT2_NS_24const_host_device_scalarIT6_EEPKT1_S8_PKS2_PKT3_PKT4_S5_PT5_21rocsparse_index_base_b,"axG",@progbits,_ZN9rocsparseL21csrmvn_general_kernelILj256ELj8Eli18rocsparse_bfloat16S1_ffEEvbT2_NS_24const_host_device_scalarIT6_EEPKT1_S8_PKS2_PKT3_PKT4_S5_PT5_21rocsparse_index_base_b,comdat
	.globl	_ZN9rocsparseL21csrmvn_general_kernelILj256ELj8Eli18rocsparse_bfloat16S1_ffEEvbT2_NS_24const_host_device_scalarIT6_EEPKT1_S8_PKS2_PKT3_PKT4_S5_PT5_21rocsparse_index_base_b ; -- Begin function _ZN9rocsparseL21csrmvn_general_kernelILj256ELj8Eli18rocsparse_bfloat16S1_ffEEvbT2_NS_24const_host_device_scalarIT6_EEPKT1_S8_PKS2_PKT3_PKT4_S5_PT5_21rocsparse_index_base_b
	.p2align	8
	.type	_ZN9rocsparseL21csrmvn_general_kernelILj256ELj8Eli18rocsparse_bfloat16S1_ffEEvbT2_NS_24const_host_device_scalarIT6_EEPKT1_S8_PKS2_PKT3_PKT4_S5_PT5_21rocsparse_index_base_b,@function
_ZN9rocsparseL21csrmvn_general_kernelILj256ELj8Eli18rocsparse_bfloat16S1_ffEEvbT2_NS_24const_host_device_scalarIT6_EEPKT1_S8_PKS2_PKT3_PKT4_S5_PT5_21rocsparse_index_base_b: ; @_ZN9rocsparseL21csrmvn_general_kernelILj256ELj8Eli18rocsparse_bfloat16S1_ffEEvbT2_NS_24const_host_device_scalarIT6_EEPKT1_S8_PKS2_PKT3_PKT4_S5_PT5_21rocsparse_index_base_b
; %bb.0:
	s_load_dwordx2 s[20:21], s[4:5], 0x48
	s_load_dwordx4 s[16:19], s[4:5], 0x8
	s_load_dwordx2 s[22:23], s[4:5], 0x38
	s_waitcnt lgkmcnt(0)
	s_bitcmp1_b32 s21, 0
	s_cselect_b64 s[2:3], -1, 0
	s_xor_b64 s[0:1], s[2:3], -1
	s_and_b64 vcc, exec, s[2:3]
	s_cbranch_vccnz .LBB244_2
; %bb.1:
	s_load_dword s16, s[16:17], 0x0
.LBB244_2:
	s_andn2_b64 vcc, exec, s[0:1]
	s_cbranch_vccnz .LBB244_4
; %bb.3:
	s_load_dword s22, s[22:23], 0x0
.LBB244_4:
	s_waitcnt lgkmcnt(0)
	v_cmp_neq_f32_e64 s[0:1], s16, 0
	v_cmp_neq_f32_e64 s[2:3], s22, 1.0
	s_or_b64 s[0:1], s[0:1], s[2:3]
	s_andn2_b64 vcc, exec, s[0:1]
	s_cbranch_vccnz .LBB244_16
; %bb.5:
	s_load_dword s17, s[4:5], 0x4
	v_lshl_or_b32 v1, s6, 8, v0
	v_lshrrev_b32_e32 v2, 3, v1
	s_waitcnt lgkmcnt(0)
	v_cmp_gt_i32_e32 vcc, s17, v2
	s_and_saveexec_b64 s[0:1], vcc
	s_cbranch_execz .LBB244_16
; %bb.6:
	s_load_dword s0, s[4:5], 0x50
	s_load_dwordx2 s[6:7], s[4:5], 0x40
	s_load_dwordx8 s[8:15], s[4:5], 0x18
	v_and_b32_e32 v0, 7, v0
	v_subrev_co_u32_e32 v10, vcc, s20, v0
	s_waitcnt lgkmcnt(0)
	s_lshl_b32 s21, s0, 5
	v_subb_co_u32_e64 v11, s[0:1], 0, 0, vcc
	s_ashr_i32 s1, s20, 31
	s_mov_b32 s0, s20
	s_lshl_b64 s[0:1], s[0:1], 1
	s_sub_u32 s23, s14, s0
	s_mov_b32 s2, 0
	s_subb_u32 s3, s15, s1
	v_mov_b32_e32 v14, s2
	v_mov_b32_e32 v15, s3
	v_cmp_neq_f32_e64 s[2:3], s22, 0
	v_cmp_eq_u32_e64 s[0:1], 7, v0
	v_cndmask_b32_e64 v0, 0, 1, s[2:3]
	s_mov_b64 s[14:15], 0
	v_mov_b32_e32 v12, s19
	v_mov_b32_e32 v13, s9
	v_cmp_ne_u32_e64 s[2:3], 1, v0
	s_branch .LBB244_9
.LBB244_7:                              ;   in Loop: Header=BB244_9 Depth=1
	global_store_dword v[0:1], v4, off
.LBB244_8:                              ;   in Loop: Header=BB244_9 Depth=1
	s_or_b64 exec, exec, s[24:25]
	v_add_u32_e32 v2, s21, v2
	v_cmp_le_i32_e32 vcc, s17, v2
	s_or_b64 s[14:15], vcc, s[14:15]
	s_andn2_b64 exec, exec, s[14:15]
	s_cbranch_execz .LBB244_16
.LBB244_9:                              ; =>This Loop Header: Depth=1
                                        ;     Child Loop BB244_11 Depth 2
	v_ashrrev_i32_e32 v3, 31, v2
	v_lshlrev_b64 v[0:1], 3, v[2:3]
	v_add_co_u32_e32 v4, vcc, s8, v0
	v_addc_co_u32_e32 v5, vcc, v13, v1, vcc
	global_load_dwordx2 v[4:5], v[4:5], off
	v_add_co_u32_e32 v0, vcc, s18, v0
	v_addc_co_u32_e32 v1, vcc, v12, v1, vcc
	global_load_dwordx2 v[6:7], v[0:1], off
	v_mov_b32_e32 v16, 0
	s_waitcnt vmcnt(1)
	v_subrev_co_u32_e32 v0, vcc, s20, v4
	v_subb_co_u32_e32 v1, vcc, v5, v14, vcc
	s_waitcnt vmcnt(0)
	v_add_co_u32_e32 v4, vcc, v6, v10
	v_addc_co_u32_e32 v5, vcc, v7, v11, vcc
	v_cmp_lt_i64_e32 vcc, v[4:5], v[0:1]
	s_and_saveexec_b64 s[4:5], vcc
	s_cbranch_execz .LBB244_13
; %bb.10:                               ;   in Loop: Header=BB244_9 Depth=1
	v_lshlrev_b64 v[6:7], 1, v[4:5]
	v_mov_b32_e32 v8, s13
	v_add_co_u32_e32 v6, vcc, s12, v6
	v_addc_co_u32_e32 v7, vcc, v8, v7, vcc
	v_lshlrev_b64 v[8:9], 2, v[4:5]
	v_mov_b32_e32 v16, s11
	v_add_co_u32_e32 v8, vcc, s10, v8
	v_addc_co_u32_e32 v9, vcc, v16, v9, vcc
	s_mov_b64 s[24:25], 0
	v_mov_b32_e32 v16, 0
.LBB244_11:                             ;   Parent Loop BB244_9 Depth=1
                                        ; =>  This Inner Loop Header: Depth=2
	global_load_dword v18, v[8:9], off
	global_load_ushort v17, v[6:7], off
	s_waitcnt vmcnt(1)
	v_ashrrev_i32_e32 v19, 31, v18
	v_lshlrev_b64 v[18:19], 1, v[18:19]
	v_add_co_u32_e32 v18, vcc, s23, v18
	v_addc_co_u32_e32 v19, vcc, v15, v19, vcc
	global_load_ushort v18, v[18:19], off
	v_add_co_u32_e32 v4, vcc, 8, v4
	v_addc_co_u32_e32 v5, vcc, 0, v5, vcc
	v_add_co_u32_e32 v6, vcc, 16, v6
	v_addc_co_u32_e32 v7, vcc, 0, v7, vcc
	;; [unrolled: 2-line block ×3, first 2 shown]
	s_waitcnt vmcnt(1)
	v_lshlrev_b32_e32 v17, 16, v17
	v_cmp_ge_i64_e32 vcc, v[4:5], v[0:1]
	v_mul_f32_e32 v17, s16, v17
	s_or_b64 s[24:25], vcc, s[24:25]
	s_waitcnt vmcnt(0)
	v_lshlrev_b32_e32 v18, 16, v18
	v_fmac_f32_e32 v16, v17, v18
	s_andn2_b64 exec, exec, s[24:25]
	s_cbranch_execnz .LBB244_11
; %bb.12:                               ;   in Loop: Header=BB244_9 Depth=1
	s_or_b64 exec, exec, s[24:25]
.LBB244_13:                             ;   in Loop: Header=BB244_9 Depth=1
	s_or_b64 exec, exec, s[4:5]
	v_mov_b32_dpp v0, v16 row_shr:1 row_mask:0xf bank_mask:0xf
	v_add_f32_e32 v0, v16, v0
	s_nop 1
	v_mov_b32_dpp v1, v0 row_shr:2 row_mask:0xf bank_mask:0xf
	v_add_f32_e32 v0, v0, v1
	s_nop 1
	v_mov_b32_dpp v1, v0 row_shr:4 row_mask:0xf bank_mask:0xe
	s_and_saveexec_b64 s[24:25], s[0:1]
	s_cbranch_execz .LBB244_8
; %bb.14:                               ;   in Loop: Header=BB244_9 Depth=1
	v_add_f32_e32 v4, v0, v1
	v_lshlrev_b64 v[0:1], 2, v[2:3]
	v_mov_b32_e32 v3, s7
	v_add_co_u32_e64 v0, s[4:5], s6, v0
	s_and_b64 vcc, exec, s[2:3]
	v_addc_co_u32_e64 v1, s[4:5], v3, v1, s[4:5]
	s_cbranch_vccnz .LBB244_7
; %bb.15:                               ;   in Loop: Header=BB244_9 Depth=1
	global_load_dword v3, v[0:1], off
	s_waitcnt vmcnt(0)
	v_fmac_f32_e32 v4, s22, v3
	s_branch .LBB244_7
.LBB244_16:
	s_endpgm
	.section	.rodata,"a",@progbits
	.p2align	6, 0x0
	.amdhsa_kernel _ZN9rocsparseL21csrmvn_general_kernelILj256ELj8Eli18rocsparse_bfloat16S1_ffEEvbT2_NS_24const_host_device_scalarIT6_EEPKT1_S8_PKS2_PKT3_PKT4_S5_PT5_21rocsparse_index_base_b
		.amdhsa_group_segment_fixed_size 0
		.amdhsa_private_segment_fixed_size 0
		.amdhsa_kernarg_size 336
		.amdhsa_user_sgpr_count 6
		.amdhsa_user_sgpr_private_segment_buffer 1
		.amdhsa_user_sgpr_dispatch_ptr 0
		.amdhsa_user_sgpr_queue_ptr 0
		.amdhsa_user_sgpr_kernarg_segment_ptr 1
		.amdhsa_user_sgpr_dispatch_id 0
		.amdhsa_user_sgpr_flat_scratch_init 0
		.amdhsa_user_sgpr_kernarg_preload_length 0
		.amdhsa_user_sgpr_kernarg_preload_offset 0
		.amdhsa_user_sgpr_private_segment_size 0
		.amdhsa_uses_dynamic_stack 0
		.amdhsa_system_sgpr_private_segment_wavefront_offset 0
		.amdhsa_system_sgpr_workgroup_id_x 1
		.amdhsa_system_sgpr_workgroup_id_y 0
		.amdhsa_system_sgpr_workgroup_id_z 0
		.amdhsa_system_sgpr_workgroup_info 0
		.amdhsa_system_vgpr_workitem_id 0
		.amdhsa_next_free_vgpr 20
		.amdhsa_next_free_sgpr 26
		.amdhsa_accum_offset 20
		.amdhsa_reserve_vcc 1
		.amdhsa_reserve_flat_scratch 0
		.amdhsa_float_round_mode_32 0
		.amdhsa_float_round_mode_16_64 0
		.amdhsa_float_denorm_mode_32 3
		.amdhsa_float_denorm_mode_16_64 3
		.amdhsa_dx10_clamp 1
		.amdhsa_ieee_mode 1
		.amdhsa_fp16_overflow 0
		.amdhsa_tg_split 0
		.amdhsa_exception_fp_ieee_invalid_op 0
		.amdhsa_exception_fp_denorm_src 0
		.amdhsa_exception_fp_ieee_div_zero 0
		.amdhsa_exception_fp_ieee_overflow 0
		.amdhsa_exception_fp_ieee_underflow 0
		.amdhsa_exception_fp_ieee_inexact 0
		.amdhsa_exception_int_div_zero 0
	.end_amdhsa_kernel
	.section	.text._ZN9rocsparseL21csrmvn_general_kernelILj256ELj8Eli18rocsparse_bfloat16S1_ffEEvbT2_NS_24const_host_device_scalarIT6_EEPKT1_S8_PKS2_PKT3_PKT4_S5_PT5_21rocsparse_index_base_b,"axG",@progbits,_ZN9rocsparseL21csrmvn_general_kernelILj256ELj8Eli18rocsparse_bfloat16S1_ffEEvbT2_NS_24const_host_device_scalarIT6_EEPKT1_S8_PKS2_PKT3_PKT4_S5_PT5_21rocsparse_index_base_b,comdat
.Lfunc_end244:
	.size	_ZN9rocsparseL21csrmvn_general_kernelILj256ELj8Eli18rocsparse_bfloat16S1_ffEEvbT2_NS_24const_host_device_scalarIT6_EEPKT1_S8_PKS2_PKT3_PKT4_S5_PT5_21rocsparse_index_base_b, .Lfunc_end244-_ZN9rocsparseL21csrmvn_general_kernelILj256ELj8Eli18rocsparse_bfloat16S1_ffEEvbT2_NS_24const_host_device_scalarIT6_EEPKT1_S8_PKS2_PKT3_PKT4_S5_PT5_21rocsparse_index_base_b
                                        ; -- End function
	.section	.AMDGPU.csdata,"",@progbits
; Kernel info:
; codeLenInByte = 664
; NumSgprs: 30
; NumVgprs: 20
; NumAgprs: 0
; TotalNumVgprs: 20
; ScratchSize: 0
; MemoryBound: 0
; FloatMode: 240
; IeeeMode: 1
; LDSByteSize: 0 bytes/workgroup (compile time only)
; SGPRBlocks: 3
; VGPRBlocks: 2
; NumSGPRsForWavesPerEU: 30
; NumVGPRsForWavesPerEU: 20
; AccumOffset: 20
; Occupancy: 8
; WaveLimiterHint : 1
; COMPUTE_PGM_RSRC2:SCRATCH_EN: 0
; COMPUTE_PGM_RSRC2:USER_SGPR: 6
; COMPUTE_PGM_RSRC2:TRAP_HANDLER: 0
; COMPUTE_PGM_RSRC2:TGID_X_EN: 1
; COMPUTE_PGM_RSRC2:TGID_Y_EN: 0
; COMPUTE_PGM_RSRC2:TGID_Z_EN: 0
; COMPUTE_PGM_RSRC2:TIDIG_COMP_CNT: 0
; COMPUTE_PGM_RSRC3_GFX90A:ACCUM_OFFSET: 4
; COMPUTE_PGM_RSRC3_GFX90A:TG_SPLIT: 0
	.section	.text._ZN9rocsparseL21csrmvn_general_kernelILj256ELj16Eli18rocsparse_bfloat16S1_ffEEvbT2_NS_24const_host_device_scalarIT6_EEPKT1_S8_PKS2_PKT3_PKT4_S5_PT5_21rocsparse_index_base_b,"axG",@progbits,_ZN9rocsparseL21csrmvn_general_kernelILj256ELj16Eli18rocsparse_bfloat16S1_ffEEvbT2_NS_24const_host_device_scalarIT6_EEPKT1_S8_PKS2_PKT3_PKT4_S5_PT5_21rocsparse_index_base_b,comdat
	.globl	_ZN9rocsparseL21csrmvn_general_kernelILj256ELj16Eli18rocsparse_bfloat16S1_ffEEvbT2_NS_24const_host_device_scalarIT6_EEPKT1_S8_PKS2_PKT3_PKT4_S5_PT5_21rocsparse_index_base_b ; -- Begin function _ZN9rocsparseL21csrmvn_general_kernelILj256ELj16Eli18rocsparse_bfloat16S1_ffEEvbT2_NS_24const_host_device_scalarIT6_EEPKT1_S8_PKS2_PKT3_PKT4_S5_PT5_21rocsparse_index_base_b
	.p2align	8
	.type	_ZN9rocsparseL21csrmvn_general_kernelILj256ELj16Eli18rocsparse_bfloat16S1_ffEEvbT2_NS_24const_host_device_scalarIT6_EEPKT1_S8_PKS2_PKT3_PKT4_S5_PT5_21rocsparse_index_base_b,@function
_ZN9rocsparseL21csrmvn_general_kernelILj256ELj16Eli18rocsparse_bfloat16S1_ffEEvbT2_NS_24const_host_device_scalarIT6_EEPKT1_S8_PKS2_PKT3_PKT4_S5_PT5_21rocsparse_index_base_b: ; @_ZN9rocsparseL21csrmvn_general_kernelILj256ELj16Eli18rocsparse_bfloat16S1_ffEEvbT2_NS_24const_host_device_scalarIT6_EEPKT1_S8_PKS2_PKT3_PKT4_S5_PT5_21rocsparse_index_base_b
; %bb.0:
	s_load_dwordx2 s[20:21], s[4:5], 0x48
	s_load_dwordx4 s[16:19], s[4:5], 0x8
	s_load_dwordx2 s[22:23], s[4:5], 0x38
	s_waitcnt lgkmcnt(0)
	s_bitcmp1_b32 s21, 0
	s_cselect_b64 s[2:3], -1, 0
	s_xor_b64 s[0:1], s[2:3], -1
	s_and_b64 vcc, exec, s[2:3]
	s_cbranch_vccnz .LBB245_2
; %bb.1:
	s_load_dword s16, s[16:17], 0x0
.LBB245_2:
	s_andn2_b64 vcc, exec, s[0:1]
	s_cbranch_vccnz .LBB245_4
; %bb.3:
	s_load_dword s22, s[22:23], 0x0
.LBB245_4:
	s_waitcnt lgkmcnt(0)
	v_cmp_neq_f32_e64 s[0:1], s16, 0
	v_cmp_neq_f32_e64 s[2:3], s22, 1.0
	s_or_b64 s[0:1], s[0:1], s[2:3]
	s_andn2_b64 vcc, exec, s[0:1]
	s_cbranch_vccnz .LBB245_16
; %bb.5:
	s_load_dword s17, s[4:5], 0x4
	v_lshl_or_b32 v1, s6, 8, v0
	v_lshrrev_b32_e32 v2, 4, v1
	s_waitcnt lgkmcnt(0)
	v_cmp_gt_i32_e32 vcc, s17, v2
	s_and_saveexec_b64 s[0:1], vcc
	s_cbranch_execz .LBB245_16
; %bb.6:
	s_load_dword s0, s[4:5], 0x50
	s_load_dwordx2 s[6:7], s[4:5], 0x40
	s_load_dwordx8 s[8:15], s[4:5], 0x18
	v_and_b32_e32 v0, 15, v0
	v_subrev_co_u32_e32 v10, vcc, s20, v0
	s_waitcnt lgkmcnt(0)
	s_lshl_b32 s21, s0, 4
	v_subb_co_u32_e64 v11, s[0:1], 0, 0, vcc
	s_ashr_i32 s1, s20, 31
	s_mov_b32 s0, s20
	s_lshl_b64 s[0:1], s[0:1], 1
	s_sub_u32 s23, s14, s0
	s_mov_b32 s2, 0
	s_subb_u32 s3, s15, s1
	v_mov_b32_e32 v14, s2
	v_mov_b32_e32 v15, s3
	v_cmp_neq_f32_e64 s[2:3], s22, 0
	v_cmp_eq_u32_e64 s[0:1], 15, v0
	v_cndmask_b32_e64 v0, 0, 1, s[2:3]
	s_mov_b64 s[14:15], 0
	v_mov_b32_e32 v12, s19
	v_mov_b32_e32 v13, s9
	v_cmp_ne_u32_e64 s[2:3], 1, v0
	s_branch .LBB245_9
.LBB245_7:                              ;   in Loop: Header=BB245_9 Depth=1
	global_store_dword v[0:1], v4, off
.LBB245_8:                              ;   in Loop: Header=BB245_9 Depth=1
	s_or_b64 exec, exec, s[24:25]
	v_add_u32_e32 v2, s21, v2
	v_cmp_le_i32_e32 vcc, s17, v2
	s_or_b64 s[14:15], vcc, s[14:15]
	s_andn2_b64 exec, exec, s[14:15]
	s_cbranch_execz .LBB245_16
.LBB245_9:                              ; =>This Loop Header: Depth=1
                                        ;     Child Loop BB245_11 Depth 2
	v_ashrrev_i32_e32 v3, 31, v2
	v_lshlrev_b64 v[0:1], 3, v[2:3]
	v_add_co_u32_e32 v4, vcc, s8, v0
	v_addc_co_u32_e32 v5, vcc, v13, v1, vcc
	global_load_dwordx2 v[4:5], v[4:5], off
	v_add_co_u32_e32 v0, vcc, s18, v0
	v_addc_co_u32_e32 v1, vcc, v12, v1, vcc
	global_load_dwordx2 v[6:7], v[0:1], off
	v_mov_b32_e32 v16, 0
	s_waitcnt vmcnt(1)
	v_subrev_co_u32_e32 v0, vcc, s20, v4
	v_subb_co_u32_e32 v1, vcc, v5, v14, vcc
	s_waitcnt vmcnt(0)
	v_add_co_u32_e32 v4, vcc, v6, v10
	v_addc_co_u32_e32 v5, vcc, v7, v11, vcc
	v_cmp_lt_i64_e32 vcc, v[4:5], v[0:1]
	s_and_saveexec_b64 s[4:5], vcc
	s_cbranch_execz .LBB245_13
; %bb.10:                               ;   in Loop: Header=BB245_9 Depth=1
	v_lshlrev_b64 v[6:7], 1, v[4:5]
	v_mov_b32_e32 v8, s13
	v_add_co_u32_e32 v6, vcc, s12, v6
	v_addc_co_u32_e32 v7, vcc, v8, v7, vcc
	v_lshlrev_b64 v[8:9], 2, v[4:5]
	v_mov_b32_e32 v16, s11
	v_add_co_u32_e32 v8, vcc, s10, v8
	v_addc_co_u32_e32 v9, vcc, v16, v9, vcc
	s_mov_b64 s[24:25], 0
	v_mov_b32_e32 v16, 0
.LBB245_11:                             ;   Parent Loop BB245_9 Depth=1
                                        ; =>  This Inner Loop Header: Depth=2
	global_load_dword v18, v[8:9], off
	global_load_ushort v17, v[6:7], off
	s_waitcnt vmcnt(1)
	v_ashrrev_i32_e32 v19, 31, v18
	v_lshlrev_b64 v[18:19], 1, v[18:19]
	v_add_co_u32_e32 v18, vcc, s23, v18
	v_addc_co_u32_e32 v19, vcc, v15, v19, vcc
	global_load_ushort v18, v[18:19], off
	v_add_co_u32_e32 v4, vcc, 16, v4
	v_addc_co_u32_e32 v5, vcc, 0, v5, vcc
	v_add_co_u32_e32 v6, vcc, 32, v6
	v_addc_co_u32_e32 v7, vcc, 0, v7, vcc
	;; [unrolled: 2-line block ×3, first 2 shown]
	s_waitcnt vmcnt(1)
	v_lshlrev_b32_e32 v17, 16, v17
	v_cmp_ge_i64_e32 vcc, v[4:5], v[0:1]
	v_mul_f32_e32 v17, s16, v17
	s_or_b64 s[24:25], vcc, s[24:25]
	s_waitcnt vmcnt(0)
	v_lshlrev_b32_e32 v18, 16, v18
	v_fmac_f32_e32 v16, v17, v18
	s_andn2_b64 exec, exec, s[24:25]
	s_cbranch_execnz .LBB245_11
; %bb.12:                               ;   in Loop: Header=BB245_9 Depth=1
	s_or_b64 exec, exec, s[24:25]
.LBB245_13:                             ;   in Loop: Header=BB245_9 Depth=1
	s_or_b64 exec, exec, s[4:5]
	v_mov_b32_dpp v0, v16 row_shr:1 row_mask:0xf bank_mask:0xf
	v_add_f32_e32 v0, v16, v0
	s_nop 1
	v_mov_b32_dpp v1, v0 row_shr:2 row_mask:0xf bank_mask:0xf
	v_add_f32_e32 v0, v0, v1
	s_nop 1
	;; [unrolled: 3-line block ×3, first 2 shown]
	v_mov_b32_dpp v1, v0 row_shr:8 row_mask:0xf bank_mask:0xc
	s_and_saveexec_b64 s[24:25], s[0:1]
	s_cbranch_execz .LBB245_8
; %bb.14:                               ;   in Loop: Header=BB245_9 Depth=1
	v_add_f32_e32 v4, v0, v1
	v_lshlrev_b64 v[0:1], 2, v[2:3]
	v_mov_b32_e32 v3, s7
	v_add_co_u32_e64 v0, s[4:5], s6, v0
	s_and_b64 vcc, exec, s[2:3]
	v_addc_co_u32_e64 v1, s[4:5], v3, v1, s[4:5]
	s_cbranch_vccnz .LBB245_7
; %bb.15:                               ;   in Loop: Header=BB245_9 Depth=1
	global_load_dword v3, v[0:1], off
	s_waitcnt vmcnt(0)
	v_fmac_f32_e32 v4, s22, v3
	s_branch .LBB245_7
.LBB245_16:
	s_endpgm
	.section	.rodata,"a",@progbits
	.p2align	6, 0x0
	.amdhsa_kernel _ZN9rocsparseL21csrmvn_general_kernelILj256ELj16Eli18rocsparse_bfloat16S1_ffEEvbT2_NS_24const_host_device_scalarIT6_EEPKT1_S8_PKS2_PKT3_PKT4_S5_PT5_21rocsparse_index_base_b
		.amdhsa_group_segment_fixed_size 0
		.amdhsa_private_segment_fixed_size 0
		.amdhsa_kernarg_size 336
		.amdhsa_user_sgpr_count 6
		.amdhsa_user_sgpr_private_segment_buffer 1
		.amdhsa_user_sgpr_dispatch_ptr 0
		.amdhsa_user_sgpr_queue_ptr 0
		.amdhsa_user_sgpr_kernarg_segment_ptr 1
		.amdhsa_user_sgpr_dispatch_id 0
		.amdhsa_user_sgpr_flat_scratch_init 0
		.amdhsa_user_sgpr_kernarg_preload_length 0
		.amdhsa_user_sgpr_kernarg_preload_offset 0
		.amdhsa_user_sgpr_private_segment_size 0
		.amdhsa_uses_dynamic_stack 0
		.amdhsa_system_sgpr_private_segment_wavefront_offset 0
		.amdhsa_system_sgpr_workgroup_id_x 1
		.amdhsa_system_sgpr_workgroup_id_y 0
		.amdhsa_system_sgpr_workgroup_id_z 0
		.amdhsa_system_sgpr_workgroup_info 0
		.amdhsa_system_vgpr_workitem_id 0
		.amdhsa_next_free_vgpr 20
		.amdhsa_next_free_sgpr 26
		.amdhsa_accum_offset 20
		.amdhsa_reserve_vcc 1
		.amdhsa_reserve_flat_scratch 0
		.amdhsa_float_round_mode_32 0
		.amdhsa_float_round_mode_16_64 0
		.amdhsa_float_denorm_mode_32 3
		.amdhsa_float_denorm_mode_16_64 3
		.amdhsa_dx10_clamp 1
		.amdhsa_ieee_mode 1
		.amdhsa_fp16_overflow 0
		.amdhsa_tg_split 0
		.amdhsa_exception_fp_ieee_invalid_op 0
		.amdhsa_exception_fp_denorm_src 0
		.amdhsa_exception_fp_ieee_div_zero 0
		.amdhsa_exception_fp_ieee_overflow 0
		.amdhsa_exception_fp_ieee_underflow 0
		.amdhsa_exception_fp_ieee_inexact 0
		.amdhsa_exception_int_div_zero 0
	.end_amdhsa_kernel
	.section	.text._ZN9rocsparseL21csrmvn_general_kernelILj256ELj16Eli18rocsparse_bfloat16S1_ffEEvbT2_NS_24const_host_device_scalarIT6_EEPKT1_S8_PKS2_PKT3_PKT4_S5_PT5_21rocsparse_index_base_b,"axG",@progbits,_ZN9rocsparseL21csrmvn_general_kernelILj256ELj16Eli18rocsparse_bfloat16S1_ffEEvbT2_NS_24const_host_device_scalarIT6_EEPKT1_S8_PKS2_PKT3_PKT4_S5_PT5_21rocsparse_index_base_b,comdat
.Lfunc_end245:
	.size	_ZN9rocsparseL21csrmvn_general_kernelILj256ELj16Eli18rocsparse_bfloat16S1_ffEEvbT2_NS_24const_host_device_scalarIT6_EEPKT1_S8_PKS2_PKT3_PKT4_S5_PT5_21rocsparse_index_base_b, .Lfunc_end245-_ZN9rocsparseL21csrmvn_general_kernelILj256ELj16Eli18rocsparse_bfloat16S1_ffEEvbT2_NS_24const_host_device_scalarIT6_EEPKT1_S8_PKS2_PKT3_PKT4_S5_PT5_21rocsparse_index_base_b
                                        ; -- End function
	.section	.AMDGPU.csdata,"",@progbits
; Kernel info:
; codeLenInByte = 680
; NumSgprs: 30
; NumVgprs: 20
; NumAgprs: 0
; TotalNumVgprs: 20
; ScratchSize: 0
; MemoryBound: 0
; FloatMode: 240
; IeeeMode: 1
; LDSByteSize: 0 bytes/workgroup (compile time only)
; SGPRBlocks: 3
; VGPRBlocks: 2
; NumSGPRsForWavesPerEU: 30
; NumVGPRsForWavesPerEU: 20
; AccumOffset: 20
; Occupancy: 8
; WaveLimiterHint : 1
; COMPUTE_PGM_RSRC2:SCRATCH_EN: 0
; COMPUTE_PGM_RSRC2:USER_SGPR: 6
; COMPUTE_PGM_RSRC2:TRAP_HANDLER: 0
; COMPUTE_PGM_RSRC2:TGID_X_EN: 1
; COMPUTE_PGM_RSRC2:TGID_Y_EN: 0
; COMPUTE_PGM_RSRC2:TGID_Z_EN: 0
; COMPUTE_PGM_RSRC2:TIDIG_COMP_CNT: 0
; COMPUTE_PGM_RSRC3_GFX90A:ACCUM_OFFSET: 4
; COMPUTE_PGM_RSRC3_GFX90A:TG_SPLIT: 0
	.section	.text._ZN9rocsparseL21csrmvn_general_kernelILj256ELj32Eli18rocsparse_bfloat16S1_ffEEvbT2_NS_24const_host_device_scalarIT6_EEPKT1_S8_PKS2_PKT3_PKT4_S5_PT5_21rocsparse_index_base_b,"axG",@progbits,_ZN9rocsparseL21csrmvn_general_kernelILj256ELj32Eli18rocsparse_bfloat16S1_ffEEvbT2_NS_24const_host_device_scalarIT6_EEPKT1_S8_PKS2_PKT3_PKT4_S5_PT5_21rocsparse_index_base_b,comdat
	.globl	_ZN9rocsparseL21csrmvn_general_kernelILj256ELj32Eli18rocsparse_bfloat16S1_ffEEvbT2_NS_24const_host_device_scalarIT6_EEPKT1_S8_PKS2_PKT3_PKT4_S5_PT5_21rocsparse_index_base_b ; -- Begin function _ZN9rocsparseL21csrmvn_general_kernelILj256ELj32Eli18rocsparse_bfloat16S1_ffEEvbT2_NS_24const_host_device_scalarIT6_EEPKT1_S8_PKS2_PKT3_PKT4_S5_PT5_21rocsparse_index_base_b
	.p2align	8
	.type	_ZN9rocsparseL21csrmvn_general_kernelILj256ELj32Eli18rocsparse_bfloat16S1_ffEEvbT2_NS_24const_host_device_scalarIT6_EEPKT1_S8_PKS2_PKT3_PKT4_S5_PT5_21rocsparse_index_base_b,@function
_ZN9rocsparseL21csrmvn_general_kernelILj256ELj32Eli18rocsparse_bfloat16S1_ffEEvbT2_NS_24const_host_device_scalarIT6_EEPKT1_S8_PKS2_PKT3_PKT4_S5_PT5_21rocsparse_index_base_b: ; @_ZN9rocsparseL21csrmvn_general_kernelILj256ELj32Eli18rocsparse_bfloat16S1_ffEEvbT2_NS_24const_host_device_scalarIT6_EEPKT1_S8_PKS2_PKT3_PKT4_S5_PT5_21rocsparse_index_base_b
; %bb.0:
	s_load_dwordx2 s[20:21], s[4:5], 0x48
	s_load_dwordx4 s[16:19], s[4:5], 0x8
	s_load_dwordx2 s[22:23], s[4:5], 0x38
	s_waitcnt lgkmcnt(0)
	s_bitcmp1_b32 s21, 0
	s_cselect_b64 s[2:3], -1, 0
	s_xor_b64 s[0:1], s[2:3], -1
	s_and_b64 vcc, exec, s[2:3]
	s_cbranch_vccnz .LBB246_2
; %bb.1:
	s_load_dword s16, s[16:17], 0x0
.LBB246_2:
	s_andn2_b64 vcc, exec, s[0:1]
	s_cbranch_vccnz .LBB246_4
; %bb.3:
	s_load_dword s22, s[22:23], 0x0
.LBB246_4:
	s_waitcnt lgkmcnt(0)
	v_cmp_neq_f32_e64 s[0:1], s16, 0
	v_cmp_neq_f32_e64 s[2:3], s22, 1.0
	s_or_b64 s[0:1], s[0:1], s[2:3]
	s_andn2_b64 vcc, exec, s[0:1]
	s_cbranch_vccnz .LBB246_16
; %bb.5:
	s_load_dword s17, s[4:5], 0x4
	v_lshl_or_b32 v1, s6, 8, v0
	v_lshrrev_b32_e32 v2, 5, v1
	s_waitcnt lgkmcnt(0)
	v_cmp_gt_i32_e32 vcc, s17, v2
	s_and_saveexec_b64 s[0:1], vcc
	s_cbranch_execz .LBB246_16
; %bb.6:
	s_load_dword s0, s[4:5], 0x50
	s_load_dwordx2 s[6:7], s[4:5], 0x40
	s_load_dwordx8 s[8:15], s[4:5], 0x18
	v_and_b32_e32 v0, 31, v0
	v_subrev_co_u32_e32 v10, vcc, s20, v0
	s_waitcnt lgkmcnt(0)
	s_lshl_b32 s21, s0, 3
	v_subb_co_u32_e64 v11, s[0:1], 0, 0, vcc
	s_ashr_i32 s1, s20, 31
	s_mov_b32 s0, s20
	s_lshl_b64 s[0:1], s[0:1], 1
	s_sub_u32 s23, s14, s0
	s_mov_b32 s2, 0
	s_subb_u32 s3, s15, s1
	v_mov_b32_e32 v14, s2
	v_mov_b32_e32 v15, s3
	v_cmp_neq_f32_e64 s[2:3], s22, 0
	v_cmp_eq_u32_e64 s[0:1], 31, v0
	v_cndmask_b32_e64 v0, 0, 1, s[2:3]
	s_mov_b64 s[14:15], 0
	v_mov_b32_e32 v12, s19
	v_mov_b32_e32 v13, s9
	v_cmp_ne_u32_e64 s[2:3], 1, v0
	s_branch .LBB246_9
.LBB246_7:                              ;   in Loop: Header=BB246_9 Depth=1
	global_store_dword v[0:1], v4, off
.LBB246_8:                              ;   in Loop: Header=BB246_9 Depth=1
	s_or_b64 exec, exec, s[24:25]
	v_add_u32_e32 v2, s21, v2
	v_cmp_le_i32_e32 vcc, s17, v2
	s_or_b64 s[14:15], vcc, s[14:15]
	s_andn2_b64 exec, exec, s[14:15]
	s_cbranch_execz .LBB246_16
.LBB246_9:                              ; =>This Loop Header: Depth=1
                                        ;     Child Loop BB246_11 Depth 2
	v_ashrrev_i32_e32 v3, 31, v2
	v_lshlrev_b64 v[0:1], 3, v[2:3]
	v_add_co_u32_e32 v4, vcc, s8, v0
	v_addc_co_u32_e32 v5, vcc, v13, v1, vcc
	global_load_dwordx2 v[4:5], v[4:5], off
	v_add_co_u32_e32 v0, vcc, s18, v0
	v_addc_co_u32_e32 v1, vcc, v12, v1, vcc
	global_load_dwordx2 v[6:7], v[0:1], off
	v_mov_b32_e32 v16, 0
	s_waitcnt vmcnt(1)
	v_subrev_co_u32_e32 v0, vcc, s20, v4
	v_subb_co_u32_e32 v1, vcc, v5, v14, vcc
	s_waitcnt vmcnt(0)
	v_add_co_u32_e32 v4, vcc, v6, v10
	v_addc_co_u32_e32 v5, vcc, v7, v11, vcc
	v_cmp_lt_i64_e32 vcc, v[4:5], v[0:1]
	s_and_saveexec_b64 s[4:5], vcc
	s_cbranch_execz .LBB246_13
; %bb.10:                               ;   in Loop: Header=BB246_9 Depth=1
	v_lshlrev_b64 v[6:7], 1, v[4:5]
	v_mov_b32_e32 v8, s13
	v_add_co_u32_e32 v6, vcc, s12, v6
	v_addc_co_u32_e32 v7, vcc, v8, v7, vcc
	v_lshlrev_b64 v[8:9], 2, v[4:5]
	v_mov_b32_e32 v16, s11
	v_add_co_u32_e32 v8, vcc, s10, v8
	v_addc_co_u32_e32 v9, vcc, v16, v9, vcc
	s_mov_b64 s[24:25], 0
	v_mov_b32_e32 v16, 0
.LBB246_11:                             ;   Parent Loop BB246_9 Depth=1
                                        ; =>  This Inner Loop Header: Depth=2
	global_load_dword v18, v[8:9], off
	global_load_ushort v17, v[6:7], off
	s_waitcnt vmcnt(1)
	v_ashrrev_i32_e32 v19, 31, v18
	v_lshlrev_b64 v[18:19], 1, v[18:19]
	v_add_co_u32_e32 v18, vcc, s23, v18
	v_addc_co_u32_e32 v19, vcc, v15, v19, vcc
	global_load_ushort v18, v[18:19], off
	v_add_co_u32_e32 v4, vcc, 32, v4
	v_addc_co_u32_e32 v5, vcc, 0, v5, vcc
	v_add_co_u32_e32 v6, vcc, 64, v6
	v_addc_co_u32_e32 v7, vcc, 0, v7, vcc
	;; [unrolled: 2-line block ×3, first 2 shown]
	s_waitcnt vmcnt(1)
	v_lshlrev_b32_e32 v17, 16, v17
	v_cmp_ge_i64_e32 vcc, v[4:5], v[0:1]
	v_mul_f32_e32 v17, s16, v17
	s_or_b64 s[24:25], vcc, s[24:25]
	s_waitcnt vmcnt(0)
	v_lshlrev_b32_e32 v18, 16, v18
	v_fmac_f32_e32 v16, v17, v18
	s_andn2_b64 exec, exec, s[24:25]
	s_cbranch_execnz .LBB246_11
; %bb.12:                               ;   in Loop: Header=BB246_9 Depth=1
	s_or_b64 exec, exec, s[24:25]
.LBB246_13:                             ;   in Loop: Header=BB246_9 Depth=1
	s_or_b64 exec, exec, s[4:5]
	v_mov_b32_dpp v0, v16 row_shr:1 row_mask:0xf bank_mask:0xf
	v_add_f32_e32 v0, v16, v0
	s_nop 1
	v_mov_b32_dpp v1, v0 row_shr:2 row_mask:0xf bank_mask:0xf
	v_add_f32_e32 v0, v0, v1
	s_nop 1
	;; [unrolled: 3-line block ×4, first 2 shown]
	v_mov_b32_dpp v1, v0 row_bcast:15 row_mask:0xa bank_mask:0xf
	s_and_saveexec_b64 s[24:25], s[0:1]
	s_cbranch_execz .LBB246_8
; %bb.14:                               ;   in Loop: Header=BB246_9 Depth=1
	v_add_f32_e32 v4, v0, v1
	v_lshlrev_b64 v[0:1], 2, v[2:3]
	v_mov_b32_e32 v3, s7
	v_add_co_u32_e64 v0, s[4:5], s6, v0
	s_and_b64 vcc, exec, s[2:3]
	v_addc_co_u32_e64 v1, s[4:5], v3, v1, s[4:5]
	s_cbranch_vccnz .LBB246_7
; %bb.15:                               ;   in Loop: Header=BB246_9 Depth=1
	global_load_dword v3, v[0:1], off
	s_waitcnt vmcnt(0)
	v_fmac_f32_e32 v4, s22, v3
	s_branch .LBB246_7
.LBB246_16:
	s_endpgm
	.section	.rodata,"a",@progbits
	.p2align	6, 0x0
	.amdhsa_kernel _ZN9rocsparseL21csrmvn_general_kernelILj256ELj32Eli18rocsparse_bfloat16S1_ffEEvbT2_NS_24const_host_device_scalarIT6_EEPKT1_S8_PKS2_PKT3_PKT4_S5_PT5_21rocsparse_index_base_b
		.amdhsa_group_segment_fixed_size 0
		.amdhsa_private_segment_fixed_size 0
		.amdhsa_kernarg_size 336
		.amdhsa_user_sgpr_count 6
		.amdhsa_user_sgpr_private_segment_buffer 1
		.amdhsa_user_sgpr_dispatch_ptr 0
		.amdhsa_user_sgpr_queue_ptr 0
		.amdhsa_user_sgpr_kernarg_segment_ptr 1
		.amdhsa_user_sgpr_dispatch_id 0
		.amdhsa_user_sgpr_flat_scratch_init 0
		.amdhsa_user_sgpr_kernarg_preload_length 0
		.amdhsa_user_sgpr_kernarg_preload_offset 0
		.amdhsa_user_sgpr_private_segment_size 0
		.amdhsa_uses_dynamic_stack 0
		.amdhsa_system_sgpr_private_segment_wavefront_offset 0
		.amdhsa_system_sgpr_workgroup_id_x 1
		.amdhsa_system_sgpr_workgroup_id_y 0
		.amdhsa_system_sgpr_workgroup_id_z 0
		.amdhsa_system_sgpr_workgroup_info 0
		.amdhsa_system_vgpr_workitem_id 0
		.amdhsa_next_free_vgpr 20
		.amdhsa_next_free_sgpr 26
		.amdhsa_accum_offset 20
		.amdhsa_reserve_vcc 1
		.amdhsa_reserve_flat_scratch 0
		.amdhsa_float_round_mode_32 0
		.amdhsa_float_round_mode_16_64 0
		.amdhsa_float_denorm_mode_32 3
		.amdhsa_float_denorm_mode_16_64 3
		.amdhsa_dx10_clamp 1
		.amdhsa_ieee_mode 1
		.amdhsa_fp16_overflow 0
		.amdhsa_tg_split 0
		.amdhsa_exception_fp_ieee_invalid_op 0
		.amdhsa_exception_fp_denorm_src 0
		.amdhsa_exception_fp_ieee_div_zero 0
		.amdhsa_exception_fp_ieee_overflow 0
		.amdhsa_exception_fp_ieee_underflow 0
		.amdhsa_exception_fp_ieee_inexact 0
		.amdhsa_exception_int_div_zero 0
	.end_amdhsa_kernel
	.section	.text._ZN9rocsparseL21csrmvn_general_kernelILj256ELj32Eli18rocsparse_bfloat16S1_ffEEvbT2_NS_24const_host_device_scalarIT6_EEPKT1_S8_PKS2_PKT3_PKT4_S5_PT5_21rocsparse_index_base_b,"axG",@progbits,_ZN9rocsparseL21csrmvn_general_kernelILj256ELj32Eli18rocsparse_bfloat16S1_ffEEvbT2_NS_24const_host_device_scalarIT6_EEPKT1_S8_PKS2_PKT3_PKT4_S5_PT5_21rocsparse_index_base_b,comdat
.Lfunc_end246:
	.size	_ZN9rocsparseL21csrmvn_general_kernelILj256ELj32Eli18rocsparse_bfloat16S1_ffEEvbT2_NS_24const_host_device_scalarIT6_EEPKT1_S8_PKS2_PKT3_PKT4_S5_PT5_21rocsparse_index_base_b, .Lfunc_end246-_ZN9rocsparseL21csrmvn_general_kernelILj256ELj32Eli18rocsparse_bfloat16S1_ffEEvbT2_NS_24const_host_device_scalarIT6_EEPKT1_S8_PKS2_PKT3_PKT4_S5_PT5_21rocsparse_index_base_b
                                        ; -- End function
	.section	.AMDGPU.csdata,"",@progbits
; Kernel info:
; codeLenInByte = 700
; NumSgprs: 30
; NumVgprs: 20
; NumAgprs: 0
; TotalNumVgprs: 20
; ScratchSize: 0
; MemoryBound: 0
; FloatMode: 240
; IeeeMode: 1
; LDSByteSize: 0 bytes/workgroup (compile time only)
; SGPRBlocks: 3
; VGPRBlocks: 2
; NumSGPRsForWavesPerEU: 30
; NumVGPRsForWavesPerEU: 20
; AccumOffset: 20
; Occupancy: 8
; WaveLimiterHint : 1
; COMPUTE_PGM_RSRC2:SCRATCH_EN: 0
; COMPUTE_PGM_RSRC2:USER_SGPR: 6
; COMPUTE_PGM_RSRC2:TRAP_HANDLER: 0
; COMPUTE_PGM_RSRC2:TGID_X_EN: 1
; COMPUTE_PGM_RSRC2:TGID_Y_EN: 0
; COMPUTE_PGM_RSRC2:TGID_Z_EN: 0
; COMPUTE_PGM_RSRC2:TIDIG_COMP_CNT: 0
; COMPUTE_PGM_RSRC3_GFX90A:ACCUM_OFFSET: 4
; COMPUTE_PGM_RSRC3_GFX90A:TG_SPLIT: 0
	.section	.text._ZN9rocsparseL21csrmvn_general_kernelILj256ELj64Eli18rocsparse_bfloat16S1_ffEEvbT2_NS_24const_host_device_scalarIT6_EEPKT1_S8_PKS2_PKT3_PKT4_S5_PT5_21rocsparse_index_base_b,"axG",@progbits,_ZN9rocsparseL21csrmvn_general_kernelILj256ELj64Eli18rocsparse_bfloat16S1_ffEEvbT2_NS_24const_host_device_scalarIT6_EEPKT1_S8_PKS2_PKT3_PKT4_S5_PT5_21rocsparse_index_base_b,comdat
	.globl	_ZN9rocsparseL21csrmvn_general_kernelILj256ELj64Eli18rocsparse_bfloat16S1_ffEEvbT2_NS_24const_host_device_scalarIT6_EEPKT1_S8_PKS2_PKT3_PKT4_S5_PT5_21rocsparse_index_base_b ; -- Begin function _ZN9rocsparseL21csrmvn_general_kernelILj256ELj64Eli18rocsparse_bfloat16S1_ffEEvbT2_NS_24const_host_device_scalarIT6_EEPKT1_S8_PKS2_PKT3_PKT4_S5_PT5_21rocsparse_index_base_b
	.p2align	8
	.type	_ZN9rocsparseL21csrmvn_general_kernelILj256ELj64Eli18rocsparse_bfloat16S1_ffEEvbT2_NS_24const_host_device_scalarIT6_EEPKT1_S8_PKS2_PKT3_PKT4_S5_PT5_21rocsparse_index_base_b,@function
_ZN9rocsparseL21csrmvn_general_kernelILj256ELj64Eli18rocsparse_bfloat16S1_ffEEvbT2_NS_24const_host_device_scalarIT6_EEPKT1_S8_PKS2_PKT3_PKT4_S5_PT5_21rocsparse_index_base_b: ; @_ZN9rocsparseL21csrmvn_general_kernelILj256ELj64Eli18rocsparse_bfloat16S1_ffEEvbT2_NS_24const_host_device_scalarIT6_EEPKT1_S8_PKS2_PKT3_PKT4_S5_PT5_21rocsparse_index_base_b
; %bb.0:
	s_load_dwordx2 s[20:21], s[4:5], 0x48
	s_load_dwordx4 s[16:19], s[4:5], 0x8
	s_load_dwordx2 s[22:23], s[4:5], 0x38
	s_waitcnt lgkmcnt(0)
	s_bitcmp1_b32 s21, 0
	s_cselect_b64 s[2:3], -1, 0
	s_xor_b64 s[0:1], s[2:3], -1
	s_and_b64 vcc, exec, s[2:3]
	s_cbranch_vccnz .LBB247_2
; %bb.1:
	s_load_dword s16, s[16:17], 0x0
.LBB247_2:
	s_andn2_b64 vcc, exec, s[0:1]
	s_cbranch_vccnz .LBB247_4
; %bb.3:
	s_load_dword s22, s[22:23], 0x0
.LBB247_4:
	s_waitcnt lgkmcnt(0)
	v_cmp_neq_f32_e64 s[0:1], s16, 0
	v_cmp_neq_f32_e64 s[2:3], s22, 1.0
	s_or_b64 s[0:1], s[0:1], s[2:3]
	s_andn2_b64 vcc, exec, s[0:1]
	s_cbranch_vccnz .LBB247_16
; %bb.5:
	s_load_dword s17, s[4:5], 0x4
	v_lshl_or_b32 v1, s6, 8, v0
	v_lshrrev_b32_e32 v2, 6, v1
	s_waitcnt lgkmcnt(0)
	v_cmp_gt_i32_e32 vcc, s17, v2
	s_and_saveexec_b64 s[0:1], vcc
	s_cbranch_execz .LBB247_16
; %bb.6:
	s_load_dword s0, s[4:5], 0x50
	s_load_dwordx2 s[6:7], s[4:5], 0x40
	s_load_dwordx8 s[8:15], s[4:5], 0x18
	v_and_b32_e32 v0, 63, v0
	v_subrev_co_u32_e32 v10, vcc, s20, v0
	s_waitcnt lgkmcnt(0)
	s_lshl_b32 s21, s0, 2
	v_subb_co_u32_e64 v11, s[0:1], 0, 0, vcc
	s_ashr_i32 s1, s20, 31
	s_mov_b32 s0, s20
	s_lshl_b64 s[0:1], s[0:1], 1
	s_sub_u32 s23, s14, s0
	s_mov_b32 s2, 0
	s_subb_u32 s3, s15, s1
	v_cmp_eq_u32_e64 s[0:1], 63, v0
	v_cmp_neq_f32_e64 s[4:5], s22, 0
	s_mov_b64 s[14:15], 0
	v_mov_b32_e32 v12, s19
	v_mov_b32_e32 v13, s9
	;; [unrolled: 1-line block ×4, first 2 shown]
	s_branch .LBB247_9
.LBB247_7:                              ;   in Loop: Header=BB247_9 Depth=1
	global_store_dword v[0:1], v4, off
.LBB247_8:                              ;   in Loop: Header=BB247_9 Depth=1
	s_or_b64 exec, exec, s[24:25]
	v_add_u32_e32 v2, s21, v2
	v_cmp_le_i32_e32 vcc, s17, v2
	s_or_b64 s[14:15], vcc, s[14:15]
	s_andn2_b64 exec, exec, s[14:15]
	s_cbranch_execz .LBB247_16
.LBB247_9:                              ; =>This Loop Header: Depth=1
                                        ;     Child Loop BB247_11 Depth 2
	v_ashrrev_i32_e32 v3, 31, v2
	v_lshlrev_b64 v[0:1], 3, v[2:3]
	v_add_co_u32_e32 v4, vcc, s8, v0
	v_addc_co_u32_e32 v5, vcc, v13, v1, vcc
	global_load_dwordx2 v[4:5], v[4:5], off
	v_add_co_u32_e32 v0, vcc, s18, v0
	v_addc_co_u32_e32 v1, vcc, v12, v1, vcc
	global_load_dwordx2 v[6:7], v[0:1], off
	v_mov_b32_e32 v16, 0
	s_waitcnt vmcnt(1)
	v_subrev_co_u32_e32 v0, vcc, s20, v4
	v_subb_co_u32_e32 v1, vcc, v5, v14, vcc
	s_waitcnt vmcnt(0)
	v_add_co_u32_e32 v4, vcc, v6, v10
	v_addc_co_u32_e32 v5, vcc, v7, v11, vcc
	v_cmp_lt_i64_e32 vcc, v[4:5], v[0:1]
	s_and_saveexec_b64 s[24:25], vcc
	s_cbranch_execz .LBB247_13
; %bb.10:                               ;   in Loop: Header=BB247_9 Depth=1
	v_lshlrev_b64 v[6:7], 1, v[4:5]
	v_mov_b32_e32 v8, s13
	v_add_co_u32_e32 v6, vcc, s12, v6
	v_addc_co_u32_e32 v7, vcc, v8, v7, vcc
	v_lshlrev_b64 v[8:9], 2, v[4:5]
	v_mov_b32_e32 v16, s11
	v_add_co_u32_e32 v8, vcc, s10, v8
	v_addc_co_u32_e32 v9, vcc, v16, v9, vcc
	s_mov_b64 s[26:27], 0
	v_mov_b32_e32 v16, 0
.LBB247_11:                             ;   Parent Loop BB247_9 Depth=1
                                        ; =>  This Inner Loop Header: Depth=2
	global_load_dword v18, v[8:9], off
	global_load_ushort v17, v[6:7], off
	s_waitcnt vmcnt(1)
	v_ashrrev_i32_e32 v19, 31, v18
	v_lshlrev_b64 v[18:19], 1, v[18:19]
	v_add_co_u32_e32 v18, vcc, s23, v18
	v_addc_co_u32_e32 v19, vcc, v15, v19, vcc
	global_load_ushort v18, v[18:19], off
	v_add_co_u32_e32 v4, vcc, 64, v4
	v_addc_co_u32_e32 v5, vcc, 0, v5, vcc
	v_add_co_u32_e32 v6, vcc, 0x80, v6
	v_addc_co_u32_e32 v7, vcc, 0, v7, vcc
	s_waitcnt vmcnt(1)
	v_lshlrev_b32_e32 v17, 16, v17
	v_add_co_u32_e32 v8, vcc, 0x100, v8
	v_cmp_ge_i64_e64 s[2:3], v[4:5], v[0:1]
	v_mul_f32_e32 v17, s16, v17
	v_addc_co_u32_e32 v9, vcc, 0, v9, vcc
	s_or_b64 s[26:27], s[2:3], s[26:27]
	s_waitcnt vmcnt(0)
	v_lshlrev_b32_e32 v18, 16, v18
	v_fmac_f32_e32 v16, v17, v18
	s_andn2_b64 exec, exec, s[26:27]
	s_cbranch_execnz .LBB247_11
; %bb.12:                               ;   in Loop: Header=BB247_9 Depth=1
	s_or_b64 exec, exec, s[26:27]
.LBB247_13:                             ;   in Loop: Header=BB247_9 Depth=1
	s_or_b64 exec, exec, s[24:25]
	v_mov_b32_dpp v0, v16 row_shr:1 row_mask:0xf bank_mask:0xf
	v_add_f32_e32 v0, v16, v0
	s_nop 1
	v_mov_b32_dpp v1, v0 row_shr:2 row_mask:0xf bank_mask:0xf
	v_add_f32_e32 v0, v0, v1
	s_nop 1
	;; [unrolled: 3-line block ×4, first 2 shown]
	v_mov_b32_dpp v1, v0 row_bcast:15 row_mask:0xa bank_mask:0xf
	v_add_f32_e32 v0, v0, v1
	s_nop 1
	v_mov_b32_dpp v1, v0 row_bcast:31 row_mask:0xc bank_mask:0xf
	s_and_saveexec_b64 s[24:25], s[0:1]
	s_cbranch_execz .LBB247_8
; %bb.14:                               ;   in Loop: Header=BB247_9 Depth=1
	v_add_f32_e32 v4, v0, v1
	v_lshlrev_b64 v[0:1], 2, v[2:3]
	v_mov_b32_e32 v3, s7
	v_add_co_u32_e64 v0, s[2:3], s6, v0
	s_andn2_b64 vcc, exec, s[4:5]
	v_addc_co_u32_e64 v1, s[2:3], v3, v1, s[2:3]
	s_cbranch_vccnz .LBB247_7
; %bb.15:                               ;   in Loop: Header=BB247_9 Depth=1
	global_load_dword v3, v[0:1], off
	s_waitcnt vmcnt(0)
	v_fmac_f32_e32 v4, s22, v3
	s_branch .LBB247_7
.LBB247_16:
	s_endpgm
	.section	.rodata,"a",@progbits
	.p2align	6, 0x0
	.amdhsa_kernel _ZN9rocsparseL21csrmvn_general_kernelILj256ELj64Eli18rocsparse_bfloat16S1_ffEEvbT2_NS_24const_host_device_scalarIT6_EEPKT1_S8_PKS2_PKT3_PKT4_S5_PT5_21rocsparse_index_base_b
		.amdhsa_group_segment_fixed_size 0
		.amdhsa_private_segment_fixed_size 0
		.amdhsa_kernarg_size 336
		.amdhsa_user_sgpr_count 6
		.amdhsa_user_sgpr_private_segment_buffer 1
		.amdhsa_user_sgpr_dispatch_ptr 0
		.amdhsa_user_sgpr_queue_ptr 0
		.amdhsa_user_sgpr_kernarg_segment_ptr 1
		.amdhsa_user_sgpr_dispatch_id 0
		.amdhsa_user_sgpr_flat_scratch_init 0
		.amdhsa_user_sgpr_kernarg_preload_length 0
		.amdhsa_user_sgpr_kernarg_preload_offset 0
		.amdhsa_user_sgpr_private_segment_size 0
		.amdhsa_uses_dynamic_stack 0
		.amdhsa_system_sgpr_private_segment_wavefront_offset 0
		.amdhsa_system_sgpr_workgroup_id_x 1
		.amdhsa_system_sgpr_workgroup_id_y 0
		.amdhsa_system_sgpr_workgroup_id_z 0
		.amdhsa_system_sgpr_workgroup_info 0
		.amdhsa_system_vgpr_workitem_id 0
		.amdhsa_next_free_vgpr 20
		.amdhsa_next_free_sgpr 28
		.amdhsa_accum_offset 20
		.amdhsa_reserve_vcc 1
		.amdhsa_reserve_flat_scratch 0
		.amdhsa_float_round_mode_32 0
		.amdhsa_float_round_mode_16_64 0
		.amdhsa_float_denorm_mode_32 3
		.amdhsa_float_denorm_mode_16_64 3
		.amdhsa_dx10_clamp 1
		.amdhsa_ieee_mode 1
		.amdhsa_fp16_overflow 0
		.amdhsa_tg_split 0
		.amdhsa_exception_fp_ieee_invalid_op 0
		.amdhsa_exception_fp_denorm_src 0
		.amdhsa_exception_fp_ieee_div_zero 0
		.amdhsa_exception_fp_ieee_overflow 0
		.amdhsa_exception_fp_ieee_underflow 0
		.amdhsa_exception_fp_ieee_inexact 0
		.amdhsa_exception_int_div_zero 0
	.end_amdhsa_kernel
	.section	.text._ZN9rocsparseL21csrmvn_general_kernelILj256ELj64Eli18rocsparse_bfloat16S1_ffEEvbT2_NS_24const_host_device_scalarIT6_EEPKT1_S8_PKS2_PKT3_PKT4_S5_PT5_21rocsparse_index_base_b,"axG",@progbits,_ZN9rocsparseL21csrmvn_general_kernelILj256ELj64Eli18rocsparse_bfloat16S1_ffEEvbT2_NS_24const_host_device_scalarIT6_EEPKT1_S8_PKS2_PKT3_PKT4_S5_PT5_21rocsparse_index_base_b,comdat
.Lfunc_end247:
	.size	_ZN9rocsparseL21csrmvn_general_kernelILj256ELj64Eli18rocsparse_bfloat16S1_ffEEvbT2_NS_24const_host_device_scalarIT6_EEPKT1_S8_PKS2_PKT3_PKT4_S5_PT5_21rocsparse_index_base_b, .Lfunc_end247-_ZN9rocsparseL21csrmvn_general_kernelILj256ELj64Eli18rocsparse_bfloat16S1_ffEEvbT2_NS_24const_host_device_scalarIT6_EEPKT1_S8_PKS2_PKT3_PKT4_S5_PT5_21rocsparse_index_base_b
                                        ; -- End function
	.section	.AMDGPU.csdata,"",@progbits
; Kernel info:
; codeLenInByte = 708
; NumSgprs: 32
; NumVgprs: 20
; NumAgprs: 0
; TotalNumVgprs: 20
; ScratchSize: 0
; MemoryBound: 0
; FloatMode: 240
; IeeeMode: 1
; LDSByteSize: 0 bytes/workgroup (compile time only)
; SGPRBlocks: 3
; VGPRBlocks: 2
; NumSGPRsForWavesPerEU: 32
; NumVGPRsForWavesPerEU: 20
; AccumOffset: 20
; Occupancy: 8
; WaveLimiterHint : 1
; COMPUTE_PGM_RSRC2:SCRATCH_EN: 0
; COMPUTE_PGM_RSRC2:USER_SGPR: 6
; COMPUTE_PGM_RSRC2:TRAP_HANDLER: 0
; COMPUTE_PGM_RSRC2:TGID_X_EN: 1
; COMPUTE_PGM_RSRC2:TGID_Y_EN: 0
; COMPUTE_PGM_RSRC2:TGID_Z_EN: 0
; COMPUTE_PGM_RSRC2:TIDIG_COMP_CNT: 0
; COMPUTE_PGM_RSRC3_GFX90A:ACCUM_OFFSET: 4
; COMPUTE_PGM_RSRC3_GFX90A:TG_SPLIT: 0
	.section	.text._ZN9rocsparseL21csrmvt_general_kernelILj256ELj4Eli18rocsparse_bfloat16S1_ffEEvbbT2_NS_24const_host_device_scalarIT6_EEPKT1_S8_PKS2_PKT3_PKT4_PT5_21rocsparse_index_base_b,"axG",@progbits,_ZN9rocsparseL21csrmvt_general_kernelILj256ELj4Eli18rocsparse_bfloat16S1_ffEEvbbT2_NS_24const_host_device_scalarIT6_EEPKT1_S8_PKS2_PKT3_PKT4_PT5_21rocsparse_index_base_b,comdat
	.globl	_ZN9rocsparseL21csrmvt_general_kernelILj256ELj4Eli18rocsparse_bfloat16S1_ffEEvbbT2_NS_24const_host_device_scalarIT6_EEPKT1_S8_PKS2_PKT3_PKT4_PT5_21rocsparse_index_base_b ; -- Begin function _ZN9rocsparseL21csrmvt_general_kernelILj256ELj4Eli18rocsparse_bfloat16S1_ffEEvbbT2_NS_24const_host_device_scalarIT6_EEPKT1_S8_PKS2_PKT3_PKT4_PT5_21rocsparse_index_base_b
	.p2align	8
	.type	_ZN9rocsparseL21csrmvt_general_kernelILj256ELj4Eli18rocsparse_bfloat16S1_ffEEvbbT2_NS_24const_host_device_scalarIT6_EEPKT1_S8_PKS2_PKT3_PKT4_PT5_21rocsparse_index_base_b,@function
_ZN9rocsparseL21csrmvt_general_kernelILj256ELj4Eli18rocsparse_bfloat16S1_ffEEvbbT2_NS_24const_host_device_scalarIT6_EEPKT1_S8_PKS2_PKT3_PKT4_PT5_21rocsparse_index_base_b: ; @_ZN9rocsparseL21csrmvt_general_kernelILj256ELj4Eli18rocsparse_bfloat16S1_ffEEvbbT2_NS_24const_host_device_scalarIT6_EEPKT1_S8_PKS2_PKT3_PKT4_PT5_21rocsparse_index_base_b
; %bb.0:
	s_load_dwordx2 s[2:3], s[4:5], 0x40
	s_load_dwordx4 s[16:19], s[4:5], 0x8
	s_waitcnt lgkmcnt(0)
	s_bitcmp1_b32 s3, 0
	s_cselect_b64 s[0:1], -1, 0
	s_and_b64 vcc, exec, s[0:1]
	s_cbranch_vccnz .LBB248_2
; %bb.1:
	s_load_dword s16, s[16:17], 0x0
.LBB248_2:
	s_waitcnt lgkmcnt(0)
	v_cmp_eq_f32_e64 s[0:1], s16, 0
	s_and_b64 vcc, exec, s[0:1]
	s_cbranch_vccnz .LBB248_23
; %bb.3:
	s_load_dwordx2 s[20:21], s[4:5], 0x0
	s_load_dword s0, s[4:5], 0x48
	s_load_dwordx2 s[22:23], s[4:5], 0x38
	s_load_dwordx8 s[8:15], s[4:5], 0x18
	v_and_b32_e32 v1, 3, v0
	v_lshl_or_b32 v0, s6, 8, v0
	s_waitcnt lgkmcnt(0)
	s_and_b32 s1, s20, 1
	s_lshl_b32 s3, s0, 6
	v_lshrrev_b32_e32 v0, 2, v0
	s_cmp_eq_u32 s1, 0
	v_cmp_gt_i32_e64 s[0:1], s21, v0
	s_mov_b64 s[4:5], -1
	s_cbranch_scc0 .LBB248_13
; %bb.4:
	s_and_saveexec_b64 s[4:5], s[0:1]
	s_cbranch_execz .LBB248_12
; %bb.5:
	v_subrev_co_u32_e32 v12, vcc, s2, v1
	s_mov_b32 s17, 0
	v_subb_co_u32_e64 v13, s[6:7], 0, 0, vcc
	s_mov_b64 s[6:7], 0
	v_mov_b32_e32 v14, s19
	v_mov_b32_e32 v15, s9
	;; [unrolled: 1-line block ×4, first 2 shown]
	s_branch .LBB248_7
.LBB248_6:                              ;   in Loop: Header=BB248_7 Depth=1
	s_or_b64 exec, exec, s[24:25]
	v_add_u32_e32 v2, s3, v2
	v_cmp_le_i32_e32 vcc, s21, v2
	s_or_b64 s[6:7], vcc, s[6:7]
	s_andn2_b64 exec, exec, s[6:7]
	s_cbranch_execz .LBB248_12
.LBB248_7:                              ; =>This Loop Header: Depth=1
                                        ;     Child Loop BB248_9 Depth 2
                                        ;       Child Loop BB248_10 Depth 3
	v_ashrrev_i32_e32 v3, 31, v2
	v_lshlrev_b64 v[4:5], 3, v[2:3]
	v_add_co_u32_e32 v6, vcc, s8, v4
	v_addc_co_u32_e32 v7, vcc, v15, v5, vcc
	global_load_dwordx2 v[6:7], v[6:7], off
	v_add_co_u32_e32 v4, vcc, s18, v4
	v_addc_co_u32_e32 v5, vcc, v14, v5, vcc
	global_load_dwordx2 v[8:9], v[4:5], off
	s_waitcnt vmcnt(1)
	v_subrev_co_u32_e32 v4, vcc, s2, v6
	v_subb_co_u32_e32 v5, vcc, v7, v16, vcc
	s_waitcnt vmcnt(0)
	v_add_co_u32_e32 v6, vcc, v8, v12
	v_addc_co_u32_e32 v7, vcc, v9, v13, vcc
	v_cmp_lt_i64_e32 vcc, v[6:7], v[4:5]
	s_and_saveexec_b64 s[24:25], vcc
	s_cbranch_execz .LBB248_6
; %bb.8:                                ;   in Loop: Header=BB248_7 Depth=1
	v_lshlrev_b64 v[8:9], 1, v[2:3]
	v_mov_b32_e32 v3, s15
	v_add_co_u32_e32 v8, vcc, s14, v8
	v_addc_co_u32_e32 v9, vcc, v3, v9, vcc
	global_load_ushort v3, v[8:9], off
	s_mov_b64 s[26:27], 0
	s_waitcnt vmcnt(0)
	v_lshlrev_b32_e32 v3, 16, v3
	v_mul_f32_e32 v3, s16, v3
.LBB248_9:                              ;   Parent Loop BB248_7 Depth=1
                                        ; =>  This Loop Header: Depth=2
                                        ;       Child Loop BB248_10 Depth 3
	v_lshlrev_b64 v[8:9], 2, v[6:7]
	v_mov_b32_e32 v10, s11
	v_add_co_u32_e32 v8, vcc, s10, v8
	v_addc_co_u32_e32 v9, vcc, v10, v9, vcc
	global_load_dword v10, v[8:9], off
	v_lshlrev_b64 v[8:9], 1, v[6:7]
	v_mov_b32_e32 v11, s13
	v_add_co_u32_e32 v8, vcc, s12, v8
	v_addc_co_u32_e32 v9, vcc, v11, v9, vcc
	global_load_ushort v18, v[8:9], off
	v_mov_b32_e32 v17, s23
	s_mov_b64 s[28:29], 0
	s_waitcnt vmcnt(1)
	v_subrev_u32_e32 v8, s2, v10
	v_ashrrev_i32_e32 v9, 31, v8
	v_lshlrev_b64 v[8:9], 2, v[8:9]
	v_add_co_u32_e32 v8, vcc, s22, v8
	v_addc_co_u32_e32 v9, vcc, v17, v9, vcc
	global_load_dword v11, v[8:9], off
	s_waitcnt vmcnt(1)
	v_lshlrev_b32_e32 v10, 16, v18
	v_mul_f32_e32 v17, v3, v10
.LBB248_10:                             ;   Parent Loop BB248_7 Depth=1
                                        ;     Parent Loop BB248_9 Depth=2
                                        ; =>    This Inner Loop Header: Depth=3
	s_waitcnt vmcnt(0)
	v_add_f32_e32 v10, v11, v17
	global_atomic_cmpswap v10, v[8:9], v[10:11], off glc
	s_waitcnt vmcnt(0)
	v_cmp_eq_u32_e32 vcc, v10, v11
	s_or_b64 s[28:29], vcc, s[28:29]
	v_mov_b32_e32 v11, v10
	s_andn2_b64 exec, exec, s[28:29]
	s_cbranch_execnz .LBB248_10
; %bb.11:                               ;   in Loop: Header=BB248_9 Depth=2
	s_or_b64 exec, exec, s[28:29]
	v_add_co_u32_e32 v6, vcc, 4, v6
	v_addc_co_u32_e32 v7, vcc, 0, v7, vcc
	v_cmp_ge_i64_e32 vcc, v[6:7], v[4:5]
	s_or_b64 s[26:27], vcc, s[26:27]
	s_andn2_b64 exec, exec, s[26:27]
	s_cbranch_execnz .LBB248_9
	s_branch .LBB248_6
.LBB248_12:
	s_or_b64 exec, exec, s[4:5]
	s_mov_b64 s[4:5], 0
.LBB248_13:
	s_andn2_b64 vcc, exec, s[4:5]
	s_cbranch_vccnz .LBB248_23
; %bb.14:
	s_and_saveexec_b64 s[4:5], s[0:1]
	s_cbranch_execz .LBB248_23
; %bb.15:
	v_subrev_co_u32_e32 v10, vcc, s2, v1
	s_mov_b32 s4, 0
	v_subb_co_u32_e64 v11, s[0:1], 0, 0, vcc
	s_mov_b64 s[0:1], 0
	v_mov_b32_e32 v12, s19
	v_mov_b32_e32 v13, s9
	;; [unrolled: 1-line block ×3, first 2 shown]
	s_branch .LBB248_17
.LBB248_16:                             ;   in Loop: Header=BB248_17 Depth=1
	s_or_b64 exec, exec, s[4:5]
	v_add_u32_e32 v0, s3, v0
	v_cmp_le_i32_e32 vcc, s21, v0
	s_or_b64 s[0:1], vcc, s[0:1]
	s_andn2_b64 exec, exec, s[0:1]
	s_cbranch_execz .LBB248_23
.LBB248_17:                             ; =>This Loop Header: Depth=1
                                        ;     Child Loop BB248_20 Depth 2
                                        ;       Child Loop BB248_22 Depth 3
	v_ashrrev_i32_e32 v1, 31, v0
	v_lshlrev_b64 v[2:3], 3, v[0:1]
	v_add_co_u32_e32 v4, vcc, s8, v2
	v_addc_co_u32_e32 v5, vcc, v13, v3, vcc
	global_load_dwordx2 v[4:5], v[4:5], off
	v_add_co_u32_e32 v2, vcc, s18, v2
	v_addc_co_u32_e32 v3, vcc, v12, v3, vcc
	global_load_dwordx2 v[6:7], v[2:3], off
	s_waitcnt vmcnt(1)
	v_subrev_co_u32_e32 v2, vcc, s2, v4
	v_subb_co_u32_e32 v3, vcc, v5, v14, vcc
	s_waitcnt vmcnt(0)
	v_add_co_u32_e32 v4, vcc, v6, v10
	v_addc_co_u32_e32 v5, vcc, v7, v11, vcc
	v_cmp_lt_i64_e32 vcc, v[4:5], v[2:3]
	s_and_saveexec_b64 s[4:5], vcc
	s_cbranch_execz .LBB248_16
; %bb.18:                               ;   in Loop: Header=BB248_17 Depth=1
	v_lshlrev_b64 v[6:7], 1, v[0:1]
	v_mov_b32_e32 v1, s15
	v_add_co_u32_e32 v6, vcc, s14, v6
	v_addc_co_u32_e32 v7, vcc, v1, v7, vcc
	global_load_ushort v1, v[6:7], off
	s_mov_b64 s[6:7], 0
	s_waitcnt vmcnt(0)
	v_lshlrev_b32_e32 v1, 16, v1
	v_mul_f32_e32 v1, s16, v1
	s_branch .LBB248_20
.LBB248_19:                             ;   in Loop: Header=BB248_20 Depth=2
	s_or_b64 exec, exec, s[24:25]
	v_add_co_u32_e32 v4, vcc, 4, v4
	v_addc_co_u32_e32 v5, vcc, 0, v5, vcc
	v_cmp_ge_i64_e32 vcc, v[4:5], v[2:3]
	s_or_b64 s[6:7], vcc, s[6:7]
	s_andn2_b64 exec, exec, s[6:7]
	s_cbranch_execz .LBB248_16
.LBB248_20:                             ;   Parent Loop BB248_17 Depth=1
                                        ; =>  This Loop Header: Depth=2
                                        ;       Child Loop BB248_22 Depth 3
	v_lshlrev_b64 v[6:7], 2, v[4:5]
	v_mov_b32_e32 v8, s11
	v_add_co_u32_e32 v6, vcc, s10, v6
	v_addc_co_u32_e32 v7, vcc, v8, v7, vcc
	global_load_dword v6, v[6:7], off
	s_waitcnt vmcnt(0)
	v_subrev_u32_e32 v6, s2, v6
	v_cmp_ne_u32_e32 vcc, v6, v0
	s_and_saveexec_b64 s[24:25], vcc
	s_cbranch_execz .LBB248_19
; %bb.21:                               ;   in Loop: Header=BB248_20 Depth=2
	v_lshlrev_b64 v[8:9], 1, v[4:5]
	v_mov_b32_e32 v7, s13
	v_add_co_u32_e32 v8, vcc, s12, v8
	v_addc_co_u32_e32 v9, vcc, v7, v9, vcc
	v_ashrrev_i32_e32 v7, 31, v6
	v_lshlrev_b64 v[6:7], 2, v[6:7]
	v_mov_b32_e32 v15, s23
	global_load_ushort v8, v[8:9], off
	v_add_co_u32_e32 v6, vcc, s22, v6
	v_addc_co_u32_e32 v7, vcc, v15, v7, vcc
	global_load_dword v9, v[6:7], off
	s_mov_b64 s[26:27], 0
	s_waitcnt vmcnt(1)
	v_lshlrev_b32_e32 v8, 16, v8
	v_mul_f32_e32 v15, v1, v8
.LBB248_22:                             ;   Parent Loop BB248_17 Depth=1
                                        ;     Parent Loop BB248_20 Depth=2
                                        ; =>    This Inner Loop Header: Depth=3
	s_waitcnt vmcnt(0)
	v_add_f32_e32 v8, v9, v15
	global_atomic_cmpswap v8, v[6:7], v[8:9], off glc
	s_waitcnt vmcnt(0)
	v_cmp_eq_u32_e32 vcc, v8, v9
	s_or_b64 s[26:27], vcc, s[26:27]
	v_mov_b32_e32 v9, v8
	s_andn2_b64 exec, exec, s[26:27]
	s_cbranch_execnz .LBB248_22
	s_branch .LBB248_19
.LBB248_23:
	s_endpgm
	.section	.rodata,"a",@progbits
	.p2align	6, 0x0
	.amdhsa_kernel _ZN9rocsparseL21csrmvt_general_kernelILj256ELj4Eli18rocsparse_bfloat16S1_ffEEvbbT2_NS_24const_host_device_scalarIT6_EEPKT1_S8_PKS2_PKT3_PKT4_PT5_21rocsparse_index_base_b
		.amdhsa_group_segment_fixed_size 0
		.amdhsa_private_segment_fixed_size 0
		.amdhsa_kernarg_size 328
		.amdhsa_user_sgpr_count 6
		.amdhsa_user_sgpr_private_segment_buffer 1
		.amdhsa_user_sgpr_dispatch_ptr 0
		.amdhsa_user_sgpr_queue_ptr 0
		.amdhsa_user_sgpr_kernarg_segment_ptr 1
		.amdhsa_user_sgpr_dispatch_id 0
		.amdhsa_user_sgpr_flat_scratch_init 0
		.amdhsa_user_sgpr_kernarg_preload_length 0
		.amdhsa_user_sgpr_kernarg_preload_offset 0
		.amdhsa_user_sgpr_private_segment_size 0
		.amdhsa_uses_dynamic_stack 0
		.amdhsa_system_sgpr_private_segment_wavefront_offset 0
		.amdhsa_system_sgpr_workgroup_id_x 1
		.amdhsa_system_sgpr_workgroup_id_y 0
		.amdhsa_system_sgpr_workgroup_id_z 0
		.amdhsa_system_sgpr_workgroup_info 0
		.amdhsa_system_vgpr_workitem_id 0
		.amdhsa_next_free_vgpr 19
		.amdhsa_next_free_sgpr 30
		.amdhsa_accum_offset 20
		.amdhsa_reserve_vcc 1
		.amdhsa_reserve_flat_scratch 0
		.amdhsa_float_round_mode_32 0
		.amdhsa_float_round_mode_16_64 0
		.amdhsa_float_denorm_mode_32 3
		.amdhsa_float_denorm_mode_16_64 3
		.amdhsa_dx10_clamp 1
		.amdhsa_ieee_mode 1
		.amdhsa_fp16_overflow 0
		.amdhsa_tg_split 0
		.amdhsa_exception_fp_ieee_invalid_op 0
		.amdhsa_exception_fp_denorm_src 0
		.amdhsa_exception_fp_ieee_div_zero 0
		.amdhsa_exception_fp_ieee_overflow 0
		.amdhsa_exception_fp_ieee_underflow 0
		.amdhsa_exception_fp_ieee_inexact 0
		.amdhsa_exception_int_div_zero 0
	.end_amdhsa_kernel
	.section	.text._ZN9rocsparseL21csrmvt_general_kernelILj256ELj4Eli18rocsparse_bfloat16S1_ffEEvbbT2_NS_24const_host_device_scalarIT6_EEPKT1_S8_PKS2_PKT3_PKT4_PT5_21rocsparse_index_base_b,"axG",@progbits,_ZN9rocsparseL21csrmvt_general_kernelILj256ELj4Eli18rocsparse_bfloat16S1_ffEEvbbT2_NS_24const_host_device_scalarIT6_EEPKT1_S8_PKS2_PKT3_PKT4_PT5_21rocsparse_index_base_b,comdat
.Lfunc_end248:
	.size	_ZN9rocsparseL21csrmvt_general_kernelILj256ELj4Eli18rocsparse_bfloat16S1_ffEEvbbT2_NS_24const_host_device_scalarIT6_EEPKT1_S8_PKS2_PKT3_PKT4_PT5_21rocsparse_index_base_b, .Lfunc_end248-_ZN9rocsparseL21csrmvt_general_kernelILj256ELj4Eli18rocsparse_bfloat16S1_ffEEvbbT2_NS_24const_host_device_scalarIT6_EEPKT1_S8_PKS2_PKT3_PKT4_PT5_21rocsparse_index_base_b
                                        ; -- End function
	.section	.AMDGPU.csdata,"",@progbits
; Kernel info:
; codeLenInByte = 936
; NumSgprs: 34
; NumVgprs: 19
; NumAgprs: 0
; TotalNumVgprs: 19
; ScratchSize: 0
; MemoryBound: 0
; FloatMode: 240
; IeeeMode: 1
; LDSByteSize: 0 bytes/workgroup (compile time only)
; SGPRBlocks: 4
; VGPRBlocks: 2
; NumSGPRsForWavesPerEU: 34
; NumVGPRsForWavesPerEU: 19
; AccumOffset: 20
; Occupancy: 8
; WaveLimiterHint : 1
; COMPUTE_PGM_RSRC2:SCRATCH_EN: 0
; COMPUTE_PGM_RSRC2:USER_SGPR: 6
; COMPUTE_PGM_RSRC2:TRAP_HANDLER: 0
; COMPUTE_PGM_RSRC2:TGID_X_EN: 1
; COMPUTE_PGM_RSRC2:TGID_Y_EN: 0
; COMPUTE_PGM_RSRC2:TGID_Z_EN: 0
; COMPUTE_PGM_RSRC2:TIDIG_COMP_CNT: 0
; COMPUTE_PGM_RSRC3_GFX90A:ACCUM_OFFSET: 4
; COMPUTE_PGM_RSRC3_GFX90A:TG_SPLIT: 0
	.section	.text._ZN9rocsparseL21csrmvt_general_kernelILj256ELj8Eli18rocsparse_bfloat16S1_ffEEvbbT2_NS_24const_host_device_scalarIT6_EEPKT1_S8_PKS2_PKT3_PKT4_PT5_21rocsparse_index_base_b,"axG",@progbits,_ZN9rocsparseL21csrmvt_general_kernelILj256ELj8Eli18rocsparse_bfloat16S1_ffEEvbbT2_NS_24const_host_device_scalarIT6_EEPKT1_S8_PKS2_PKT3_PKT4_PT5_21rocsparse_index_base_b,comdat
	.globl	_ZN9rocsparseL21csrmvt_general_kernelILj256ELj8Eli18rocsparse_bfloat16S1_ffEEvbbT2_NS_24const_host_device_scalarIT6_EEPKT1_S8_PKS2_PKT3_PKT4_PT5_21rocsparse_index_base_b ; -- Begin function _ZN9rocsparseL21csrmvt_general_kernelILj256ELj8Eli18rocsparse_bfloat16S1_ffEEvbbT2_NS_24const_host_device_scalarIT6_EEPKT1_S8_PKS2_PKT3_PKT4_PT5_21rocsparse_index_base_b
	.p2align	8
	.type	_ZN9rocsparseL21csrmvt_general_kernelILj256ELj8Eli18rocsparse_bfloat16S1_ffEEvbbT2_NS_24const_host_device_scalarIT6_EEPKT1_S8_PKS2_PKT3_PKT4_PT5_21rocsparse_index_base_b,@function
_ZN9rocsparseL21csrmvt_general_kernelILj256ELj8Eli18rocsparse_bfloat16S1_ffEEvbbT2_NS_24const_host_device_scalarIT6_EEPKT1_S8_PKS2_PKT3_PKT4_PT5_21rocsparse_index_base_b: ; @_ZN9rocsparseL21csrmvt_general_kernelILj256ELj8Eli18rocsparse_bfloat16S1_ffEEvbbT2_NS_24const_host_device_scalarIT6_EEPKT1_S8_PKS2_PKT3_PKT4_PT5_21rocsparse_index_base_b
; %bb.0:
	s_load_dwordx2 s[2:3], s[4:5], 0x40
	s_load_dwordx4 s[16:19], s[4:5], 0x8
	s_waitcnt lgkmcnt(0)
	s_bitcmp1_b32 s3, 0
	s_cselect_b64 s[0:1], -1, 0
	s_and_b64 vcc, exec, s[0:1]
	s_cbranch_vccnz .LBB249_2
; %bb.1:
	s_load_dword s16, s[16:17], 0x0
.LBB249_2:
	s_waitcnt lgkmcnt(0)
	v_cmp_eq_f32_e64 s[0:1], s16, 0
	s_and_b64 vcc, exec, s[0:1]
	s_cbranch_vccnz .LBB249_23
; %bb.3:
	s_load_dwordx2 s[20:21], s[4:5], 0x0
	s_load_dword s0, s[4:5], 0x48
	s_load_dwordx2 s[22:23], s[4:5], 0x38
	s_load_dwordx8 s[8:15], s[4:5], 0x18
	v_and_b32_e32 v1, 7, v0
	v_lshl_or_b32 v0, s6, 8, v0
	s_waitcnt lgkmcnt(0)
	s_and_b32 s1, s20, 1
	s_lshl_b32 s3, s0, 5
	v_lshrrev_b32_e32 v0, 3, v0
	s_cmp_eq_u32 s1, 0
	v_cmp_gt_i32_e64 s[0:1], s21, v0
	s_mov_b64 s[4:5], -1
	s_cbranch_scc0 .LBB249_13
; %bb.4:
	s_and_saveexec_b64 s[4:5], s[0:1]
	s_cbranch_execz .LBB249_12
; %bb.5:
	v_subrev_co_u32_e32 v12, vcc, s2, v1
	s_mov_b32 s17, 0
	v_subb_co_u32_e64 v13, s[6:7], 0, 0, vcc
	s_mov_b64 s[6:7], 0
	v_mov_b32_e32 v14, s19
	v_mov_b32_e32 v15, s9
	;; [unrolled: 1-line block ×4, first 2 shown]
	s_branch .LBB249_7
.LBB249_6:                              ;   in Loop: Header=BB249_7 Depth=1
	s_or_b64 exec, exec, s[24:25]
	v_add_u32_e32 v2, s3, v2
	v_cmp_le_i32_e32 vcc, s21, v2
	s_or_b64 s[6:7], vcc, s[6:7]
	s_andn2_b64 exec, exec, s[6:7]
	s_cbranch_execz .LBB249_12
.LBB249_7:                              ; =>This Loop Header: Depth=1
                                        ;     Child Loop BB249_9 Depth 2
                                        ;       Child Loop BB249_10 Depth 3
	v_ashrrev_i32_e32 v3, 31, v2
	v_lshlrev_b64 v[4:5], 3, v[2:3]
	v_add_co_u32_e32 v6, vcc, s8, v4
	v_addc_co_u32_e32 v7, vcc, v15, v5, vcc
	global_load_dwordx2 v[6:7], v[6:7], off
	v_add_co_u32_e32 v4, vcc, s18, v4
	v_addc_co_u32_e32 v5, vcc, v14, v5, vcc
	global_load_dwordx2 v[8:9], v[4:5], off
	s_waitcnt vmcnt(1)
	v_subrev_co_u32_e32 v4, vcc, s2, v6
	v_subb_co_u32_e32 v5, vcc, v7, v16, vcc
	s_waitcnt vmcnt(0)
	v_add_co_u32_e32 v6, vcc, v8, v12
	v_addc_co_u32_e32 v7, vcc, v9, v13, vcc
	v_cmp_lt_i64_e32 vcc, v[6:7], v[4:5]
	s_and_saveexec_b64 s[24:25], vcc
	s_cbranch_execz .LBB249_6
; %bb.8:                                ;   in Loop: Header=BB249_7 Depth=1
	v_lshlrev_b64 v[8:9], 1, v[2:3]
	v_mov_b32_e32 v3, s15
	v_add_co_u32_e32 v8, vcc, s14, v8
	v_addc_co_u32_e32 v9, vcc, v3, v9, vcc
	global_load_ushort v3, v[8:9], off
	s_mov_b64 s[26:27], 0
	s_waitcnt vmcnt(0)
	v_lshlrev_b32_e32 v3, 16, v3
	v_mul_f32_e32 v3, s16, v3
.LBB249_9:                              ;   Parent Loop BB249_7 Depth=1
                                        ; =>  This Loop Header: Depth=2
                                        ;       Child Loop BB249_10 Depth 3
	v_lshlrev_b64 v[8:9], 2, v[6:7]
	v_mov_b32_e32 v10, s11
	v_add_co_u32_e32 v8, vcc, s10, v8
	v_addc_co_u32_e32 v9, vcc, v10, v9, vcc
	global_load_dword v10, v[8:9], off
	v_lshlrev_b64 v[8:9], 1, v[6:7]
	v_mov_b32_e32 v11, s13
	v_add_co_u32_e32 v8, vcc, s12, v8
	v_addc_co_u32_e32 v9, vcc, v11, v9, vcc
	global_load_ushort v18, v[8:9], off
	v_mov_b32_e32 v17, s23
	s_mov_b64 s[28:29], 0
	s_waitcnt vmcnt(1)
	v_subrev_u32_e32 v8, s2, v10
	v_ashrrev_i32_e32 v9, 31, v8
	v_lshlrev_b64 v[8:9], 2, v[8:9]
	v_add_co_u32_e32 v8, vcc, s22, v8
	v_addc_co_u32_e32 v9, vcc, v17, v9, vcc
	global_load_dword v11, v[8:9], off
	s_waitcnt vmcnt(1)
	v_lshlrev_b32_e32 v10, 16, v18
	v_mul_f32_e32 v17, v3, v10
.LBB249_10:                             ;   Parent Loop BB249_7 Depth=1
                                        ;     Parent Loop BB249_9 Depth=2
                                        ; =>    This Inner Loop Header: Depth=3
	s_waitcnt vmcnt(0)
	v_add_f32_e32 v10, v11, v17
	global_atomic_cmpswap v10, v[8:9], v[10:11], off glc
	s_waitcnt vmcnt(0)
	v_cmp_eq_u32_e32 vcc, v10, v11
	s_or_b64 s[28:29], vcc, s[28:29]
	v_mov_b32_e32 v11, v10
	s_andn2_b64 exec, exec, s[28:29]
	s_cbranch_execnz .LBB249_10
; %bb.11:                               ;   in Loop: Header=BB249_9 Depth=2
	s_or_b64 exec, exec, s[28:29]
	v_add_co_u32_e32 v6, vcc, 8, v6
	v_addc_co_u32_e32 v7, vcc, 0, v7, vcc
	v_cmp_ge_i64_e32 vcc, v[6:7], v[4:5]
	s_or_b64 s[26:27], vcc, s[26:27]
	s_andn2_b64 exec, exec, s[26:27]
	s_cbranch_execnz .LBB249_9
	s_branch .LBB249_6
.LBB249_12:
	s_or_b64 exec, exec, s[4:5]
	s_mov_b64 s[4:5], 0
.LBB249_13:
	s_andn2_b64 vcc, exec, s[4:5]
	s_cbranch_vccnz .LBB249_23
; %bb.14:
	s_and_saveexec_b64 s[4:5], s[0:1]
	s_cbranch_execz .LBB249_23
; %bb.15:
	v_subrev_co_u32_e32 v10, vcc, s2, v1
	s_mov_b32 s4, 0
	v_subb_co_u32_e64 v11, s[0:1], 0, 0, vcc
	s_mov_b64 s[0:1], 0
	v_mov_b32_e32 v12, s19
	v_mov_b32_e32 v13, s9
	;; [unrolled: 1-line block ×3, first 2 shown]
	s_branch .LBB249_17
.LBB249_16:                             ;   in Loop: Header=BB249_17 Depth=1
	s_or_b64 exec, exec, s[4:5]
	v_add_u32_e32 v0, s3, v0
	v_cmp_le_i32_e32 vcc, s21, v0
	s_or_b64 s[0:1], vcc, s[0:1]
	s_andn2_b64 exec, exec, s[0:1]
	s_cbranch_execz .LBB249_23
.LBB249_17:                             ; =>This Loop Header: Depth=1
                                        ;     Child Loop BB249_20 Depth 2
                                        ;       Child Loop BB249_22 Depth 3
	v_ashrrev_i32_e32 v1, 31, v0
	v_lshlrev_b64 v[2:3], 3, v[0:1]
	v_add_co_u32_e32 v4, vcc, s8, v2
	v_addc_co_u32_e32 v5, vcc, v13, v3, vcc
	global_load_dwordx2 v[4:5], v[4:5], off
	v_add_co_u32_e32 v2, vcc, s18, v2
	v_addc_co_u32_e32 v3, vcc, v12, v3, vcc
	global_load_dwordx2 v[6:7], v[2:3], off
	s_waitcnt vmcnt(1)
	v_subrev_co_u32_e32 v2, vcc, s2, v4
	v_subb_co_u32_e32 v3, vcc, v5, v14, vcc
	s_waitcnt vmcnt(0)
	v_add_co_u32_e32 v4, vcc, v6, v10
	v_addc_co_u32_e32 v5, vcc, v7, v11, vcc
	v_cmp_lt_i64_e32 vcc, v[4:5], v[2:3]
	s_and_saveexec_b64 s[4:5], vcc
	s_cbranch_execz .LBB249_16
; %bb.18:                               ;   in Loop: Header=BB249_17 Depth=1
	v_lshlrev_b64 v[6:7], 1, v[0:1]
	v_mov_b32_e32 v1, s15
	v_add_co_u32_e32 v6, vcc, s14, v6
	v_addc_co_u32_e32 v7, vcc, v1, v7, vcc
	global_load_ushort v1, v[6:7], off
	s_mov_b64 s[6:7], 0
	s_waitcnt vmcnt(0)
	v_lshlrev_b32_e32 v1, 16, v1
	v_mul_f32_e32 v1, s16, v1
	s_branch .LBB249_20
.LBB249_19:                             ;   in Loop: Header=BB249_20 Depth=2
	s_or_b64 exec, exec, s[24:25]
	v_add_co_u32_e32 v4, vcc, 8, v4
	v_addc_co_u32_e32 v5, vcc, 0, v5, vcc
	v_cmp_ge_i64_e32 vcc, v[4:5], v[2:3]
	s_or_b64 s[6:7], vcc, s[6:7]
	s_andn2_b64 exec, exec, s[6:7]
	s_cbranch_execz .LBB249_16
.LBB249_20:                             ;   Parent Loop BB249_17 Depth=1
                                        ; =>  This Loop Header: Depth=2
                                        ;       Child Loop BB249_22 Depth 3
	v_lshlrev_b64 v[6:7], 2, v[4:5]
	v_mov_b32_e32 v8, s11
	v_add_co_u32_e32 v6, vcc, s10, v6
	v_addc_co_u32_e32 v7, vcc, v8, v7, vcc
	global_load_dword v6, v[6:7], off
	s_waitcnt vmcnt(0)
	v_subrev_u32_e32 v6, s2, v6
	v_cmp_ne_u32_e32 vcc, v6, v0
	s_and_saveexec_b64 s[24:25], vcc
	s_cbranch_execz .LBB249_19
; %bb.21:                               ;   in Loop: Header=BB249_20 Depth=2
	v_lshlrev_b64 v[8:9], 1, v[4:5]
	v_mov_b32_e32 v7, s13
	v_add_co_u32_e32 v8, vcc, s12, v8
	v_addc_co_u32_e32 v9, vcc, v7, v9, vcc
	v_ashrrev_i32_e32 v7, 31, v6
	v_lshlrev_b64 v[6:7], 2, v[6:7]
	v_mov_b32_e32 v15, s23
	global_load_ushort v8, v[8:9], off
	v_add_co_u32_e32 v6, vcc, s22, v6
	v_addc_co_u32_e32 v7, vcc, v15, v7, vcc
	global_load_dword v9, v[6:7], off
	s_mov_b64 s[26:27], 0
	s_waitcnt vmcnt(1)
	v_lshlrev_b32_e32 v8, 16, v8
	v_mul_f32_e32 v15, v1, v8
.LBB249_22:                             ;   Parent Loop BB249_17 Depth=1
                                        ;     Parent Loop BB249_20 Depth=2
                                        ; =>    This Inner Loop Header: Depth=3
	s_waitcnt vmcnt(0)
	v_add_f32_e32 v8, v9, v15
	global_atomic_cmpswap v8, v[6:7], v[8:9], off glc
	s_waitcnt vmcnt(0)
	v_cmp_eq_u32_e32 vcc, v8, v9
	s_or_b64 s[26:27], vcc, s[26:27]
	v_mov_b32_e32 v9, v8
	s_andn2_b64 exec, exec, s[26:27]
	s_cbranch_execnz .LBB249_22
	s_branch .LBB249_19
.LBB249_23:
	s_endpgm
	.section	.rodata,"a",@progbits
	.p2align	6, 0x0
	.amdhsa_kernel _ZN9rocsparseL21csrmvt_general_kernelILj256ELj8Eli18rocsparse_bfloat16S1_ffEEvbbT2_NS_24const_host_device_scalarIT6_EEPKT1_S8_PKS2_PKT3_PKT4_PT5_21rocsparse_index_base_b
		.amdhsa_group_segment_fixed_size 0
		.amdhsa_private_segment_fixed_size 0
		.amdhsa_kernarg_size 328
		.amdhsa_user_sgpr_count 6
		.amdhsa_user_sgpr_private_segment_buffer 1
		.amdhsa_user_sgpr_dispatch_ptr 0
		.amdhsa_user_sgpr_queue_ptr 0
		.amdhsa_user_sgpr_kernarg_segment_ptr 1
		.amdhsa_user_sgpr_dispatch_id 0
		.amdhsa_user_sgpr_flat_scratch_init 0
		.amdhsa_user_sgpr_kernarg_preload_length 0
		.amdhsa_user_sgpr_kernarg_preload_offset 0
		.amdhsa_user_sgpr_private_segment_size 0
		.amdhsa_uses_dynamic_stack 0
		.amdhsa_system_sgpr_private_segment_wavefront_offset 0
		.amdhsa_system_sgpr_workgroup_id_x 1
		.amdhsa_system_sgpr_workgroup_id_y 0
		.amdhsa_system_sgpr_workgroup_id_z 0
		.amdhsa_system_sgpr_workgroup_info 0
		.amdhsa_system_vgpr_workitem_id 0
		.amdhsa_next_free_vgpr 19
		.amdhsa_next_free_sgpr 30
		.amdhsa_accum_offset 20
		.amdhsa_reserve_vcc 1
		.amdhsa_reserve_flat_scratch 0
		.amdhsa_float_round_mode_32 0
		.amdhsa_float_round_mode_16_64 0
		.amdhsa_float_denorm_mode_32 3
		.amdhsa_float_denorm_mode_16_64 3
		.amdhsa_dx10_clamp 1
		.amdhsa_ieee_mode 1
		.amdhsa_fp16_overflow 0
		.amdhsa_tg_split 0
		.amdhsa_exception_fp_ieee_invalid_op 0
		.amdhsa_exception_fp_denorm_src 0
		.amdhsa_exception_fp_ieee_div_zero 0
		.amdhsa_exception_fp_ieee_overflow 0
		.amdhsa_exception_fp_ieee_underflow 0
		.amdhsa_exception_fp_ieee_inexact 0
		.amdhsa_exception_int_div_zero 0
	.end_amdhsa_kernel
	.section	.text._ZN9rocsparseL21csrmvt_general_kernelILj256ELj8Eli18rocsparse_bfloat16S1_ffEEvbbT2_NS_24const_host_device_scalarIT6_EEPKT1_S8_PKS2_PKT3_PKT4_PT5_21rocsparse_index_base_b,"axG",@progbits,_ZN9rocsparseL21csrmvt_general_kernelILj256ELj8Eli18rocsparse_bfloat16S1_ffEEvbbT2_NS_24const_host_device_scalarIT6_EEPKT1_S8_PKS2_PKT3_PKT4_PT5_21rocsparse_index_base_b,comdat
.Lfunc_end249:
	.size	_ZN9rocsparseL21csrmvt_general_kernelILj256ELj8Eli18rocsparse_bfloat16S1_ffEEvbbT2_NS_24const_host_device_scalarIT6_EEPKT1_S8_PKS2_PKT3_PKT4_PT5_21rocsparse_index_base_b, .Lfunc_end249-_ZN9rocsparseL21csrmvt_general_kernelILj256ELj8Eli18rocsparse_bfloat16S1_ffEEvbbT2_NS_24const_host_device_scalarIT6_EEPKT1_S8_PKS2_PKT3_PKT4_PT5_21rocsparse_index_base_b
                                        ; -- End function
	.section	.AMDGPU.csdata,"",@progbits
; Kernel info:
; codeLenInByte = 936
; NumSgprs: 34
; NumVgprs: 19
; NumAgprs: 0
; TotalNumVgprs: 19
; ScratchSize: 0
; MemoryBound: 0
; FloatMode: 240
; IeeeMode: 1
; LDSByteSize: 0 bytes/workgroup (compile time only)
; SGPRBlocks: 4
; VGPRBlocks: 2
; NumSGPRsForWavesPerEU: 34
; NumVGPRsForWavesPerEU: 19
; AccumOffset: 20
; Occupancy: 8
; WaveLimiterHint : 1
; COMPUTE_PGM_RSRC2:SCRATCH_EN: 0
; COMPUTE_PGM_RSRC2:USER_SGPR: 6
; COMPUTE_PGM_RSRC2:TRAP_HANDLER: 0
; COMPUTE_PGM_RSRC2:TGID_X_EN: 1
; COMPUTE_PGM_RSRC2:TGID_Y_EN: 0
; COMPUTE_PGM_RSRC2:TGID_Z_EN: 0
; COMPUTE_PGM_RSRC2:TIDIG_COMP_CNT: 0
; COMPUTE_PGM_RSRC3_GFX90A:ACCUM_OFFSET: 4
; COMPUTE_PGM_RSRC3_GFX90A:TG_SPLIT: 0
	.section	.text._ZN9rocsparseL21csrmvt_general_kernelILj256ELj16Eli18rocsparse_bfloat16S1_ffEEvbbT2_NS_24const_host_device_scalarIT6_EEPKT1_S8_PKS2_PKT3_PKT4_PT5_21rocsparse_index_base_b,"axG",@progbits,_ZN9rocsparseL21csrmvt_general_kernelILj256ELj16Eli18rocsparse_bfloat16S1_ffEEvbbT2_NS_24const_host_device_scalarIT6_EEPKT1_S8_PKS2_PKT3_PKT4_PT5_21rocsparse_index_base_b,comdat
	.globl	_ZN9rocsparseL21csrmvt_general_kernelILj256ELj16Eli18rocsparse_bfloat16S1_ffEEvbbT2_NS_24const_host_device_scalarIT6_EEPKT1_S8_PKS2_PKT3_PKT4_PT5_21rocsparse_index_base_b ; -- Begin function _ZN9rocsparseL21csrmvt_general_kernelILj256ELj16Eli18rocsparse_bfloat16S1_ffEEvbbT2_NS_24const_host_device_scalarIT6_EEPKT1_S8_PKS2_PKT3_PKT4_PT5_21rocsparse_index_base_b
	.p2align	8
	.type	_ZN9rocsparseL21csrmvt_general_kernelILj256ELj16Eli18rocsparse_bfloat16S1_ffEEvbbT2_NS_24const_host_device_scalarIT6_EEPKT1_S8_PKS2_PKT3_PKT4_PT5_21rocsparse_index_base_b,@function
_ZN9rocsparseL21csrmvt_general_kernelILj256ELj16Eli18rocsparse_bfloat16S1_ffEEvbbT2_NS_24const_host_device_scalarIT6_EEPKT1_S8_PKS2_PKT3_PKT4_PT5_21rocsparse_index_base_b: ; @_ZN9rocsparseL21csrmvt_general_kernelILj256ELj16Eli18rocsparse_bfloat16S1_ffEEvbbT2_NS_24const_host_device_scalarIT6_EEPKT1_S8_PKS2_PKT3_PKT4_PT5_21rocsparse_index_base_b
; %bb.0:
	s_load_dwordx2 s[2:3], s[4:5], 0x40
	s_load_dwordx4 s[16:19], s[4:5], 0x8
	s_waitcnt lgkmcnt(0)
	s_bitcmp1_b32 s3, 0
	s_cselect_b64 s[0:1], -1, 0
	s_and_b64 vcc, exec, s[0:1]
	s_cbranch_vccnz .LBB250_2
; %bb.1:
	s_load_dword s16, s[16:17], 0x0
.LBB250_2:
	s_waitcnt lgkmcnt(0)
	v_cmp_eq_f32_e64 s[0:1], s16, 0
	s_and_b64 vcc, exec, s[0:1]
	s_cbranch_vccnz .LBB250_23
; %bb.3:
	s_load_dwordx2 s[20:21], s[4:5], 0x0
	s_load_dword s0, s[4:5], 0x48
	s_load_dwordx2 s[22:23], s[4:5], 0x38
	s_load_dwordx8 s[8:15], s[4:5], 0x18
	v_and_b32_e32 v1, 15, v0
	v_lshl_or_b32 v0, s6, 8, v0
	s_waitcnt lgkmcnt(0)
	s_and_b32 s1, s20, 1
	s_lshl_b32 s3, s0, 4
	v_lshrrev_b32_e32 v0, 4, v0
	s_cmp_eq_u32 s1, 0
	v_cmp_gt_i32_e64 s[0:1], s21, v0
	s_mov_b64 s[4:5], -1
	s_cbranch_scc0 .LBB250_13
; %bb.4:
	s_and_saveexec_b64 s[4:5], s[0:1]
	s_cbranch_execz .LBB250_12
; %bb.5:
	v_subrev_co_u32_e32 v12, vcc, s2, v1
	s_mov_b32 s17, 0
	v_subb_co_u32_e64 v13, s[6:7], 0, 0, vcc
	s_mov_b64 s[6:7], 0
	v_mov_b32_e32 v14, s19
	v_mov_b32_e32 v15, s9
	;; [unrolled: 1-line block ×4, first 2 shown]
	s_branch .LBB250_7
.LBB250_6:                              ;   in Loop: Header=BB250_7 Depth=1
	s_or_b64 exec, exec, s[24:25]
	v_add_u32_e32 v2, s3, v2
	v_cmp_le_i32_e32 vcc, s21, v2
	s_or_b64 s[6:7], vcc, s[6:7]
	s_andn2_b64 exec, exec, s[6:7]
	s_cbranch_execz .LBB250_12
.LBB250_7:                              ; =>This Loop Header: Depth=1
                                        ;     Child Loop BB250_9 Depth 2
                                        ;       Child Loop BB250_10 Depth 3
	v_ashrrev_i32_e32 v3, 31, v2
	v_lshlrev_b64 v[4:5], 3, v[2:3]
	v_add_co_u32_e32 v6, vcc, s8, v4
	v_addc_co_u32_e32 v7, vcc, v15, v5, vcc
	global_load_dwordx2 v[6:7], v[6:7], off
	v_add_co_u32_e32 v4, vcc, s18, v4
	v_addc_co_u32_e32 v5, vcc, v14, v5, vcc
	global_load_dwordx2 v[8:9], v[4:5], off
	s_waitcnt vmcnt(1)
	v_subrev_co_u32_e32 v4, vcc, s2, v6
	v_subb_co_u32_e32 v5, vcc, v7, v16, vcc
	s_waitcnt vmcnt(0)
	v_add_co_u32_e32 v6, vcc, v8, v12
	v_addc_co_u32_e32 v7, vcc, v9, v13, vcc
	v_cmp_lt_i64_e32 vcc, v[6:7], v[4:5]
	s_and_saveexec_b64 s[24:25], vcc
	s_cbranch_execz .LBB250_6
; %bb.8:                                ;   in Loop: Header=BB250_7 Depth=1
	v_lshlrev_b64 v[8:9], 1, v[2:3]
	v_mov_b32_e32 v3, s15
	v_add_co_u32_e32 v8, vcc, s14, v8
	v_addc_co_u32_e32 v9, vcc, v3, v9, vcc
	global_load_ushort v3, v[8:9], off
	s_mov_b64 s[26:27], 0
	s_waitcnt vmcnt(0)
	v_lshlrev_b32_e32 v3, 16, v3
	v_mul_f32_e32 v3, s16, v3
.LBB250_9:                              ;   Parent Loop BB250_7 Depth=1
                                        ; =>  This Loop Header: Depth=2
                                        ;       Child Loop BB250_10 Depth 3
	v_lshlrev_b64 v[8:9], 2, v[6:7]
	v_mov_b32_e32 v10, s11
	v_add_co_u32_e32 v8, vcc, s10, v8
	v_addc_co_u32_e32 v9, vcc, v10, v9, vcc
	global_load_dword v10, v[8:9], off
	v_lshlrev_b64 v[8:9], 1, v[6:7]
	v_mov_b32_e32 v11, s13
	v_add_co_u32_e32 v8, vcc, s12, v8
	v_addc_co_u32_e32 v9, vcc, v11, v9, vcc
	global_load_ushort v18, v[8:9], off
	v_mov_b32_e32 v17, s23
	s_mov_b64 s[28:29], 0
	s_waitcnt vmcnt(1)
	v_subrev_u32_e32 v8, s2, v10
	v_ashrrev_i32_e32 v9, 31, v8
	v_lshlrev_b64 v[8:9], 2, v[8:9]
	v_add_co_u32_e32 v8, vcc, s22, v8
	v_addc_co_u32_e32 v9, vcc, v17, v9, vcc
	global_load_dword v11, v[8:9], off
	s_waitcnt vmcnt(1)
	v_lshlrev_b32_e32 v10, 16, v18
	v_mul_f32_e32 v17, v3, v10
.LBB250_10:                             ;   Parent Loop BB250_7 Depth=1
                                        ;     Parent Loop BB250_9 Depth=2
                                        ; =>    This Inner Loop Header: Depth=3
	s_waitcnt vmcnt(0)
	v_add_f32_e32 v10, v11, v17
	global_atomic_cmpswap v10, v[8:9], v[10:11], off glc
	s_waitcnt vmcnt(0)
	v_cmp_eq_u32_e32 vcc, v10, v11
	s_or_b64 s[28:29], vcc, s[28:29]
	v_mov_b32_e32 v11, v10
	s_andn2_b64 exec, exec, s[28:29]
	s_cbranch_execnz .LBB250_10
; %bb.11:                               ;   in Loop: Header=BB250_9 Depth=2
	s_or_b64 exec, exec, s[28:29]
	v_add_co_u32_e32 v6, vcc, 16, v6
	v_addc_co_u32_e32 v7, vcc, 0, v7, vcc
	v_cmp_ge_i64_e32 vcc, v[6:7], v[4:5]
	s_or_b64 s[26:27], vcc, s[26:27]
	s_andn2_b64 exec, exec, s[26:27]
	s_cbranch_execnz .LBB250_9
	s_branch .LBB250_6
.LBB250_12:
	s_or_b64 exec, exec, s[4:5]
	s_mov_b64 s[4:5], 0
.LBB250_13:
	s_andn2_b64 vcc, exec, s[4:5]
	s_cbranch_vccnz .LBB250_23
; %bb.14:
	s_and_saveexec_b64 s[4:5], s[0:1]
	s_cbranch_execz .LBB250_23
; %bb.15:
	v_subrev_co_u32_e32 v10, vcc, s2, v1
	s_mov_b32 s4, 0
	v_subb_co_u32_e64 v11, s[0:1], 0, 0, vcc
	s_mov_b64 s[0:1], 0
	v_mov_b32_e32 v12, s19
	v_mov_b32_e32 v13, s9
	v_mov_b32_e32 v14, s4
	s_branch .LBB250_17
.LBB250_16:                             ;   in Loop: Header=BB250_17 Depth=1
	s_or_b64 exec, exec, s[4:5]
	v_add_u32_e32 v0, s3, v0
	v_cmp_le_i32_e32 vcc, s21, v0
	s_or_b64 s[0:1], vcc, s[0:1]
	s_andn2_b64 exec, exec, s[0:1]
	s_cbranch_execz .LBB250_23
.LBB250_17:                             ; =>This Loop Header: Depth=1
                                        ;     Child Loop BB250_20 Depth 2
                                        ;       Child Loop BB250_22 Depth 3
	v_ashrrev_i32_e32 v1, 31, v0
	v_lshlrev_b64 v[2:3], 3, v[0:1]
	v_add_co_u32_e32 v4, vcc, s8, v2
	v_addc_co_u32_e32 v5, vcc, v13, v3, vcc
	global_load_dwordx2 v[4:5], v[4:5], off
	v_add_co_u32_e32 v2, vcc, s18, v2
	v_addc_co_u32_e32 v3, vcc, v12, v3, vcc
	global_load_dwordx2 v[6:7], v[2:3], off
	s_waitcnt vmcnt(1)
	v_subrev_co_u32_e32 v2, vcc, s2, v4
	v_subb_co_u32_e32 v3, vcc, v5, v14, vcc
	s_waitcnt vmcnt(0)
	v_add_co_u32_e32 v4, vcc, v6, v10
	v_addc_co_u32_e32 v5, vcc, v7, v11, vcc
	v_cmp_lt_i64_e32 vcc, v[4:5], v[2:3]
	s_and_saveexec_b64 s[4:5], vcc
	s_cbranch_execz .LBB250_16
; %bb.18:                               ;   in Loop: Header=BB250_17 Depth=1
	v_lshlrev_b64 v[6:7], 1, v[0:1]
	v_mov_b32_e32 v1, s15
	v_add_co_u32_e32 v6, vcc, s14, v6
	v_addc_co_u32_e32 v7, vcc, v1, v7, vcc
	global_load_ushort v1, v[6:7], off
	s_mov_b64 s[6:7], 0
	s_waitcnt vmcnt(0)
	v_lshlrev_b32_e32 v1, 16, v1
	v_mul_f32_e32 v1, s16, v1
	s_branch .LBB250_20
.LBB250_19:                             ;   in Loop: Header=BB250_20 Depth=2
	s_or_b64 exec, exec, s[24:25]
	v_add_co_u32_e32 v4, vcc, 16, v4
	v_addc_co_u32_e32 v5, vcc, 0, v5, vcc
	v_cmp_ge_i64_e32 vcc, v[4:5], v[2:3]
	s_or_b64 s[6:7], vcc, s[6:7]
	s_andn2_b64 exec, exec, s[6:7]
	s_cbranch_execz .LBB250_16
.LBB250_20:                             ;   Parent Loop BB250_17 Depth=1
                                        ; =>  This Loop Header: Depth=2
                                        ;       Child Loop BB250_22 Depth 3
	v_lshlrev_b64 v[6:7], 2, v[4:5]
	v_mov_b32_e32 v8, s11
	v_add_co_u32_e32 v6, vcc, s10, v6
	v_addc_co_u32_e32 v7, vcc, v8, v7, vcc
	global_load_dword v6, v[6:7], off
	s_waitcnt vmcnt(0)
	v_subrev_u32_e32 v6, s2, v6
	v_cmp_ne_u32_e32 vcc, v6, v0
	s_and_saveexec_b64 s[24:25], vcc
	s_cbranch_execz .LBB250_19
; %bb.21:                               ;   in Loop: Header=BB250_20 Depth=2
	v_lshlrev_b64 v[8:9], 1, v[4:5]
	v_mov_b32_e32 v7, s13
	v_add_co_u32_e32 v8, vcc, s12, v8
	v_addc_co_u32_e32 v9, vcc, v7, v9, vcc
	v_ashrrev_i32_e32 v7, 31, v6
	v_lshlrev_b64 v[6:7], 2, v[6:7]
	v_mov_b32_e32 v15, s23
	global_load_ushort v8, v[8:9], off
	v_add_co_u32_e32 v6, vcc, s22, v6
	v_addc_co_u32_e32 v7, vcc, v15, v7, vcc
	global_load_dword v9, v[6:7], off
	s_mov_b64 s[26:27], 0
	s_waitcnt vmcnt(1)
	v_lshlrev_b32_e32 v8, 16, v8
	v_mul_f32_e32 v15, v1, v8
.LBB250_22:                             ;   Parent Loop BB250_17 Depth=1
                                        ;     Parent Loop BB250_20 Depth=2
                                        ; =>    This Inner Loop Header: Depth=3
	s_waitcnt vmcnt(0)
	v_add_f32_e32 v8, v9, v15
	global_atomic_cmpswap v8, v[6:7], v[8:9], off glc
	s_waitcnt vmcnt(0)
	v_cmp_eq_u32_e32 vcc, v8, v9
	s_or_b64 s[26:27], vcc, s[26:27]
	v_mov_b32_e32 v9, v8
	s_andn2_b64 exec, exec, s[26:27]
	s_cbranch_execnz .LBB250_22
	s_branch .LBB250_19
.LBB250_23:
	s_endpgm
	.section	.rodata,"a",@progbits
	.p2align	6, 0x0
	.amdhsa_kernel _ZN9rocsparseL21csrmvt_general_kernelILj256ELj16Eli18rocsparse_bfloat16S1_ffEEvbbT2_NS_24const_host_device_scalarIT6_EEPKT1_S8_PKS2_PKT3_PKT4_PT5_21rocsparse_index_base_b
		.amdhsa_group_segment_fixed_size 0
		.amdhsa_private_segment_fixed_size 0
		.amdhsa_kernarg_size 328
		.amdhsa_user_sgpr_count 6
		.amdhsa_user_sgpr_private_segment_buffer 1
		.amdhsa_user_sgpr_dispatch_ptr 0
		.amdhsa_user_sgpr_queue_ptr 0
		.amdhsa_user_sgpr_kernarg_segment_ptr 1
		.amdhsa_user_sgpr_dispatch_id 0
		.amdhsa_user_sgpr_flat_scratch_init 0
		.amdhsa_user_sgpr_kernarg_preload_length 0
		.amdhsa_user_sgpr_kernarg_preload_offset 0
		.amdhsa_user_sgpr_private_segment_size 0
		.amdhsa_uses_dynamic_stack 0
		.amdhsa_system_sgpr_private_segment_wavefront_offset 0
		.amdhsa_system_sgpr_workgroup_id_x 1
		.amdhsa_system_sgpr_workgroup_id_y 0
		.amdhsa_system_sgpr_workgroup_id_z 0
		.amdhsa_system_sgpr_workgroup_info 0
		.amdhsa_system_vgpr_workitem_id 0
		.amdhsa_next_free_vgpr 19
		.amdhsa_next_free_sgpr 30
		.amdhsa_accum_offset 20
		.amdhsa_reserve_vcc 1
		.amdhsa_reserve_flat_scratch 0
		.amdhsa_float_round_mode_32 0
		.amdhsa_float_round_mode_16_64 0
		.amdhsa_float_denorm_mode_32 3
		.amdhsa_float_denorm_mode_16_64 3
		.amdhsa_dx10_clamp 1
		.amdhsa_ieee_mode 1
		.amdhsa_fp16_overflow 0
		.amdhsa_tg_split 0
		.amdhsa_exception_fp_ieee_invalid_op 0
		.amdhsa_exception_fp_denorm_src 0
		.amdhsa_exception_fp_ieee_div_zero 0
		.amdhsa_exception_fp_ieee_overflow 0
		.amdhsa_exception_fp_ieee_underflow 0
		.amdhsa_exception_fp_ieee_inexact 0
		.amdhsa_exception_int_div_zero 0
	.end_amdhsa_kernel
	.section	.text._ZN9rocsparseL21csrmvt_general_kernelILj256ELj16Eli18rocsparse_bfloat16S1_ffEEvbbT2_NS_24const_host_device_scalarIT6_EEPKT1_S8_PKS2_PKT3_PKT4_PT5_21rocsparse_index_base_b,"axG",@progbits,_ZN9rocsparseL21csrmvt_general_kernelILj256ELj16Eli18rocsparse_bfloat16S1_ffEEvbbT2_NS_24const_host_device_scalarIT6_EEPKT1_S8_PKS2_PKT3_PKT4_PT5_21rocsparse_index_base_b,comdat
.Lfunc_end250:
	.size	_ZN9rocsparseL21csrmvt_general_kernelILj256ELj16Eli18rocsparse_bfloat16S1_ffEEvbbT2_NS_24const_host_device_scalarIT6_EEPKT1_S8_PKS2_PKT3_PKT4_PT5_21rocsparse_index_base_b, .Lfunc_end250-_ZN9rocsparseL21csrmvt_general_kernelILj256ELj16Eli18rocsparse_bfloat16S1_ffEEvbbT2_NS_24const_host_device_scalarIT6_EEPKT1_S8_PKS2_PKT3_PKT4_PT5_21rocsparse_index_base_b
                                        ; -- End function
	.section	.AMDGPU.csdata,"",@progbits
; Kernel info:
; codeLenInByte = 936
; NumSgprs: 34
; NumVgprs: 19
; NumAgprs: 0
; TotalNumVgprs: 19
; ScratchSize: 0
; MemoryBound: 0
; FloatMode: 240
; IeeeMode: 1
; LDSByteSize: 0 bytes/workgroup (compile time only)
; SGPRBlocks: 4
; VGPRBlocks: 2
; NumSGPRsForWavesPerEU: 34
; NumVGPRsForWavesPerEU: 19
; AccumOffset: 20
; Occupancy: 8
; WaveLimiterHint : 1
; COMPUTE_PGM_RSRC2:SCRATCH_EN: 0
; COMPUTE_PGM_RSRC2:USER_SGPR: 6
; COMPUTE_PGM_RSRC2:TRAP_HANDLER: 0
; COMPUTE_PGM_RSRC2:TGID_X_EN: 1
; COMPUTE_PGM_RSRC2:TGID_Y_EN: 0
; COMPUTE_PGM_RSRC2:TGID_Z_EN: 0
; COMPUTE_PGM_RSRC2:TIDIG_COMP_CNT: 0
; COMPUTE_PGM_RSRC3_GFX90A:ACCUM_OFFSET: 4
; COMPUTE_PGM_RSRC3_GFX90A:TG_SPLIT: 0
	.section	.text._ZN9rocsparseL21csrmvt_general_kernelILj256ELj32Eli18rocsparse_bfloat16S1_ffEEvbbT2_NS_24const_host_device_scalarIT6_EEPKT1_S8_PKS2_PKT3_PKT4_PT5_21rocsparse_index_base_b,"axG",@progbits,_ZN9rocsparseL21csrmvt_general_kernelILj256ELj32Eli18rocsparse_bfloat16S1_ffEEvbbT2_NS_24const_host_device_scalarIT6_EEPKT1_S8_PKS2_PKT3_PKT4_PT5_21rocsparse_index_base_b,comdat
	.globl	_ZN9rocsparseL21csrmvt_general_kernelILj256ELj32Eli18rocsparse_bfloat16S1_ffEEvbbT2_NS_24const_host_device_scalarIT6_EEPKT1_S8_PKS2_PKT3_PKT4_PT5_21rocsparse_index_base_b ; -- Begin function _ZN9rocsparseL21csrmvt_general_kernelILj256ELj32Eli18rocsparse_bfloat16S1_ffEEvbbT2_NS_24const_host_device_scalarIT6_EEPKT1_S8_PKS2_PKT3_PKT4_PT5_21rocsparse_index_base_b
	.p2align	8
	.type	_ZN9rocsparseL21csrmvt_general_kernelILj256ELj32Eli18rocsparse_bfloat16S1_ffEEvbbT2_NS_24const_host_device_scalarIT6_EEPKT1_S8_PKS2_PKT3_PKT4_PT5_21rocsparse_index_base_b,@function
_ZN9rocsparseL21csrmvt_general_kernelILj256ELj32Eli18rocsparse_bfloat16S1_ffEEvbbT2_NS_24const_host_device_scalarIT6_EEPKT1_S8_PKS2_PKT3_PKT4_PT5_21rocsparse_index_base_b: ; @_ZN9rocsparseL21csrmvt_general_kernelILj256ELj32Eli18rocsparse_bfloat16S1_ffEEvbbT2_NS_24const_host_device_scalarIT6_EEPKT1_S8_PKS2_PKT3_PKT4_PT5_21rocsparse_index_base_b
; %bb.0:
	s_load_dwordx2 s[2:3], s[4:5], 0x40
	s_load_dwordx4 s[16:19], s[4:5], 0x8
	s_waitcnt lgkmcnt(0)
	s_bitcmp1_b32 s3, 0
	s_cselect_b64 s[0:1], -1, 0
	s_and_b64 vcc, exec, s[0:1]
	s_cbranch_vccnz .LBB251_2
; %bb.1:
	s_load_dword s16, s[16:17], 0x0
.LBB251_2:
	s_waitcnt lgkmcnt(0)
	v_cmp_eq_f32_e64 s[0:1], s16, 0
	s_and_b64 vcc, exec, s[0:1]
	s_cbranch_vccnz .LBB251_23
; %bb.3:
	s_load_dwordx2 s[20:21], s[4:5], 0x0
	s_load_dword s0, s[4:5], 0x48
	s_load_dwordx2 s[22:23], s[4:5], 0x38
	s_load_dwordx8 s[8:15], s[4:5], 0x18
	v_and_b32_e32 v1, 31, v0
	v_lshl_or_b32 v0, s6, 8, v0
	s_waitcnt lgkmcnt(0)
	s_and_b32 s1, s20, 1
	s_lshl_b32 s3, s0, 3
	v_lshrrev_b32_e32 v0, 5, v0
	s_cmp_eq_u32 s1, 0
	v_cmp_gt_i32_e64 s[0:1], s21, v0
	s_mov_b64 s[4:5], -1
	s_cbranch_scc0 .LBB251_13
; %bb.4:
	s_and_saveexec_b64 s[4:5], s[0:1]
	s_cbranch_execz .LBB251_12
; %bb.5:
	v_subrev_co_u32_e32 v12, vcc, s2, v1
	s_mov_b32 s17, 0
	v_subb_co_u32_e64 v13, s[6:7], 0, 0, vcc
	s_mov_b64 s[6:7], 0
	v_mov_b32_e32 v14, s19
	v_mov_b32_e32 v15, s9
	;; [unrolled: 1-line block ×4, first 2 shown]
	s_branch .LBB251_7
.LBB251_6:                              ;   in Loop: Header=BB251_7 Depth=1
	s_or_b64 exec, exec, s[24:25]
	v_add_u32_e32 v2, s3, v2
	v_cmp_le_i32_e32 vcc, s21, v2
	s_or_b64 s[6:7], vcc, s[6:7]
	s_andn2_b64 exec, exec, s[6:7]
	s_cbranch_execz .LBB251_12
.LBB251_7:                              ; =>This Loop Header: Depth=1
                                        ;     Child Loop BB251_9 Depth 2
                                        ;       Child Loop BB251_10 Depth 3
	v_ashrrev_i32_e32 v3, 31, v2
	v_lshlrev_b64 v[4:5], 3, v[2:3]
	v_add_co_u32_e32 v6, vcc, s8, v4
	v_addc_co_u32_e32 v7, vcc, v15, v5, vcc
	global_load_dwordx2 v[6:7], v[6:7], off
	v_add_co_u32_e32 v4, vcc, s18, v4
	v_addc_co_u32_e32 v5, vcc, v14, v5, vcc
	global_load_dwordx2 v[8:9], v[4:5], off
	s_waitcnt vmcnt(1)
	v_subrev_co_u32_e32 v4, vcc, s2, v6
	v_subb_co_u32_e32 v5, vcc, v7, v16, vcc
	s_waitcnt vmcnt(0)
	v_add_co_u32_e32 v6, vcc, v8, v12
	v_addc_co_u32_e32 v7, vcc, v9, v13, vcc
	v_cmp_lt_i64_e32 vcc, v[6:7], v[4:5]
	s_and_saveexec_b64 s[24:25], vcc
	s_cbranch_execz .LBB251_6
; %bb.8:                                ;   in Loop: Header=BB251_7 Depth=1
	v_lshlrev_b64 v[8:9], 1, v[2:3]
	v_mov_b32_e32 v3, s15
	v_add_co_u32_e32 v8, vcc, s14, v8
	v_addc_co_u32_e32 v9, vcc, v3, v9, vcc
	global_load_ushort v3, v[8:9], off
	s_mov_b64 s[26:27], 0
	s_waitcnt vmcnt(0)
	v_lshlrev_b32_e32 v3, 16, v3
	v_mul_f32_e32 v3, s16, v3
.LBB251_9:                              ;   Parent Loop BB251_7 Depth=1
                                        ; =>  This Loop Header: Depth=2
                                        ;       Child Loop BB251_10 Depth 3
	v_lshlrev_b64 v[8:9], 2, v[6:7]
	v_mov_b32_e32 v10, s11
	v_add_co_u32_e32 v8, vcc, s10, v8
	v_addc_co_u32_e32 v9, vcc, v10, v9, vcc
	global_load_dword v10, v[8:9], off
	v_lshlrev_b64 v[8:9], 1, v[6:7]
	v_mov_b32_e32 v11, s13
	v_add_co_u32_e32 v8, vcc, s12, v8
	v_addc_co_u32_e32 v9, vcc, v11, v9, vcc
	global_load_ushort v18, v[8:9], off
	v_mov_b32_e32 v17, s23
	s_mov_b64 s[28:29], 0
	s_waitcnt vmcnt(1)
	v_subrev_u32_e32 v8, s2, v10
	v_ashrrev_i32_e32 v9, 31, v8
	v_lshlrev_b64 v[8:9], 2, v[8:9]
	v_add_co_u32_e32 v8, vcc, s22, v8
	v_addc_co_u32_e32 v9, vcc, v17, v9, vcc
	global_load_dword v11, v[8:9], off
	s_waitcnt vmcnt(1)
	v_lshlrev_b32_e32 v10, 16, v18
	v_mul_f32_e32 v17, v3, v10
.LBB251_10:                             ;   Parent Loop BB251_7 Depth=1
                                        ;     Parent Loop BB251_9 Depth=2
                                        ; =>    This Inner Loop Header: Depth=3
	s_waitcnt vmcnt(0)
	v_add_f32_e32 v10, v11, v17
	global_atomic_cmpswap v10, v[8:9], v[10:11], off glc
	s_waitcnt vmcnt(0)
	v_cmp_eq_u32_e32 vcc, v10, v11
	s_or_b64 s[28:29], vcc, s[28:29]
	v_mov_b32_e32 v11, v10
	s_andn2_b64 exec, exec, s[28:29]
	s_cbranch_execnz .LBB251_10
; %bb.11:                               ;   in Loop: Header=BB251_9 Depth=2
	s_or_b64 exec, exec, s[28:29]
	v_add_co_u32_e32 v6, vcc, 32, v6
	v_addc_co_u32_e32 v7, vcc, 0, v7, vcc
	v_cmp_ge_i64_e32 vcc, v[6:7], v[4:5]
	s_or_b64 s[26:27], vcc, s[26:27]
	s_andn2_b64 exec, exec, s[26:27]
	s_cbranch_execnz .LBB251_9
	s_branch .LBB251_6
.LBB251_12:
	s_or_b64 exec, exec, s[4:5]
	s_mov_b64 s[4:5], 0
.LBB251_13:
	s_andn2_b64 vcc, exec, s[4:5]
	s_cbranch_vccnz .LBB251_23
; %bb.14:
	s_and_saveexec_b64 s[4:5], s[0:1]
	s_cbranch_execz .LBB251_23
; %bb.15:
	v_subrev_co_u32_e32 v10, vcc, s2, v1
	s_mov_b32 s4, 0
	v_subb_co_u32_e64 v11, s[0:1], 0, 0, vcc
	s_mov_b64 s[0:1], 0
	v_mov_b32_e32 v12, s19
	v_mov_b32_e32 v13, s9
	;; [unrolled: 1-line block ×3, first 2 shown]
	s_branch .LBB251_17
.LBB251_16:                             ;   in Loop: Header=BB251_17 Depth=1
	s_or_b64 exec, exec, s[4:5]
	v_add_u32_e32 v0, s3, v0
	v_cmp_le_i32_e32 vcc, s21, v0
	s_or_b64 s[0:1], vcc, s[0:1]
	s_andn2_b64 exec, exec, s[0:1]
	s_cbranch_execz .LBB251_23
.LBB251_17:                             ; =>This Loop Header: Depth=1
                                        ;     Child Loop BB251_20 Depth 2
                                        ;       Child Loop BB251_22 Depth 3
	v_ashrrev_i32_e32 v1, 31, v0
	v_lshlrev_b64 v[2:3], 3, v[0:1]
	v_add_co_u32_e32 v4, vcc, s8, v2
	v_addc_co_u32_e32 v5, vcc, v13, v3, vcc
	global_load_dwordx2 v[4:5], v[4:5], off
	v_add_co_u32_e32 v2, vcc, s18, v2
	v_addc_co_u32_e32 v3, vcc, v12, v3, vcc
	global_load_dwordx2 v[6:7], v[2:3], off
	s_waitcnt vmcnt(1)
	v_subrev_co_u32_e32 v2, vcc, s2, v4
	v_subb_co_u32_e32 v3, vcc, v5, v14, vcc
	s_waitcnt vmcnt(0)
	v_add_co_u32_e32 v4, vcc, v6, v10
	v_addc_co_u32_e32 v5, vcc, v7, v11, vcc
	v_cmp_lt_i64_e32 vcc, v[4:5], v[2:3]
	s_and_saveexec_b64 s[4:5], vcc
	s_cbranch_execz .LBB251_16
; %bb.18:                               ;   in Loop: Header=BB251_17 Depth=1
	v_lshlrev_b64 v[6:7], 1, v[0:1]
	v_mov_b32_e32 v1, s15
	v_add_co_u32_e32 v6, vcc, s14, v6
	v_addc_co_u32_e32 v7, vcc, v1, v7, vcc
	global_load_ushort v1, v[6:7], off
	s_mov_b64 s[6:7], 0
	s_waitcnt vmcnt(0)
	v_lshlrev_b32_e32 v1, 16, v1
	v_mul_f32_e32 v1, s16, v1
	s_branch .LBB251_20
.LBB251_19:                             ;   in Loop: Header=BB251_20 Depth=2
	s_or_b64 exec, exec, s[24:25]
	v_add_co_u32_e32 v4, vcc, 32, v4
	v_addc_co_u32_e32 v5, vcc, 0, v5, vcc
	v_cmp_ge_i64_e32 vcc, v[4:5], v[2:3]
	s_or_b64 s[6:7], vcc, s[6:7]
	s_andn2_b64 exec, exec, s[6:7]
	s_cbranch_execz .LBB251_16
.LBB251_20:                             ;   Parent Loop BB251_17 Depth=1
                                        ; =>  This Loop Header: Depth=2
                                        ;       Child Loop BB251_22 Depth 3
	v_lshlrev_b64 v[6:7], 2, v[4:5]
	v_mov_b32_e32 v8, s11
	v_add_co_u32_e32 v6, vcc, s10, v6
	v_addc_co_u32_e32 v7, vcc, v8, v7, vcc
	global_load_dword v6, v[6:7], off
	s_waitcnt vmcnt(0)
	v_subrev_u32_e32 v6, s2, v6
	v_cmp_ne_u32_e32 vcc, v6, v0
	s_and_saveexec_b64 s[24:25], vcc
	s_cbranch_execz .LBB251_19
; %bb.21:                               ;   in Loop: Header=BB251_20 Depth=2
	v_lshlrev_b64 v[8:9], 1, v[4:5]
	v_mov_b32_e32 v7, s13
	v_add_co_u32_e32 v8, vcc, s12, v8
	v_addc_co_u32_e32 v9, vcc, v7, v9, vcc
	v_ashrrev_i32_e32 v7, 31, v6
	v_lshlrev_b64 v[6:7], 2, v[6:7]
	v_mov_b32_e32 v15, s23
	global_load_ushort v8, v[8:9], off
	v_add_co_u32_e32 v6, vcc, s22, v6
	v_addc_co_u32_e32 v7, vcc, v15, v7, vcc
	global_load_dword v9, v[6:7], off
	s_mov_b64 s[26:27], 0
	s_waitcnt vmcnt(1)
	v_lshlrev_b32_e32 v8, 16, v8
	v_mul_f32_e32 v15, v1, v8
.LBB251_22:                             ;   Parent Loop BB251_17 Depth=1
                                        ;     Parent Loop BB251_20 Depth=2
                                        ; =>    This Inner Loop Header: Depth=3
	s_waitcnt vmcnt(0)
	v_add_f32_e32 v8, v9, v15
	global_atomic_cmpswap v8, v[6:7], v[8:9], off glc
	s_waitcnt vmcnt(0)
	v_cmp_eq_u32_e32 vcc, v8, v9
	s_or_b64 s[26:27], vcc, s[26:27]
	v_mov_b32_e32 v9, v8
	s_andn2_b64 exec, exec, s[26:27]
	s_cbranch_execnz .LBB251_22
	s_branch .LBB251_19
.LBB251_23:
	s_endpgm
	.section	.rodata,"a",@progbits
	.p2align	6, 0x0
	.amdhsa_kernel _ZN9rocsparseL21csrmvt_general_kernelILj256ELj32Eli18rocsparse_bfloat16S1_ffEEvbbT2_NS_24const_host_device_scalarIT6_EEPKT1_S8_PKS2_PKT3_PKT4_PT5_21rocsparse_index_base_b
		.amdhsa_group_segment_fixed_size 0
		.amdhsa_private_segment_fixed_size 0
		.amdhsa_kernarg_size 328
		.amdhsa_user_sgpr_count 6
		.amdhsa_user_sgpr_private_segment_buffer 1
		.amdhsa_user_sgpr_dispatch_ptr 0
		.amdhsa_user_sgpr_queue_ptr 0
		.amdhsa_user_sgpr_kernarg_segment_ptr 1
		.amdhsa_user_sgpr_dispatch_id 0
		.amdhsa_user_sgpr_flat_scratch_init 0
		.amdhsa_user_sgpr_kernarg_preload_length 0
		.amdhsa_user_sgpr_kernarg_preload_offset 0
		.amdhsa_user_sgpr_private_segment_size 0
		.amdhsa_uses_dynamic_stack 0
		.amdhsa_system_sgpr_private_segment_wavefront_offset 0
		.amdhsa_system_sgpr_workgroup_id_x 1
		.amdhsa_system_sgpr_workgroup_id_y 0
		.amdhsa_system_sgpr_workgroup_id_z 0
		.amdhsa_system_sgpr_workgroup_info 0
		.amdhsa_system_vgpr_workitem_id 0
		.amdhsa_next_free_vgpr 19
		.amdhsa_next_free_sgpr 30
		.amdhsa_accum_offset 20
		.amdhsa_reserve_vcc 1
		.amdhsa_reserve_flat_scratch 0
		.amdhsa_float_round_mode_32 0
		.amdhsa_float_round_mode_16_64 0
		.amdhsa_float_denorm_mode_32 3
		.amdhsa_float_denorm_mode_16_64 3
		.amdhsa_dx10_clamp 1
		.amdhsa_ieee_mode 1
		.amdhsa_fp16_overflow 0
		.amdhsa_tg_split 0
		.amdhsa_exception_fp_ieee_invalid_op 0
		.amdhsa_exception_fp_denorm_src 0
		.amdhsa_exception_fp_ieee_div_zero 0
		.amdhsa_exception_fp_ieee_overflow 0
		.amdhsa_exception_fp_ieee_underflow 0
		.amdhsa_exception_fp_ieee_inexact 0
		.amdhsa_exception_int_div_zero 0
	.end_amdhsa_kernel
	.section	.text._ZN9rocsparseL21csrmvt_general_kernelILj256ELj32Eli18rocsparse_bfloat16S1_ffEEvbbT2_NS_24const_host_device_scalarIT6_EEPKT1_S8_PKS2_PKT3_PKT4_PT5_21rocsparse_index_base_b,"axG",@progbits,_ZN9rocsparseL21csrmvt_general_kernelILj256ELj32Eli18rocsparse_bfloat16S1_ffEEvbbT2_NS_24const_host_device_scalarIT6_EEPKT1_S8_PKS2_PKT3_PKT4_PT5_21rocsparse_index_base_b,comdat
.Lfunc_end251:
	.size	_ZN9rocsparseL21csrmvt_general_kernelILj256ELj32Eli18rocsparse_bfloat16S1_ffEEvbbT2_NS_24const_host_device_scalarIT6_EEPKT1_S8_PKS2_PKT3_PKT4_PT5_21rocsparse_index_base_b, .Lfunc_end251-_ZN9rocsparseL21csrmvt_general_kernelILj256ELj32Eli18rocsparse_bfloat16S1_ffEEvbbT2_NS_24const_host_device_scalarIT6_EEPKT1_S8_PKS2_PKT3_PKT4_PT5_21rocsparse_index_base_b
                                        ; -- End function
	.section	.AMDGPU.csdata,"",@progbits
; Kernel info:
; codeLenInByte = 936
; NumSgprs: 34
; NumVgprs: 19
; NumAgprs: 0
; TotalNumVgprs: 19
; ScratchSize: 0
; MemoryBound: 0
; FloatMode: 240
; IeeeMode: 1
; LDSByteSize: 0 bytes/workgroup (compile time only)
; SGPRBlocks: 4
; VGPRBlocks: 2
; NumSGPRsForWavesPerEU: 34
; NumVGPRsForWavesPerEU: 19
; AccumOffset: 20
; Occupancy: 8
; WaveLimiterHint : 1
; COMPUTE_PGM_RSRC2:SCRATCH_EN: 0
; COMPUTE_PGM_RSRC2:USER_SGPR: 6
; COMPUTE_PGM_RSRC2:TRAP_HANDLER: 0
; COMPUTE_PGM_RSRC2:TGID_X_EN: 1
; COMPUTE_PGM_RSRC2:TGID_Y_EN: 0
; COMPUTE_PGM_RSRC2:TGID_Z_EN: 0
; COMPUTE_PGM_RSRC2:TIDIG_COMP_CNT: 0
; COMPUTE_PGM_RSRC3_GFX90A:ACCUM_OFFSET: 4
; COMPUTE_PGM_RSRC3_GFX90A:TG_SPLIT: 0
	.section	.text._ZN9rocsparseL21csrmvt_general_kernelILj256ELj64Eli18rocsparse_bfloat16S1_ffEEvbbT2_NS_24const_host_device_scalarIT6_EEPKT1_S8_PKS2_PKT3_PKT4_PT5_21rocsparse_index_base_b,"axG",@progbits,_ZN9rocsparseL21csrmvt_general_kernelILj256ELj64Eli18rocsparse_bfloat16S1_ffEEvbbT2_NS_24const_host_device_scalarIT6_EEPKT1_S8_PKS2_PKT3_PKT4_PT5_21rocsparse_index_base_b,comdat
	.globl	_ZN9rocsparseL21csrmvt_general_kernelILj256ELj64Eli18rocsparse_bfloat16S1_ffEEvbbT2_NS_24const_host_device_scalarIT6_EEPKT1_S8_PKS2_PKT3_PKT4_PT5_21rocsparse_index_base_b ; -- Begin function _ZN9rocsparseL21csrmvt_general_kernelILj256ELj64Eli18rocsparse_bfloat16S1_ffEEvbbT2_NS_24const_host_device_scalarIT6_EEPKT1_S8_PKS2_PKT3_PKT4_PT5_21rocsparse_index_base_b
	.p2align	8
	.type	_ZN9rocsparseL21csrmvt_general_kernelILj256ELj64Eli18rocsparse_bfloat16S1_ffEEvbbT2_NS_24const_host_device_scalarIT6_EEPKT1_S8_PKS2_PKT3_PKT4_PT5_21rocsparse_index_base_b,@function
_ZN9rocsparseL21csrmvt_general_kernelILj256ELj64Eli18rocsparse_bfloat16S1_ffEEvbbT2_NS_24const_host_device_scalarIT6_EEPKT1_S8_PKS2_PKT3_PKT4_PT5_21rocsparse_index_base_b: ; @_ZN9rocsparseL21csrmvt_general_kernelILj256ELj64Eli18rocsparse_bfloat16S1_ffEEvbbT2_NS_24const_host_device_scalarIT6_EEPKT1_S8_PKS2_PKT3_PKT4_PT5_21rocsparse_index_base_b
; %bb.0:
	s_load_dwordx2 s[2:3], s[4:5], 0x40
	s_load_dwordx4 s[16:19], s[4:5], 0x8
	s_waitcnt lgkmcnt(0)
	s_bitcmp1_b32 s3, 0
	s_cselect_b64 s[0:1], -1, 0
	s_and_b64 vcc, exec, s[0:1]
	s_cbranch_vccnz .LBB252_2
; %bb.1:
	s_load_dword s16, s[16:17], 0x0
.LBB252_2:
	s_waitcnt lgkmcnt(0)
	v_cmp_eq_f32_e64 s[0:1], s16, 0
	s_and_b64 vcc, exec, s[0:1]
	s_cbranch_vccnz .LBB252_23
; %bb.3:
	s_load_dwordx2 s[20:21], s[4:5], 0x0
	s_load_dword s0, s[4:5], 0x48
	s_load_dwordx2 s[22:23], s[4:5], 0x38
	s_load_dwordx8 s[8:15], s[4:5], 0x18
	v_and_b32_e32 v1, 63, v0
	v_lshl_or_b32 v0, s6, 8, v0
	s_waitcnt lgkmcnt(0)
	s_and_b32 s1, s20, 1
	s_lshl_b32 s3, s0, 2
	v_lshrrev_b32_e32 v0, 6, v0
	s_cmp_eq_u32 s1, 0
	v_cmp_gt_i32_e64 s[0:1], s21, v0
	s_mov_b64 s[4:5], -1
	s_cbranch_scc0 .LBB252_13
; %bb.4:
	s_and_saveexec_b64 s[4:5], s[0:1]
	s_cbranch_execz .LBB252_12
; %bb.5:
	v_subrev_co_u32_e32 v12, vcc, s2, v1
	s_mov_b32 s17, 0
	v_subb_co_u32_e64 v13, s[6:7], 0, 0, vcc
	s_mov_b64 s[6:7], 0
	v_mov_b32_e32 v14, s19
	v_mov_b32_e32 v15, s9
	;; [unrolled: 1-line block ×4, first 2 shown]
	s_branch .LBB252_7
.LBB252_6:                              ;   in Loop: Header=BB252_7 Depth=1
	s_or_b64 exec, exec, s[24:25]
	v_add_u32_e32 v2, s3, v2
	v_cmp_le_i32_e32 vcc, s21, v2
	s_or_b64 s[6:7], vcc, s[6:7]
	s_andn2_b64 exec, exec, s[6:7]
	s_cbranch_execz .LBB252_12
.LBB252_7:                              ; =>This Loop Header: Depth=1
                                        ;     Child Loop BB252_9 Depth 2
                                        ;       Child Loop BB252_10 Depth 3
	v_ashrrev_i32_e32 v3, 31, v2
	v_lshlrev_b64 v[4:5], 3, v[2:3]
	v_add_co_u32_e32 v6, vcc, s8, v4
	v_addc_co_u32_e32 v7, vcc, v15, v5, vcc
	global_load_dwordx2 v[6:7], v[6:7], off
	v_add_co_u32_e32 v4, vcc, s18, v4
	v_addc_co_u32_e32 v5, vcc, v14, v5, vcc
	global_load_dwordx2 v[8:9], v[4:5], off
	s_waitcnt vmcnt(1)
	v_subrev_co_u32_e32 v4, vcc, s2, v6
	v_subb_co_u32_e32 v5, vcc, v7, v16, vcc
	s_waitcnt vmcnt(0)
	v_add_co_u32_e32 v6, vcc, v8, v12
	v_addc_co_u32_e32 v7, vcc, v9, v13, vcc
	v_cmp_lt_i64_e32 vcc, v[6:7], v[4:5]
	s_and_saveexec_b64 s[24:25], vcc
	s_cbranch_execz .LBB252_6
; %bb.8:                                ;   in Loop: Header=BB252_7 Depth=1
	v_lshlrev_b64 v[8:9], 1, v[2:3]
	v_mov_b32_e32 v3, s15
	v_add_co_u32_e32 v8, vcc, s14, v8
	v_addc_co_u32_e32 v9, vcc, v3, v9, vcc
	global_load_ushort v3, v[8:9], off
	s_mov_b64 s[26:27], 0
	s_waitcnt vmcnt(0)
	v_lshlrev_b32_e32 v3, 16, v3
	v_mul_f32_e32 v3, s16, v3
.LBB252_9:                              ;   Parent Loop BB252_7 Depth=1
                                        ; =>  This Loop Header: Depth=2
                                        ;       Child Loop BB252_10 Depth 3
	v_lshlrev_b64 v[8:9], 2, v[6:7]
	v_mov_b32_e32 v10, s11
	v_add_co_u32_e32 v8, vcc, s10, v8
	v_addc_co_u32_e32 v9, vcc, v10, v9, vcc
	global_load_dword v10, v[8:9], off
	v_lshlrev_b64 v[8:9], 1, v[6:7]
	v_mov_b32_e32 v11, s13
	v_add_co_u32_e32 v8, vcc, s12, v8
	v_addc_co_u32_e32 v9, vcc, v11, v9, vcc
	global_load_ushort v18, v[8:9], off
	v_mov_b32_e32 v17, s23
	s_mov_b64 s[28:29], 0
	s_waitcnt vmcnt(1)
	v_subrev_u32_e32 v8, s2, v10
	v_ashrrev_i32_e32 v9, 31, v8
	v_lshlrev_b64 v[8:9], 2, v[8:9]
	v_add_co_u32_e32 v8, vcc, s22, v8
	v_addc_co_u32_e32 v9, vcc, v17, v9, vcc
	global_load_dword v11, v[8:9], off
	s_waitcnt vmcnt(1)
	v_lshlrev_b32_e32 v10, 16, v18
	v_mul_f32_e32 v17, v3, v10
.LBB252_10:                             ;   Parent Loop BB252_7 Depth=1
                                        ;     Parent Loop BB252_9 Depth=2
                                        ; =>    This Inner Loop Header: Depth=3
	s_waitcnt vmcnt(0)
	v_add_f32_e32 v10, v11, v17
	global_atomic_cmpswap v10, v[8:9], v[10:11], off glc
	s_waitcnt vmcnt(0)
	v_cmp_eq_u32_e32 vcc, v10, v11
	s_or_b64 s[28:29], vcc, s[28:29]
	v_mov_b32_e32 v11, v10
	s_andn2_b64 exec, exec, s[28:29]
	s_cbranch_execnz .LBB252_10
; %bb.11:                               ;   in Loop: Header=BB252_9 Depth=2
	s_or_b64 exec, exec, s[28:29]
	v_add_co_u32_e32 v6, vcc, 64, v6
	v_addc_co_u32_e32 v7, vcc, 0, v7, vcc
	v_cmp_ge_i64_e32 vcc, v[6:7], v[4:5]
	s_or_b64 s[26:27], vcc, s[26:27]
	s_andn2_b64 exec, exec, s[26:27]
	s_cbranch_execnz .LBB252_9
	s_branch .LBB252_6
.LBB252_12:
	s_or_b64 exec, exec, s[4:5]
	s_mov_b64 s[4:5], 0
.LBB252_13:
	s_andn2_b64 vcc, exec, s[4:5]
	s_cbranch_vccnz .LBB252_23
; %bb.14:
	s_and_saveexec_b64 s[4:5], s[0:1]
	s_cbranch_execz .LBB252_23
; %bb.15:
	v_subrev_co_u32_e32 v10, vcc, s2, v1
	s_mov_b32 s4, 0
	v_subb_co_u32_e64 v11, s[0:1], 0, 0, vcc
	s_mov_b64 s[0:1], 0
	v_mov_b32_e32 v12, s19
	v_mov_b32_e32 v13, s9
	;; [unrolled: 1-line block ×3, first 2 shown]
	s_branch .LBB252_17
.LBB252_16:                             ;   in Loop: Header=BB252_17 Depth=1
	s_or_b64 exec, exec, s[4:5]
	v_add_u32_e32 v0, s3, v0
	v_cmp_le_i32_e32 vcc, s21, v0
	s_or_b64 s[0:1], vcc, s[0:1]
	s_andn2_b64 exec, exec, s[0:1]
	s_cbranch_execz .LBB252_23
.LBB252_17:                             ; =>This Loop Header: Depth=1
                                        ;     Child Loop BB252_20 Depth 2
                                        ;       Child Loop BB252_22 Depth 3
	v_ashrrev_i32_e32 v1, 31, v0
	v_lshlrev_b64 v[2:3], 3, v[0:1]
	v_add_co_u32_e32 v4, vcc, s8, v2
	v_addc_co_u32_e32 v5, vcc, v13, v3, vcc
	global_load_dwordx2 v[4:5], v[4:5], off
	v_add_co_u32_e32 v2, vcc, s18, v2
	v_addc_co_u32_e32 v3, vcc, v12, v3, vcc
	global_load_dwordx2 v[6:7], v[2:3], off
	s_waitcnt vmcnt(1)
	v_subrev_co_u32_e32 v2, vcc, s2, v4
	v_subb_co_u32_e32 v3, vcc, v5, v14, vcc
	s_waitcnt vmcnt(0)
	v_add_co_u32_e32 v4, vcc, v6, v10
	v_addc_co_u32_e32 v5, vcc, v7, v11, vcc
	v_cmp_lt_i64_e32 vcc, v[4:5], v[2:3]
	s_and_saveexec_b64 s[4:5], vcc
	s_cbranch_execz .LBB252_16
; %bb.18:                               ;   in Loop: Header=BB252_17 Depth=1
	v_lshlrev_b64 v[6:7], 1, v[0:1]
	v_mov_b32_e32 v1, s15
	v_add_co_u32_e32 v6, vcc, s14, v6
	v_addc_co_u32_e32 v7, vcc, v1, v7, vcc
	global_load_ushort v1, v[6:7], off
	s_mov_b64 s[6:7], 0
	s_waitcnt vmcnt(0)
	v_lshlrev_b32_e32 v1, 16, v1
	v_mul_f32_e32 v1, s16, v1
	s_branch .LBB252_20
.LBB252_19:                             ;   in Loop: Header=BB252_20 Depth=2
	s_or_b64 exec, exec, s[24:25]
	v_add_co_u32_e32 v4, vcc, 64, v4
	v_addc_co_u32_e32 v5, vcc, 0, v5, vcc
	v_cmp_ge_i64_e32 vcc, v[4:5], v[2:3]
	s_or_b64 s[6:7], vcc, s[6:7]
	s_andn2_b64 exec, exec, s[6:7]
	s_cbranch_execz .LBB252_16
.LBB252_20:                             ;   Parent Loop BB252_17 Depth=1
                                        ; =>  This Loop Header: Depth=2
                                        ;       Child Loop BB252_22 Depth 3
	v_lshlrev_b64 v[6:7], 2, v[4:5]
	v_mov_b32_e32 v8, s11
	v_add_co_u32_e32 v6, vcc, s10, v6
	v_addc_co_u32_e32 v7, vcc, v8, v7, vcc
	global_load_dword v6, v[6:7], off
	s_waitcnt vmcnt(0)
	v_subrev_u32_e32 v6, s2, v6
	v_cmp_ne_u32_e32 vcc, v6, v0
	s_and_saveexec_b64 s[24:25], vcc
	s_cbranch_execz .LBB252_19
; %bb.21:                               ;   in Loop: Header=BB252_20 Depth=2
	v_lshlrev_b64 v[8:9], 1, v[4:5]
	v_mov_b32_e32 v7, s13
	v_add_co_u32_e32 v8, vcc, s12, v8
	v_addc_co_u32_e32 v9, vcc, v7, v9, vcc
	v_ashrrev_i32_e32 v7, 31, v6
	v_lshlrev_b64 v[6:7], 2, v[6:7]
	v_mov_b32_e32 v15, s23
	global_load_ushort v8, v[8:9], off
	v_add_co_u32_e32 v6, vcc, s22, v6
	v_addc_co_u32_e32 v7, vcc, v15, v7, vcc
	global_load_dword v9, v[6:7], off
	s_mov_b64 s[26:27], 0
	s_waitcnt vmcnt(1)
	v_lshlrev_b32_e32 v8, 16, v8
	v_mul_f32_e32 v15, v1, v8
.LBB252_22:                             ;   Parent Loop BB252_17 Depth=1
                                        ;     Parent Loop BB252_20 Depth=2
                                        ; =>    This Inner Loop Header: Depth=3
	s_waitcnt vmcnt(0)
	v_add_f32_e32 v8, v9, v15
	global_atomic_cmpswap v8, v[6:7], v[8:9], off glc
	s_waitcnt vmcnt(0)
	v_cmp_eq_u32_e32 vcc, v8, v9
	s_or_b64 s[26:27], vcc, s[26:27]
	v_mov_b32_e32 v9, v8
	s_andn2_b64 exec, exec, s[26:27]
	s_cbranch_execnz .LBB252_22
	s_branch .LBB252_19
.LBB252_23:
	s_endpgm
	.section	.rodata,"a",@progbits
	.p2align	6, 0x0
	.amdhsa_kernel _ZN9rocsparseL21csrmvt_general_kernelILj256ELj64Eli18rocsparse_bfloat16S1_ffEEvbbT2_NS_24const_host_device_scalarIT6_EEPKT1_S8_PKS2_PKT3_PKT4_PT5_21rocsparse_index_base_b
		.amdhsa_group_segment_fixed_size 0
		.amdhsa_private_segment_fixed_size 0
		.amdhsa_kernarg_size 328
		.amdhsa_user_sgpr_count 6
		.amdhsa_user_sgpr_private_segment_buffer 1
		.amdhsa_user_sgpr_dispatch_ptr 0
		.amdhsa_user_sgpr_queue_ptr 0
		.amdhsa_user_sgpr_kernarg_segment_ptr 1
		.amdhsa_user_sgpr_dispatch_id 0
		.amdhsa_user_sgpr_flat_scratch_init 0
		.amdhsa_user_sgpr_kernarg_preload_length 0
		.amdhsa_user_sgpr_kernarg_preload_offset 0
		.amdhsa_user_sgpr_private_segment_size 0
		.amdhsa_uses_dynamic_stack 0
		.amdhsa_system_sgpr_private_segment_wavefront_offset 0
		.amdhsa_system_sgpr_workgroup_id_x 1
		.amdhsa_system_sgpr_workgroup_id_y 0
		.amdhsa_system_sgpr_workgroup_id_z 0
		.amdhsa_system_sgpr_workgroup_info 0
		.amdhsa_system_vgpr_workitem_id 0
		.amdhsa_next_free_vgpr 19
		.amdhsa_next_free_sgpr 30
		.amdhsa_accum_offset 20
		.amdhsa_reserve_vcc 1
		.amdhsa_reserve_flat_scratch 0
		.amdhsa_float_round_mode_32 0
		.amdhsa_float_round_mode_16_64 0
		.amdhsa_float_denorm_mode_32 3
		.amdhsa_float_denorm_mode_16_64 3
		.amdhsa_dx10_clamp 1
		.amdhsa_ieee_mode 1
		.amdhsa_fp16_overflow 0
		.amdhsa_tg_split 0
		.amdhsa_exception_fp_ieee_invalid_op 0
		.amdhsa_exception_fp_denorm_src 0
		.amdhsa_exception_fp_ieee_div_zero 0
		.amdhsa_exception_fp_ieee_overflow 0
		.amdhsa_exception_fp_ieee_underflow 0
		.amdhsa_exception_fp_ieee_inexact 0
		.amdhsa_exception_int_div_zero 0
	.end_amdhsa_kernel
	.section	.text._ZN9rocsparseL21csrmvt_general_kernelILj256ELj64Eli18rocsparse_bfloat16S1_ffEEvbbT2_NS_24const_host_device_scalarIT6_EEPKT1_S8_PKS2_PKT3_PKT4_PT5_21rocsparse_index_base_b,"axG",@progbits,_ZN9rocsparseL21csrmvt_general_kernelILj256ELj64Eli18rocsparse_bfloat16S1_ffEEvbbT2_NS_24const_host_device_scalarIT6_EEPKT1_S8_PKS2_PKT3_PKT4_PT5_21rocsparse_index_base_b,comdat
.Lfunc_end252:
	.size	_ZN9rocsparseL21csrmvt_general_kernelILj256ELj64Eli18rocsparse_bfloat16S1_ffEEvbbT2_NS_24const_host_device_scalarIT6_EEPKT1_S8_PKS2_PKT3_PKT4_PT5_21rocsparse_index_base_b, .Lfunc_end252-_ZN9rocsparseL21csrmvt_general_kernelILj256ELj64Eli18rocsparse_bfloat16S1_ffEEvbbT2_NS_24const_host_device_scalarIT6_EEPKT1_S8_PKS2_PKT3_PKT4_PT5_21rocsparse_index_base_b
                                        ; -- End function
	.section	.AMDGPU.csdata,"",@progbits
; Kernel info:
; codeLenInByte = 936
; NumSgprs: 34
; NumVgprs: 19
; NumAgprs: 0
; TotalNumVgprs: 19
; ScratchSize: 0
; MemoryBound: 0
; FloatMode: 240
; IeeeMode: 1
; LDSByteSize: 0 bytes/workgroup (compile time only)
; SGPRBlocks: 4
; VGPRBlocks: 2
; NumSGPRsForWavesPerEU: 34
; NumVGPRsForWavesPerEU: 19
; AccumOffset: 20
; Occupancy: 8
; WaveLimiterHint : 1
; COMPUTE_PGM_RSRC2:SCRATCH_EN: 0
; COMPUTE_PGM_RSRC2:USER_SGPR: 6
; COMPUTE_PGM_RSRC2:TRAP_HANDLER: 0
; COMPUTE_PGM_RSRC2:TGID_X_EN: 1
; COMPUTE_PGM_RSRC2:TGID_Y_EN: 0
; COMPUTE_PGM_RSRC2:TGID_Z_EN: 0
; COMPUTE_PGM_RSRC2:TIDIG_COMP_CNT: 0
; COMPUTE_PGM_RSRC3_GFX90A:ACCUM_OFFSET: 4
; COMPUTE_PGM_RSRC3_GFX90A:TG_SPLIT: 0
	.section	.text._ZN9rocsparseL21csrmvn_general_kernelILj256ELj2Ell18rocsparse_bfloat16S1_ffEEvbT2_NS_24const_host_device_scalarIT6_EEPKT1_S8_PKS2_PKT3_PKT4_S5_PT5_21rocsparse_index_base_b,"axG",@progbits,_ZN9rocsparseL21csrmvn_general_kernelILj256ELj2Ell18rocsparse_bfloat16S1_ffEEvbT2_NS_24const_host_device_scalarIT6_EEPKT1_S8_PKS2_PKT3_PKT4_S5_PT5_21rocsparse_index_base_b,comdat
	.globl	_ZN9rocsparseL21csrmvn_general_kernelILj256ELj2Ell18rocsparse_bfloat16S1_ffEEvbT2_NS_24const_host_device_scalarIT6_EEPKT1_S8_PKS2_PKT3_PKT4_S5_PT5_21rocsparse_index_base_b ; -- Begin function _ZN9rocsparseL21csrmvn_general_kernelILj256ELj2Ell18rocsparse_bfloat16S1_ffEEvbT2_NS_24const_host_device_scalarIT6_EEPKT1_S8_PKS2_PKT3_PKT4_S5_PT5_21rocsparse_index_base_b
	.p2align	8
	.type	_ZN9rocsparseL21csrmvn_general_kernelILj256ELj2Ell18rocsparse_bfloat16S1_ffEEvbT2_NS_24const_host_device_scalarIT6_EEPKT1_S8_PKS2_PKT3_PKT4_S5_PT5_21rocsparse_index_base_b,@function
_ZN9rocsparseL21csrmvn_general_kernelILj256ELj2Ell18rocsparse_bfloat16S1_ffEEvbT2_NS_24const_host_device_scalarIT6_EEPKT1_S8_PKS2_PKT3_PKT4_S5_PT5_21rocsparse_index_base_b: ; @_ZN9rocsparseL21csrmvn_general_kernelILj256ELj2Ell18rocsparse_bfloat16S1_ffEEvbT2_NS_24const_host_device_scalarIT6_EEPKT1_S8_PKS2_PKT3_PKT4_S5_PT5_21rocsparse_index_base_b
; %bb.0:
	s_load_dwordx2 s[20:21], s[4:5], 0x50
	s_load_dwordx2 s[22:23], s[4:5], 0x40
	s_load_dwordx8 s[8:15], s[4:5], 0x8
	s_waitcnt lgkmcnt(0)
	s_bitcmp1_b32 s21, 0
	s_cselect_b64 s[2:3], -1, 0
	s_xor_b64 s[0:1], s[2:3], -1
	s_and_b64 vcc, exec, s[2:3]
	s_cbranch_vccnz .LBB253_2
; %bb.1:
	s_load_dword s10, s[10:11], 0x0
.LBB253_2:
	s_andn2_b64 vcc, exec, s[0:1]
	s_cbranch_vccnz .LBB253_4
; %bb.3:
	s_load_dword s22, s[22:23], 0x0
.LBB253_4:
	s_waitcnt lgkmcnt(0)
	v_cmp_neq_f32_e64 s[0:1], s10, 0
	v_cmp_neq_f32_e64 s[2:3], s22, 1.0
	s_or_b64 s[0:1], s[0:1], s[2:3]
	s_andn2_b64 vcc, exec, s[0:1]
	s_cbranch_vccnz .LBB253_16
; %bb.5:
	v_lshl_or_b32 v1, s6, 8, v0
	v_lshrrev_b32_e32 v2, 1, v1
	v_mov_b32_e32 v3, 0
	v_cmp_gt_i64_e32 vcc, s[8:9], v[2:3]
	s_and_saveexec_b64 s[0:1], vcc
	s_cbranch_execz .LBB253_16
; %bb.6:
	s_load_dword s2, s[4:5], 0x58
	s_load_dwordx2 s[6:7], s[4:5], 0x48
	s_load_dwordx4 s[16:19], s[4:5], 0x28
	s_load_dwordx2 s[0:1], s[4:5], 0x38
	v_and_b32_e32 v0, 1, v0
	v_subrev_co_u32_e32 v10, vcc, s20, v0
	s_waitcnt lgkmcnt(0)
	s_lshl_b32 s11, s2, 7
	v_subb_co_u32_e64 v11, s[2:3], 0, 0, vcc
	s_ashr_i32 s3, s20, 31
	s_mov_b32 s2, s20
	s_lshl_b64 s[2:3], s[2:3], 1
	s_sub_u32 s21, s0, s2
	s_mov_b32 s23, 0
	s_subb_u32 s2, s1, s3
	v_cmp_eq_u32_e64 s[0:1], 1, v0
	s_mov_b64 s[4:5], 0
	v_mov_b32_e32 v12, s13
	v_mov_b32_e32 v13, s15
	;; [unrolled: 1-line block ×4, first 2 shown]
	v_cmp_neq_f32_e64 s[24:25], s22, 0
	v_mov_b32_e32 v16, s23
	s_branch .LBB253_9
.LBB253_7:                              ;   in Loop: Header=BB253_9 Depth=1
	global_store_dword v[0:1], v4, off
.LBB253_8:                              ;   in Loop: Header=BB253_9 Depth=1
	s_or_b64 exec, exec, s[26:27]
	v_add_co_u32_e32 v2, vcc, s11, v2
	v_addc_co_u32_e32 v3, vcc, v3, v16, vcc
	v_cmp_le_i64_e32 vcc, s[8:9], v[2:3]
	s_or_b64 s[4:5], vcc, s[4:5]
	s_andn2_b64 exec, exec, s[4:5]
	s_cbranch_execz .LBB253_16
.LBB253_9:                              ; =>This Loop Header: Depth=1
                                        ;     Child Loop BB253_11 Depth 2
	v_lshlrev_b64 v[0:1], 3, v[2:3]
	v_add_co_u32_e32 v4, vcc, s14, v0
	v_addc_co_u32_e32 v5, vcc, v13, v1, vcc
	global_load_dwordx2 v[4:5], v[4:5], off
	v_add_co_u32_e32 v0, vcc, s12, v0
	v_addc_co_u32_e32 v1, vcc, v12, v1, vcc
	global_load_dwordx2 v[6:7], v[0:1], off
	v_mov_b32_e32 v17, 0
	s_waitcnt vmcnt(1)
	v_subrev_co_u32_e32 v0, vcc, s20, v4
	v_subb_co_u32_e32 v1, vcc, v5, v14, vcc
	s_waitcnt vmcnt(0)
	v_add_co_u32_e32 v4, vcc, v6, v10
	v_addc_co_u32_e32 v5, vcc, v7, v11, vcc
	v_cmp_lt_i64_e32 vcc, v[4:5], v[0:1]
	s_and_saveexec_b64 s[2:3], vcc
	s_cbranch_execz .LBB253_13
; %bb.10:                               ;   in Loop: Header=BB253_9 Depth=1
	v_lshlrev_b64 v[6:7], 1, v[4:5]
	v_mov_b32_e32 v8, s19
	v_add_co_u32_e32 v6, vcc, s18, v6
	v_addc_co_u32_e32 v7, vcc, v8, v7, vcc
	v_lshlrev_b64 v[8:9], 3, v[4:5]
	v_mov_b32_e32 v17, s17
	v_add_co_u32_e32 v8, vcc, s16, v8
	v_addc_co_u32_e32 v9, vcc, v17, v9, vcc
	s_mov_b64 s[26:27], 0
	v_mov_b32_e32 v17, 0
.LBB253_11:                             ;   Parent Loop BB253_9 Depth=1
                                        ; =>  This Inner Loop Header: Depth=2
	global_load_dwordx2 v[18:19], v[8:9], off
	global_load_ushort v20, v[6:7], off
	s_waitcnt vmcnt(1)
	v_lshlrev_b64 v[18:19], 1, v[18:19]
	v_add_co_u32_e32 v18, vcc, s21, v18
	v_addc_co_u32_e32 v19, vcc, v15, v19, vcc
	global_load_ushort v18, v[18:19], off
	v_add_co_u32_e32 v4, vcc, 2, v4
	v_addc_co_u32_e32 v5, vcc, 0, v5, vcc
	v_add_co_u32_e32 v6, vcc, 4, v6
	v_addc_co_u32_e32 v7, vcc, 0, v7, vcc
	;; [unrolled: 2-line block ×3, first 2 shown]
	s_waitcnt vmcnt(1)
	v_lshlrev_b32_e32 v19, 16, v20
	v_cmp_ge_i64_e32 vcc, v[4:5], v[0:1]
	v_mul_f32_e32 v19, s10, v19
	s_or_b64 s[26:27], vcc, s[26:27]
	s_waitcnt vmcnt(0)
	v_lshlrev_b32_e32 v18, 16, v18
	v_fmac_f32_e32 v17, v19, v18
	s_andn2_b64 exec, exec, s[26:27]
	s_cbranch_execnz .LBB253_11
; %bb.12:                               ;   in Loop: Header=BB253_9 Depth=1
	s_or_b64 exec, exec, s[26:27]
.LBB253_13:                             ;   in Loop: Header=BB253_9 Depth=1
	s_or_b64 exec, exec, s[2:3]
	v_mov_b32_dpp v0, v17 row_shr:1 row_mask:0xf bank_mask:0xf
	s_and_saveexec_b64 s[26:27], s[0:1]
	s_cbranch_execz .LBB253_8
; %bb.14:                               ;   in Loop: Header=BB253_9 Depth=1
	v_add_f32_e32 v4, v17, v0
	v_lshlrev_b64 v[0:1], 2, v[2:3]
	v_mov_b32_e32 v5, s7
	v_add_co_u32_e64 v0, s[2:3], s6, v0
	s_andn2_b64 vcc, exec, s[24:25]
	v_addc_co_u32_e64 v1, s[2:3], v5, v1, s[2:3]
	s_cbranch_vccnz .LBB253_7
; %bb.15:                               ;   in Loop: Header=BB253_9 Depth=1
	global_load_dword v5, v[0:1], off
	s_waitcnt vmcnt(0)
	v_fmac_f32_e32 v4, s22, v5
	s_branch .LBB253_7
.LBB253_16:
	s_endpgm
	.section	.rodata,"a",@progbits
	.p2align	6, 0x0
	.amdhsa_kernel _ZN9rocsparseL21csrmvn_general_kernelILj256ELj2Ell18rocsparse_bfloat16S1_ffEEvbT2_NS_24const_host_device_scalarIT6_EEPKT1_S8_PKS2_PKT3_PKT4_S5_PT5_21rocsparse_index_base_b
		.amdhsa_group_segment_fixed_size 0
		.amdhsa_private_segment_fixed_size 0
		.amdhsa_kernarg_size 344
		.amdhsa_user_sgpr_count 6
		.amdhsa_user_sgpr_private_segment_buffer 1
		.amdhsa_user_sgpr_dispatch_ptr 0
		.amdhsa_user_sgpr_queue_ptr 0
		.amdhsa_user_sgpr_kernarg_segment_ptr 1
		.amdhsa_user_sgpr_dispatch_id 0
		.amdhsa_user_sgpr_flat_scratch_init 0
		.amdhsa_user_sgpr_kernarg_preload_length 0
		.amdhsa_user_sgpr_kernarg_preload_offset 0
		.amdhsa_user_sgpr_private_segment_size 0
		.amdhsa_uses_dynamic_stack 0
		.amdhsa_system_sgpr_private_segment_wavefront_offset 0
		.amdhsa_system_sgpr_workgroup_id_x 1
		.amdhsa_system_sgpr_workgroup_id_y 0
		.amdhsa_system_sgpr_workgroup_id_z 0
		.amdhsa_system_sgpr_workgroup_info 0
		.amdhsa_system_vgpr_workitem_id 0
		.amdhsa_next_free_vgpr 21
		.amdhsa_next_free_sgpr 28
		.amdhsa_accum_offset 24
		.amdhsa_reserve_vcc 1
		.amdhsa_reserve_flat_scratch 0
		.amdhsa_float_round_mode_32 0
		.amdhsa_float_round_mode_16_64 0
		.amdhsa_float_denorm_mode_32 3
		.amdhsa_float_denorm_mode_16_64 3
		.amdhsa_dx10_clamp 1
		.amdhsa_ieee_mode 1
		.amdhsa_fp16_overflow 0
		.amdhsa_tg_split 0
		.amdhsa_exception_fp_ieee_invalid_op 0
		.amdhsa_exception_fp_denorm_src 0
		.amdhsa_exception_fp_ieee_div_zero 0
		.amdhsa_exception_fp_ieee_overflow 0
		.amdhsa_exception_fp_ieee_underflow 0
		.amdhsa_exception_fp_ieee_inexact 0
		.amdhsa_exception_int_div_zero 0
	.end_amdhsa_kernel
	.section	.text._ZN9rocsparseL21csrmvn_general_kernelILj256ELj2Ell18rocsparse_bfloat16S1_ffEEvbT2_NS_24const_host_device_scalarIT6_EEPKT1_S8_PKS2_PKT3_PKT4_S5_PT5_21rocsparse_index_base_b,"axG",@progbits,_ZN9rocsparseL21csrmvn_general_kernelILj256ELj2Ell18rocsparse_bfloat16S1_ffEEvbT2_NS_24const_host_device_scalarIT6_EEPKT1_S8_PKS2_PKT3_PKT4_S5_PT5_21rocsparse_index_base_b,comdat
.Lfunc_end253:
	.size	_ZN9rocsparseL21csrmvn_general_kernelILj256ELj2Ell18rocsparse_bfloat16S1_ffEEvbT2_NS_24const_host_device_scalarIT6_EEPKT1_S8_PKS2_PKT3_PKT4_S5_PT5_21rocsparse_index_base_b, .Lfunc_end253-_ZN9rocsparseL21csrmvn_general_kernelILj256ELj2Ell18rocsparse_bfloat16S1_ffEEvbT2_NS_24const_host_device_scalarIT6_EEPKT1_S8_PKS2_PKT3_PKT4_S5_PT5_21rocsparse_index_base_b
                                        ; -- End function
	.section	.AMDGPU.csdata,"",@progbits
; Kernel info:
; codeLenInByte = 616
; NumSgprs: 32
; NumVgprs: 21
; NumAgprs: 0
; TotalNumVgprs: 21
; ScratchSize: 0
; MemoryBound: 0
; FloatMode: 240
; IeeeMode: 1
; LDSByteSize: 0 bytes/workgroup (compile time only)
; SGPRBlocks: 3
; VGPRBlocks: 2
; NumSGPRsForWavesPerEU: 32
; NumVGPRsForWavesPerEU: 21
; AccumOffset: 24
; Occupancy: 8
; WaveLimiterHint : 1
; COMPUTE_PGM_RSRC2:SCRATCH_EN: 0
; COMPUTE_PGM_RSRC2:USER_SGPR: 6
; COMPUTE_PGM_RSRC2:TRAP_HANDLER: 0
; COMPUTE_PGM_RSRC2:TGID_X_EN: 1
; COMPUTE_PGM_RSRC2:TGID_Y_EN: 0
; COMPUTE_PGM_RSRC2:TGID_Z_EN: 0
; COMPUTE_PGM_RSRC2:TIDIG_COMP_CNT: 0
; COMPUTE_PGM_RSRC3_GFX90A:ACCUM_OFFSET: 5
; COMPUTE_PGM_RSRC3_GFX90A:TG_SPLIT: 0
	.section	.text._ZN9rocsparseL21csrmvn_general_kernelILj256ELj4Ell18rocsparse_bfloat16S1_ffEEvbT2_NS_24const_host_device_scalarIT6_EEPKT1_S8_PKS2_PKT3_PKT4_S5_PT5_21rocsparse_index_base_b,"axG",@progbits,_ZN9rocsparseL21csrmvn_general_kernelILj256ELj4Ell18rocsparse_bfloat16S1_ffEEvbT2_NS_24const_host_device_scalarIT6_EEPKT1_S8_PKS2_PKT3_PKT4_S5_PT5_21rocsparse_index_base_b,comdat
	.globl	_ZN9rocsparseL21csrmvn_general_kernelILj256ELj4Ell18rocsparse_bfloat16S1_ffEEvbT2_NS_24const_host_device_scalarIT6_EEPKT1_S8_PKS2_PKT3_PKT4_S5_PT5_21rocsparse_index_base_b ; -- Begin function _ZN9rocsparseL21csrmvn_general_kernelILj256ELj4Ell18rocsparse_bfloat16S1_ffEEvbT2_NS_24const_host_device_scalarIT6_EEPKT1_S8_PKS2_PKT3_PKT4_S5_PT5_21rocsparse_index_base_b
	.p2align	8
	.type	_ZN9rocsparseL21csrmvn_general_kernelILj256ELj4Ell18rocsparse_bfloat16S1_ffEEvbT2_NS_24const_host_device_scalarIT6_EEPKT1_S8_PKS2_PKT3_PKT4_S5_PT5_21rocsparse_index_base_b,@function
_ZN9rocsparseL21csrmvn_general_kernelILj256ELj4Ell18rocsparse_bfloat16S1_ffEEvbT2_NS_24const_host_device_scalarIT6_EEPKT1_S8_PKS2_PKT3_PKT4_S5_PT5_21rocsparse_index_base_b: ; @_ZN9rocsparseL21csrmvn_general_kernelILj256ELj4Ell18rocsparse_bfloat16S1_ffEEvbT2_NS_24const_host_device_scalarIT6_EEPKT1_S8_PKS2_PKT3_PKT4_S5_PT5_21rocsparse_index_base_b
; %bb.0:
	s_load_dwordx2 s[20:21], s[4:5], 0x50
	s_load_dwordx2 s[22:23], s[4:5], 0x40
	s_load_dwordx8 s[8:15], s[4:5], 0x8
	s_waitcnt lgkmcnt(0)
	s_bitcmp1_b32 s21, 0
	s_cselect_b64 s[2:3], -1, 0
	s_xor_b64 s[0:1], s[2:3], -1
	s_and_b64 vcc, exec, s[2:3]
	s_cbranch_vccnz .LBB254_2
; %bb.1:
	s_load_dword s10, s[10:11], 0x0
.LBB254_2:
	s_andn2_b64 vcc, exec, s[0:1]
	s_cbranch_vccnz .LBB254_4
; %bb.3:
	s_load_dword s22, s[22:23], 0x0
.LBB254_4:
	s_waitcnt lgkmcnt(0)
	v_cmp_neq_f32_e64 s[0:1], s10, 0
	v_cmp_neq_f32_e64 s[2:3], s22, 1.0
	s_or_b64 s[0:1], s[0:1], s[2:3]
	s_andn2_b64 vcc, exec, s[0:1]
	s_cbranch_vccnz .LBB254_16
; %bb.5:
	v_lshl_or_b32 v1, s6, 8, v0
	v_lshrrev_b32_e32 v2, 2, v1
	v_mov_b32_e32 v3, 0
	v_cmp_gt_i64_e32 vcc, s[8:9], v[2:3]
	s_and_saveexec_b64 s[0:1], vcc
	s_cbranch_execz .LBB254_16
; %bb.6:
	s_load_dword s2, s[4:5], 0x58
	s_load_dwordx2 s[6:7], s[4:5], 0x48
	s_load_dwordx4 s[16:19], s[4:5], 0x28
	s_load_dwordx2 s[0:1], s[4:5], 0x38
	v_and_b32_e32 v0, 3, v0
	v_subrev_co_u32_e32 v10, vcc, s20, v0
	s_waitcnt lgkmcnt(0)
	s_lshl_b32 s21, s2, 6
	v_subb_co_u32_e64 v11, s[2:3], 0, 0, vcc
	s_ashr_i32 s3, s20, 31
	s_mov_b32 s2, s20
	s_lshl_b64 s[2:3], s[2:3], 1
	s_sub_u32 s23, s0, s2
	s_mov_b32 s11, 0
	s_subb_u32 s2, s1, s3
	v_cmp_eq_u32_e64 s[0:1], 3, v0
	s_mov_b64 s[4:5], 0
	v_mov_b32_e32 v12, s13
	v_mov_b32_e32 v13, s15
	;; [unrolled: 1-line block ×4, first 2 shown]
	v_cmp_neq_f32_e64 s[24:25], s22, 0
	s_branch .LBB254_9
.LBB254_7:                              ;   in Loop: Header=BB254_9 Depth=1
	global_store_dword v[0:1], v4, off
.LBB254_8:                              ;   in Loop: Header=BB254_9 Depth=1
	s_or_b64 exec, exec, s[26:27]
	v_mov_b32_e32 v0, s11
	v_add_co_u32_e32 v2, vcc, s21, v2
	v_addc_co_u32_e32 v3, vcc, v3, v0, vcc
	v_cmp_le_i64_e32 vcc, s[8:9], v[2:3]
	s_or_b64 s[4:5], vcc, s[4:5]
	s_andn2_b64 exec, exec, s[4:5]
	s_cbranch_execz .LBB254_16
.LBB254_9:                              ; =>This Loop Header: Depth=1
                                        ;     Child Loop BB254_11 Depth 2
	v_lshlrev_b64 v[0:1], 3, v[2:3]
	v_add_co_u32_e32 v4, vcc, s14, v0
	v_addc_co_u32_e32 v5, vcc, v13, v1, vcc
	global_load_dwordx2 v[4:5], v[4:5], off
	v_add_co_u32_e32 v0, vcc, s12, v0
	v_addc_co_u32_e32 v1, vcc, v12, v1, vcc
	global_load_dwordx2 v[6:7], v[0:1], off
	v_mov_b32_e32 v16, 0
	s_waitcnt vmcnt(1)
	v_subrev_co_u32_e32 v0, vcc, s20, v4
	v_subb_co_u32_e32 v1, vcc, v5, v14, vcc
	s_waitcnt vmcnt(0)
	v_add_co_u32_e32 v4, vcc, v6, v10
	v_addc_co_u32_e32 v5, vcc, v7, v11, vcc
	v_cmp_lt_i64_e32 vcc, v[4:5], v[0:1]
	s_and_saveexec_b64 s[2:3], vcc
	s_cbranch_execz .LBB254_13
; %bb.10:                               ;   in Loop: Header=BB254_9 Depth=1
	v_lshlrev_b64 v[6:7], 1, v[4:5]
	v_mov_b32_e32 v8, s19
	v_add_co_u32_e32 v6, vcc, s18, v6
	v_addc_co_u32_e32 v7, vcc, v8, v7, vcc
	v_lshlrev_b64 v[8:9], 3, v[4:5]
	v_mov_b32_e32 v16, s17
	v_add_co_u32_e32 v8, vcc, s16, v8
	v_addc_co_u32_e32 v9, vcc, v16, v9, vcc
	s_mov_b64 s[26:27], 0
	v_mov_b32_e32 v16, 0
.LBB254_11:                             ;   Parent Loop BB254_9 Depth=1
                                        ; =>  This Inner Loop Header: Depth=2
	global_load_dwordx2 v[18:19], v[8:9], off
	global_load_ushort v17, v[6:7], off
	s_waitcnt vmcnt(1)
	v_lshlrev_b64 v[18:19], 1, v[18:19]
	v_add_co_u32_e32 v18, vcc, s23, v18
	v_addc_co_u32_e32 v19, vcc, v15, v19, vcc
	global_load_ushort v18, v[18:19], off
	v_add_co_u32_e32 v4, vcc, 4, v4
	v_addc_co_u32_e32 v5, vcc, 0, v5, vcc
	v_add_co_u32_e32 v6, vcc, 8, v6
	v_addc_co_u32_e32 v7, vcc, 0, v7, vcc
	;; [unrolled: 2-line block ×3, first 2 shown]
	s_waitcnt vmcnt(1)
	v_lshlrev_b32_e32 v17, 16, v17
	v_cmp_ge_i64_e32 vcc, v[4:5], v[0:1]
	v_mul_f32_e32 v17, s10, v17
	s_or_b64 s[26:27], vcc, s[26:27]
	s_waitcnt vmcnt(0)
	v_lshlrev_b32_e32 v18, 16, v18
	v_fmac_f32_e32 v16, v17, v18
	s_andn2_b64 exec, exec, s[26:27]
	s_cbranch_execnz .LBB254_11
; %bb.12:                               ;   in Loop: Header=BB254_9 Depth=1
	s_or_b64 exec, exec, s[26:27]
.LBB254_13:                             ;   in Loop: Header=BB254_9 Depth=1
	s_or_b64 exec, exec, s[2:3]
	v_mov_b32_dpp v0, v16 row_shr:1 row_mask:0xf bank_mask:0xf
	v_add_f32_e32 v0, v16, v0
	s_nop 1
	v_mov_b32_dpp v1, v0 row_shr:2 row_mask:0xf bank_mask:0xf
	s_and_saveexec_b64 s[26:27], s[0:1]
	s_cbranch_execz .LBB254_8
; %bb.14:                               ;   in Loop: Header=BB254_9 Depth=1
	v_add_f32_e32 v4, v0, v1
	v_lshlrev_b64 v[0:1], 2, v[2:3]
	v_mov_b32_e32 v5, s7
	v_add_co_u32_e64 v0, s[2:3], s6, v0
	s_andn2_b64 vcc, exec, s[24:25]
	v_addc_co_u32_e64 v1, s[2:3], v5, v1, s[2:3]
	s_cbranch_vccnz .LBB254_7
; %bb.15:                               ;   in Loop: Header=BB254_9 Depth=1
	global_load_dword v5, v[0:1], off
	s_waitcnt vmcnt(0)
	v_fmac_f32_e32 v4, s22, v5
	s_branch .LBB254_7
.LBB254_16:
	s_endpgm
	.section	.rodata,"a",@progbits
	.p2align	6, 0x0
	.amdhsa_kernel _ZN9rocsparseL21csrmvn_general_kernelILj256ELj4Ell18rocsparse_bfloat16S1_ffEEvbT2_NS_24const_host_device_scalarIT6_EEPKT1_S8_PKS2_PKT3_PKT4_S5_PT5_21rocsparse_index_base_b
		.amdhsa_group_segment_fixed_size 0
		.amdhsa_private_segment_fixed_size 0
		.amdhsa_kernarg_size 344
		.amdhsa_user_sgpr_count 6
		.amdhsa_user_sgpr_private_segment_buffer 1
		.amdhsa_user_sgpr_dispatch_ptr 0
		.amdhsa_user_sgpr_queue_ptr 0
		.amdhsa_user_sgpr_kernarg_segment_ptr 1
		.amdhsa_user_sgpr_dispatch_id 0
		.amdhsa_user_sgpr_flat_scratch_init 0
		.amdhsa_user_sgpr_kernarg_preload_length 0
		.amdhsa_user_sgpr_kernarg_preload_offset 0
		.amdhsa_user_sgpr_private_segment_size 0
		.amdhsa_uses_dynamic_stack 0
		.amdhsa_system_sgpr_private_segment_wavefront_offset 0
		.amdhsa_system_sgpr_workgroup_id_x 1
		.amdhsa_system_sgpr_workgroup_id_y 0
		.amdhsa_system_sgpr_workgroup_id_z 0
		.amdhsa_system_sgpr_workgroup_info 0
		.amdhsa_system_vgpr_workitem_id 0
		.amdhsa_next_free_vgpr 20
		.amdhsa_next_free_sgpr 28
		.amdhsa_accum_offset 20
		.amdhsa_reserve_vcc 1
		.amdhsa_reserve_flat_scratch 0
		.amdhsa_float_round_mode_32 0
		.amdhsa_float_round_mode_16_64 0
		.amdhsa_float_denorm_mode_32 3
		.amdhsa_float_denorm_mode_16_64 3
		.amdhsa_dx10_clamp 1
		.amdhsa_ieee_mode 1
		.amdhsa_fp16_overflow 0
		.amdhsa_tg_split 0
		.amdhsa_exception_fp_ieee_invalid_op 0
		.amdhsa_exception_fp_denorm_src 0
		.amdhsa_exception_fp_ieee_div_zero 0
		.amdhsa_exception_fp_ieee_overflow 0
		.amdhsa_exception_fp_ieee_underflow 0
		.amdhsa_exception_fp_ieee_inexact 0
		.amdhsa_exception_int_div_zero 0
	.end_amdhsa_kernel
	.section	.text._ZN9rocsparseL21csrmvn_general_kernelILj256ELj4Ell18rocsparse_bfloat16S1_ffEEvbT2_NS_24const_host_device_scalarIT6_EEPKT1_S8_PKS2_PKT3_PKT4_S5_PT5_21rocsparse_index_base_b,"axG",@progbits,_ZN9rocsparseL21csrmvn_general_kernelILj256ELj4Ell18rocsparse_bfloat16S1_ffEEvbT2_NS_24const_host_device_scalarIT6_EEPKT1_S8_PKS2_PKT3_PKT4_S5_PT5_21rocsparse_index_base_b,comdat
.Lfunc_end254:
	.size	_ZN9rocsparseL21csrmvn_general_kernelILj256ELj4Ell18rocsparse_bfloat16S1_ffEEvbT2_NS_24const_host_device_scalarIT6_EEPKT1_S8_PKS2_PKT3_PKT4_S5_PT5_21rocsparse_index_base_b, .Lfunc_end254-_ZN9rocsparseL21csrmvn_general_kernelILj256ELj4Ell18rocsparse_bfloat16S1_ffEEvbT2_NS_24const_host_device_scalarIT6_EEPKT1_S8_PKS2_PKT3_PKT4_S5_PT5_21rocsparse_index_base_b
                                        ; -- End function
	.section	.AMDGPU.csdata,"",@progbits
; Kernel info:
; codeLenInByte = 632
; NumSgprs: 32
; NumVgprs: 20
; NumAgprs: 0
; TotalNumVgprs: 20
; ScratchSize: 0
; MemoryBound: 0
; FloatMode: 240
; IeeeMode: 1
; LDSByteSize: 0 bytes/workgroup (compile time only)
; SGPRBlocks: 3
; VGPRBlocks: 2
; NumSGPRsForWavesPerEU: 32
; NumVGPRsForWavesPerEU: 20
; AccumOffset: 20
; Occupancy: 8
; WaveLimiterHint : 1
; COMPUTE_PGM_RSRC2:SCRATCH_EN: 0
; COMPUTE_PGM_RSRC2:USER_SGPR: 6
; COMPUTE_PGM_RSRC2:TRAP_HANDLER: 0
; COMPUTE_PGM_RSRC2:TGID_X_EN: 1
; COMPUTE_PGM_RSRC2:TGID_Y_EN: 0
; COMPUTE_PGM_RSRC2:TGID_Z_EN: 0
; COMPUTE_PGM_RSRC2:TIDIG_COMP_CNT: 0
; COMPUTE_PGM_RSRC3_GFX90A:ACCUM_OFFSET: 4
; COMPUTE_PGM_RSRC3_GFX90A:TG_SPLIT: 0
	.section	.text._ZN9rocsparseL21csrmvn_general_kernelILj256ELj8Ell18rocsparse_bfloat16S1_ffEEvbT2_NS_24const_host_device_scalarIT6_EEPKT1_S8_PKS2_PKT3_PKT4_S5_PT5_21rocsparse_index_base_b,"axG",@progbits,_ZN9rocsparseL21csrmvn_general_kernelILj256ELj8Ell18rocsparse_bfloat16S1_ffEEvbT2_NS_24const_host_device_scalarIT6_EEPKT1_S8_PKS2_PKT3_PKT4_S5_PT5_21rocsparse_index_base_b,comdat
	.globl	_ZN9rocsparseL21csrmvn_general_kernelILj256ELj8Ell18rocsparse_bfloat16S1_ffEEvbT2_NS_24const_host_device_scalarIT6_EEPKT1_S8_PKS2_PKT3_PKT4_S5_PT5_21rocsparse_index_base_b ; -- Begin function _ZN9rocsparseL21csrmvn_general_kernelILj256ELj8Ell18rocsparse_bfloat16S1_ffEEvbT2_NS_24const_host_device_scalarIT6_EEPKT1_S8_PKS2_PKT3_PKT4_S5_PT5_21rocsparse_index_base_b
	.p2align	8
	.type	_ZN9rocsparseL21csrmvn_general_kernelILj256ELj8Ell18rocsparse_bfloat16S1_ffEEvbT2_NS_24const_host_device_scalarIT6_EEPKT1_S8_PKS2_PKT3_PKT4_S5_PT5_21rocsparse_index_base_b,@function
_ZN9rocsparseL21csrmvn_general_kernelILj256ELj8Ell18rocsparse_bfloat16S1_ffEEvbT2_NS_24const_host_device_scalarIT6_EEPKT1_S8_PKS2_PKT3_PKT4_S5_PT5_21rocsparse_index_base_b: ; @_ZN9rocsparseL21csrmvn_general_kernelILj256ELj8Ell18rocsparse_bfloat16S1_ffEEvbT2_NS_24const_host_device_scalarIT6_EEPKT1_S8_PKS2_PKT3_PKT4_S5_PT5_21rocsparse_index_base_b
; %bb.0:
	s_load_dwordx2 s[20:21], s[4:5], 0x50
	s_load_dwordx2 s[22:23], s[4:5], 0x40
	s_load_dwordx8 s[8:15], s[4:5], 0x8
	s_waitcnt lgkmcnt(0)
	s_bitcmp1_b32 s21, 0
	s_cselect_b64 s[2:3], -1, 0
	s_xor_b64 s[0:1], s[2:3], -1
	s_and_b64 vcc, exec, s[2:3]
	s_cbranch_vccnz .LBB255_2
; %bb.1:
	s_load_dword s10, s[10:11], 0x0
.LBB255_2:
	s_andn2_b64 vcc, exec, s[0:1]
	s_cbranch_vccnz .LBB255_4
; %bb.3:
	s_load_dword s22, s[22:23], 0x0
.LBB255_4:
	s_waitcnt lgkmcnt(0)
	v_cmp_neq_f32_e64 s[0:1], s10, 0
	v_cmp_neq_f32_e64 s[2:3], s22, 1.0
	s_or_b64 s[0:1], s[0:1], s[2:3]
	s_andn2_b64 vcc, exec, s[0:1]
	s_cbranch_vccnz .LBB255_16
; %bb.5:
	v_lshl_or_b32 v1, s6, 8, v0
	v_lshrrev_b32_e32 v2, 3, v1
	v_mov_b32_e32 v3, 0
	v_cmp_gt_i64_e32 vcc, s[8:9], v[2:3]
	s_and_saveexec_b64 s[0:1], vcc
	s_cbranch_execz .LBB255_16
; %bb.6:
	s_load_dword s2, s[4:5], 0x58
	s_load_dwordx2 s[6:7], s[4:5], 0x48
	s_load_dwordx4 s[16:19], s[4:5], 0x28
	s_load_dwordx2 s[0:1], s[4:5], 0x38
	v_and_b32_e32 v0, 7, v0
	v_subrev_co_u32_e32 v10, vcc, s20, v0
	s_waitcnt lgkmcnt(0)
	s_lshl_b32 s21, s2, 5
	v_subb_co_u32_e64 v11, s[2:3], 0, 0, vcc
	s_ashr_i32 s3, s20, 31
	s_mov_b32 s2, s20
	s_lshl_b64 s[2:3], s[2:3], 1
	s_sub_u32 s23, s0, s2
	s_subb_u32 s2, s1, s3
	v_mov_b32_e32 v15, s2
	v_cmp_neq_f32_e64 s[2:3], s22, 0
	s_mov_b32 s11, 0
	v_cmp_eq_u32_e64 s[0:1], 7, v0
	v_cndmask_b32_e64 v0, 0, 1, s[2:3]
	s_mov_b64 s[24:25], 0
	v_mov_b32_e32 v12, s13
	v_mov_b32_e32 v13, s15
	;; [unrolled: 1-line block ×3, first 2 shown]
	v_cmp_ne_u32_e64 s[2:3], 1, v0
	s_branch .LBB255_9
.LBB255_7:                              ;   in Loop: Header=BB255_9 Depth=1
	global_store_dword v[0:1], v4, off
.LBB255_8:                              ;   in Loop: Header=BB255_9 Depth=1
	s_or_b64 exec, exec, s[26:27]
	v_mov_b32_e32 v0, s11
	v_add_co_u32_e32 v2, vcc, s21, v2
	v_addc_co_u32_e32 v3, vcc, v3, v0, vcc
	v_cmp_le_i64_e32 vcc, s[8:9], v[2:3]
	s_or_b64 s[24:25], vcc, s[24:25]
	s_andn2_b64 exec, exec, s[24:25]
	s_cbranch_execz .LBB255_16
.LBB255_9:                              ; =>This Loop Header: Depth=1
                                        ;     Child Loop BB255_11 Depth 2
	v_lshlrev_b64 v[0:1], 3, v[2:3]
	v_add_co_u32_e32 v4, vcc, s14, v0
	v_addc_co_u32_e32 v5, vcc, v13, v1, vcc
	global_load_dwordx2 v[4:5], v[4:5], off
	v_add_co_u32_e32 v0, vcc, s12, v0
	v_addc_co_u32_e32 v1, vcc, v12, v1, vcc
	global_load_dwordx2 v[6:7], v[0:1], off
	v_mov_b32_e32 v16, 0
	s_waitcnt vmcnt(1)
	v_subrev_co_u32_e32 v0, vcc, s20, v4
	v_subb_co_u32_e32 v1, vcc, v5, v14, vcc
	s_waitcnt vmcnt(0)
	v_add_co_u32_e32 v4, vcc, v6, v10
	v_addc_co_u32_e32 v5, vcc, v7, v11, vcc
	v_cmp_lt_i64_e32 vcc, v[4:5], v[0:1]
	s_and_saveexec_b64 s[4:5], vcc
	s_cbranch_execz .LBB255_13
; %bb.10:                               ;   in Loop: Header=BB255_9 Depth=1
	v_lshlrev_b64 v[6:7], 1, v[4:5]
	v_mov_b32_e32 v8, s19
	v_add_co_u32_e32 v6, vcc, s18, v6
	v_addc_co_u32_e32 v7, vcc, v8, v7, vcc
	v_lshlrev_b64 v[8:9], 3, v[4:5]
	v_mov_b32_e32 v16, s17
	v_add_co_u32_e32 v8, vcc, s16, v8
	v_addc_co_u32_e32 v9, vcc, v16, v9, vcc
	s_mov_b64 s[26:27], 0
	v_mov_b32_e32 v16, 0
.LBB255_11:                             ;   Parent Loop BB255_9 Depth=1
                                        ; =>  This Inner Loop Header: Depth=2
	global_load_dwordx2 v[18:19], v[8:9], off
	global_load_ushort v17, v[6:7], off
	s_waitcnt vmcnt(1)
	v_lshlrev_b64 v[18:19], 1, v[18:19]
	v_add_co_u32_e32 v18, vcc, s23, v18
	v_addc_co_u32_e32 v19, vcc, v15, v19, vcc
	global_load_ushort v18, v[18:19], off
	v_add_co_u32_e32 v4, vcc, 8, v4
	v_addc_co_u32_e32 v5, vcc, 0, v5, vcc
	v_add_co_u32_e32 v6, vcc, 16, v6
	v_addc_co_u32_e32 v7, vcc, 0, v7, vcc
	;; [unrolled: 2-line block ×3, first 2 shown]
	s_waitcnt vmcnt(1)
	v_lshlrev_b32_e32 v17, 16, v17
	v_cmp_ge_i64_e32 vcc, v[4:5], v[0:1]
	v_mul_f32_e32 v17, s10, v17
	s_or_b64 s[26:27], vcc, s[26:27]
	s_waitcnt vmcnt(0)
	v_lshlrev_b32_e32 v18, 16, v18
	v_fmac_f32_e32 v16, v17, v18
	s_andn2_b64 exec, exec, s[26:27]
	s_cbranch_execnz .LBB255_11
; %bb.12:                               ;   in Loop: Header=BB255_9 Depth=1
	s_or_b64 exec, exec, s[26:27]
.LBB255_13:                             ;   in Loop: Header=BB255_9 Depth=1
	s_or_b64 exec, exec, s[4:5]
	v_mov_b32_dpp v0, v16 row_shr:1 row_mask:0xf bank_mask:0xf
	v_add_f32_e32 v0, v16, v0
	s_nop 1
	v_mov_b32_dpp v1, v0 row_shr:2 row_mask:0xf bank_mask:0xf
	v_add_f32_e32 v0, v0, v1
	s_nop 1
	v_mov_b32_dpp v1, v0 row_shr:4 row_mask:0xf bank_mask:0xe
	s_and_saveexec_b64 s[26:27], s[0:1]
	s_cbranch_execz .LBB255_8
; %bb.14:                               ;   in Loop: Header=BB255_9 Depth=1
	v_add_f32_e32 v4, v0, v1
	v_lshlrev_b64 v[0:1], 2, v[2:3]
	v_mov_b32_e32 v5, s7
	v_add_co_u32_e64 v0, s[4:5], s6, v0
	s_and_b64 vcc, exec, s[2:3]
	v_addc_co_u32_e64 v1, s[4:5], v5, v1, s[4:5]
	s_cbranch_vccnz .LBB255_7
; %bb.15:                               ;   in Loop: Header=BB255_9 Depth=1
	global_load_dword v5, v[0:1], off
	s_waitcnt vmcnt(0)
	v_fmac_f32_e32 v4, s22, v5
	s_branch .LBB255_7
.LBB255_16:
	s_endpgm
	.section	.rodata,"a",@progbits
	.p2align	6, 0x0
	.amdhsa_kernel _ZN9rocsparseL21csrmvn_general_kernelILj256ELj8Ell18rocsparse_bfloat16S1_ffEEvbT2_NS_24const_host_device_scalarIT6_EEPKT1_S8_PKS2_PKT3_PKT4_S5_PT5_21rocsparse_index_base_b
		.amdhsa_group_segment_fixed_size 0
		.amdhsa_private_segment_fixed_size 0
		.amdhsa_kernarg_size 344
		.amdhsa_user_sgpr_count 6
		.amdhsa_user_sgpr_private_segment_buffer 1
		.amdhsa_user_sgpr_dispatch_ptr 0
		.amdhsa_user_sgpr_queue_ptr 0
		.amdhsa_user_sgpr_kernarg_segment_ptr 1
		.amdhsa_user_sgpr_dispatch_id 0
		.amdhsa_user_sgpr_flat_scratch_init 0
		.amdhsa_user_sgpr_kernarg_preload_length 0
		.amdhsa_user_sgpr_kernarg_preload_offset 0
		.amdhsa_user_sgpr_private_segment_size 0
		.amdhsa_uses_dynamic_stack 0
		.amdhsa_system_sgpr_private_segment_wavefront_offset 0
		.amdhsa_system_sgpr_workgroup_id_x 1
		.amdhsa_system_sgpr_workgroup_id_y 0
		.amdhsa_system_sgpr_workgroup_id_z 0
		.amdhsa_system_sgpr_workgroup_info 0
		.amdhsa_system_vgpr_workitem_id 0
		.amdhsa_next_free_vgpr 20
		.amdhsa_next_free_sgpr 28
		.amdhsa_accum_offset 20
		.amdhsa_reserve_vcc 1
		.amdhsa_reserve_flat_scratch 0
		.amdhsa_float_round_mode_32 0
		.amdhsa_float_round_mode_16_64 0
		.amdhsa_float_denorm_mode_32 3
		.amdhsa_float_denorm_mode_16_64 3
		.amdhsa_dx10_clamp 1
		.amdhsa_ieee_mode 1
		.amdhsa_fp16_overflow 0
		.amdhsa_tg_split 0
		.amdhsa_exception_fp_ieee_invalid_op 0
		.amdhsa_exception_fp_denorm_src 0
		.amdhsa_exception_fp_ieee_div_zero 0
		.amdhsa_exception_fp_ieee_overflow 0
		.amdhsa_exception_fp_ieee_underflow 0
		.amdhsa_exception_fp_ieee_inexact 0
		.amdhsa_exception_int_div_zero 0
	.end_amdhsa_kernel
	.section	.text._ZN9rocsparseL21csrmvn_general_kernelILj256ELj8Ell18rocsparse_bfloat16S1_ffEEvbT2_NS_24const_host_device_scalarIT6_EEPKT1_S8_PKS2_PKT3_PKT4_S5_PT5_21rocsparse_index_base_b,"axG",@progbits,_ZN9rocsparseL21csrmvn_general_kernelILj256ELj8Ell18rocsparse_bfloat16S1_ffEEvbT2_NS_24const_host_device_scalarIT6_EEPKT1_S8_PKS2_PKT3_PKT4_S5_PT5_21rocsparse_index_base_b,comdat
.Lfunc_end255:
	.size	_ZN9rocsparseL21csrmvn_general_kernelILj256ELj8Ell18rocsparse_bfloat16S1_ffEEvbT2_NS_24const_host_device_scalarIT6_EEPKT1_S8_PKS2_PKT3_PKT4_S5_PT5_21rocsparse_index_base_b, .Lfunc_end255-_ZN9rocsparseL21csrmvn_general_kernelILj256ELj8Ell18rocsparse_bfloat16S1_ffEEvbT2_NS_24const_host_device_scalarIT6_EEPKT1_S8_PKS2_PKT3_PKT4_S5_PT5_21rocsparse_index_base_b
                                        ; -- End function
	.section	.AMDGPU.csdata,"",@progbits
; Kernel info:
; codeLenInByte = 664
; NumSgprs: 32
; NumVgprs: 20
; NumAgprs: 0
; TotalNumVgprs: 20
; ScratchSize: 0
; MemoryBound: 0
; FloatMode: 240
; IeeeMode: 1
; LDSByteSize: 0 bytes/workgroup (compile time only)
; SGPRBlocks: 3
; VGPRBlocks: 2
; NumSGPRsForWavesPerEU: 32
; NumVGPRsForWavesPerEU: 20
; AccumOffset: 20
; Occupancy: 8
; WaveLimiterHint : 1
; COMPUTE_PGM_RSRC2:SCRATCH_EN: 0
; COMPUTE_PGM_RSRC2:USER_SGPR: 6
; COMPUTE_PGM_RSRC2:TRAP_HANDLER: 0
; COMPUTE_PGM_RSRC2:TGID_X_EN: 1
; COMPUTE_PGM_RSRC2:TGID_Y_EN: 0
; COMPUTE_PGM_RSRC2:TGID_Z_EN: 0
; COMPUTE_PGM_RSRC2:TIDIG_COMP_CNT: 0
; COMPUTE_PGM_RSRC3_GFX90A:ACCUM_OFFSET: 4
; COMPUTE_PGM_RSRC3_GFX90A:TG_SPLIT: 0
	.section	.text._ZN9rocsparseL21csrmvn_general_kernelILj256ELj16Ell18rocsparse_bfloat16S1_ffEEvbT2_NS_24const_host_device_scalarIT6_EEPKT1_S8_PKS2_PKT3_PKT4_S5_PT5_21rocsparse_index_base_b,"axG",@progbits,_ZN9rocsparseL21csrmvn_general_kernelILj256ELj16Ell18rocsparse_bfloat16S1_ffEEvbT2_NS_24const_host_device_scalarIT6_EEPKT1_S8_PKS2_PKT3_PKT4_S5_PT5_21rocsparse_index_base_b,comdat
	.globl	_ZN9rocsparseL21csrmvn_general_kernelILj256ELj16Ell18rocsparse_bfloat16S1_ffEEvbT2_NS_24const_host_device_scalarIT6_EEPKT1_S8_PKS2_PKT3_PKT4_S5_PT5_21rocsparse_index_base_b ; -- Begin function _ZN9rocsparseL21csrmvn_general_kernelILj256ELj16Ell18rocsparse_bfloat16S1_ffEEvbT2_NS_24const_host_device_scalarIT6_EEPKT1_S8_PKS2_PKT3_PKT4_S5_PT5_21rocsparse_index_base_b
	.p2align	8
	.type	_ZN9rocsparseL21csrmvn_general_kernelILj256ELj16Ell18rocsparse_bfloat16S1_ffEEvbT2_NS_24const_host_device_scalarIT6_EEPKT1_S8_PKS2_PKT3_PKT4_S5_PT5_21rocsparse_index_base_b,@function
_ZN9rocsparseL21csrmvn_general_kernelILj256ELj16Ell18rocsparse_bfloat16S1_ffEEvbT2_NS_24const_host_device_scalarIT6_EEPKT1_S8_PKS2_PKT3_PKT4_S5_PT5_21rocsparse_index_base_b: ; @_ZN9rocsparseL21csrmvn_general_kernelILj256ELj16Ell18rocsparse_bfloat16S1_ffEEvbT2_NS_24const_host_device_scalarIT6_EEPKT1_S8_PKS2_PKT3_PKT4_S5_PT5_21rocsparse_index_base_b
; %bb.0:
	s_load_dwordx2 s[20:21], s[4:5], 0x50
	s_load_dwordx2 s[22:23], s[4:5], 0x40
	s_load_dwordx8 s[8:15], s[4:5], 0x8
	s_waitcnt lgkmcnt(0)
	s_bitcmp1_b32 s21, 0
	s_cselect_b64 s[2:3], -1, 0
	s_xor_b64 s[0:1], s[2:3], -1
	s_and_b64 vcc, exec, s[2:3]
	s_cbranch_vccnz .LBB256_2
; %bb.1:
	s_load_dword s10, s[10:11], 0x0
.LBB256_2:
	s_andn2_b64 vcc, exec, s[0:1]
	s_cbranch_vccnz .LBB256_4
; %bb.3:
	s_load_dword s22, s[22:23], 0x0
.LBB256_4:
	s_waitcnt lgkmcnt(0)
	v_cmp_neq_f32_e64 s[0:1], s10, 0
	v_cmp_neq_f32_e64 s[2:3], s22, 1.0
	s_or_b64 s[0:1], s[0:1], s[2:3]
	s_andn2_b64 vcc, exec, s[0:1]
	s_cbranch_vccnz .LBB256_16
; %bb.5:
	v_lshl_or_b32 v1, s6, 8, v0
	v_lshrrev_b32_e32 v2, 4, v1
	v_mov_b32_e32 v3, 0
	v_cmp_gt_i64_e32 vcc, s[8:9], v[2:3]
	s_and_saveexec_b64 s[0:1], vcc
	s_cbranch_execz .LBB256_16
; %bb.6:
	s_load_dword s2, s[4:5], 0x58
	s_load_dwordx2 s[6:7], s[4:5], 0x48
	s_load_dwordx4 s[16:19], s[4:5], 0x28
	s_load_dwordx2 s[0:1], s[4:5], 0x38
	v_and_b32_e32 v0, 15, v0
	v_subrev_co_u32_e32 v10, vcc, s20, v0
	s_waitcnt lgkmcnt(0)
	s_lshl_b32 s21, s2, 4
	v_subb_co_u32_e64 v11, s[2:3], 0, 0, vcc
	s_ashr_i32 s3, s20, 31
	s_mov_b32 s2, s20
	s_lshl_b64 s[2:3], s[2:3], 1
	s_sub_u32 s23, s0, s2
	s_subb_u32 s2, s1, s3
	v_mov_b32_e32 v15, s2
	v_cmp_neq_f32_e64 s[2:3], s22, 0
	s_mov_b32 s11, 0
	v_cmp_eq_u32_e64 s[0:1], 15, v0
	v_cndmask_b32_e64 v0, 0, 1, s[2:3]
	s_mov_b64 s[24:25], 0
	v_mov_b32_e32 v12, s13
	v_mov_b32_e32 v13, s15
	;; [unrolled: 1-line block ×3, first 2 shown]
	v_cmp_ne_u32_e64 s[2:3], 1, v0
	s_branch .LBB256_9
.LBB256_7:                              ;   in Loop: Header=BB256_9 Depth=1
	global_store_dword v[0:1], v4, off
.LBB256_8:                              ;   in Loop: Header=BB256_9 Depth=1
	s_or_b64 exec, exec, s[26:27]
	v_mov_b32_e32 v0, s11
	v_add_co_u32_e32 v2, vcc, s21, v2
	v_addc_co_u32_e32 v3, vcc, v3, v0, vcc
	v_cmp_le_i64_e32 vcc, s[8:9], v[2:3]
	s_or_b64 s[24:25], vcc, s[24:25]
	s_andn2_b64 exec, exec, s[24:25]
	s_cbranch_execz .LBB256_16
.LBB256_9:                              ; =>This Loop Header: Depth=1
                                        ;     Child Loop BB256_11 Depth 2
	v_lshlrev_b64 v[0:1], 3, v[2:3]
	v_add_co_u32_e32 v4, vcc, s14, v0
	v_addc_co_u32_e32 v5, vcc, v13, v1, vcc
	global_load_dwordx2 v[4:5], v[4:5], off
	v_add_co_u32_e32 v0, vcc, s12, v0
	v_addc_co_u32_e32 v1, vcc, v12, v1, vcc
	global_load_dwordx2 v[6:7], v[0:1], off
	v_mov_b32_e32 v16, 0
	s_waitcnt vmcnt(1)
	v_subrev_co_u32_e32 v0, vcc, s20, v4
	v_subb_co_u32_e32 v1, vcc, v5, v14, vcc
	s_waitcnt vmcnt(0)
	v_add_co_u32_e32 v4, vcc, v6, v10
	v_addc_co_u32_e32 v5, vcc, v7, v11, vcc
	v_cmp_lt_i64_e32 vcc, v[4:5], v[0:1]
	s_and_saveexec_b64 s[4:5], vcc
	s_cbranch_execz .LBB256_13
; %bb.10:                               ;   in Loop: Header=BB256_9 Depth=1
	v_lshlrev_b64 v[6:7], 1, v[4:5]
	v_mov_b32_e32 v8, s19
	v_add_co_u32_e32 v6, vcc, s18, v6
	v_addc_co_u32_e32 v7, vcc, v8, v7, vcc
	v_lshlrev_b64 v[8:9], 3, v[4:5]
	v_mov_b32_e32 v16, s17
	v_add_co_u32_e32 v8, vcc, s16, v8
	v_addc_co_u32_e32 v9, vcc, v16, v9, vcc
	s_mov_b64 s[26:27], 0
	v_mov_b32_e32 v16, 0
.LBB256_11:                             ;   Parent Loop BB256_9 Depth=1
                                        ; =>  This Inner Loop Header: Depth=2
	global_load_dwordx2 v[18:19], v[8:9], off
	global_load_ushort v17, v[6:7], off
	s_waitcnt vmcnt(1)
	v_lshlrev_b64 v[18:19], 1, v[18:19]
	v_add_co_u32_e32 v18, vcc, s23, v18
	v_addc_co_u32_e32 v19, vcc, v15, v19, vcc
	global_load_ushort v18, v[18:19], off
	v_add_co_u32_e32 v4, vcc, 16, v4
	v_addc_co_u32_e32 v5, vcc, 0, v5, vcc
	v_add_co_u32_e32 v6, vcc, 32, v6
	v_addc_co_u32_e32 v7, vcc, 0, v7, vcc
	;; [unrolled: 2-line block ×3, first 2 shown]
	s_waitcnt vmcnt(1)
	v_lshlrev_b32_e32 v17, 16, v17
	v_cmp_ge_i64_e32 vcc, v[4:5], v[0:1]
	v_mul_f32_e32 v17, s10, v17
	s_or_b64 s[26:27], vcc, s[26:27]
	s_waitcnt vmcnt(0)
	v_lshlrev_b32_e32 v18, 16, v18
	v_fmac_f32_e32 v16, v17, v18
	s_andn2_b64 exec, exec, s[26:27]
	s_cbranch_execnz .LBB256_11
; %bb.12:                               ;   in Loop: Header=BB256_9 Depth=1
	s_or_b64 exec, exec, s[26:27]
.LBB256_13:                             ;   in Loop: Header=BB256_9 Depth=1
	s_or_b64 exec, exec, s[4:5]
	v_mov_b32_dpp v0, v16 row_shr:1 row_mask:0xf bank_mask:0xf
	v_add_f32_e32 v0, v16, v0
	s_nop 1
	v_mov_b32_dpp v1, v0 row_shr:2 row_mask:0xf bank_mask:0xf
	v_add_f32_e32 v0, v0, v1
	s_nop 1
	;; [unrolled: 3-line block ×3, first 2 shown]
	v_mov_b32_dpp v1, v0 row_shr:8 row_mask:0xf bank_mask:0xc
	s_and_saveexec_b64 s[26:27], s[0:1]
	s_cbranch_execz .LBB256_8
; %bb.14:                               ;   in Loop: Header=BB256_9 Depth=1
	v_add_f32_e32 v4, v0, v1
	v_lshlrev_b64 v[0:1], 2, v[2:3]
	v_mov_b32_e32 v5, s7
	v_add_co_u32_e64 v0, s[4:5], s6, v0
	s_and_b64 vcc, exec, s[2:3]
	v_addc_co_u32_e64 v1, s[4:5], v5, v1, s[4:5]
	s_cbranch_vccnz .LBB256_7
; %bb.15:                               ;   in Loop: Header=BB256_9 Depth=1
	global_load_dword v5, v[0:1], off
	s_waitcnt vmcnt(0)
	v_fmac_f32_e32 v4, s22, v5
	s_branch .LBB256_7
.LBB256_16:
	s_endpgm
	.section	.rodata,"a",@progbits
	.p2align	6, 0x0
	.amdhsa_kernel _ZN9rocsparseL21csrmvn_general_kernelILj256ELj16Ell18rocsparse_bfloat16S1_ffEEvbT2_NS_24const_host_device_scalarIT6_EEPKT1_S8_PKS2_PKT3_PKT4_S5_PT5_21rocsparse_index_base_b
		.amdhsa_group_segment_fixed_size 0
		.amdhsa_private_segment_fixed_size 0
		.amdhsa_kernarg_size 344
		.amdhsa_user_sgpr_count 6
		.amdhsa_user_sgpr_private_segment_buffer 1
		.amdhsa_user_sgpr_dispatch_ptr 0
		.amdhsa_user_sgpr_queue_ptr 0
		.amdhsa_user_sgpr_kernarg_segment_ptr 1
		.amdhsa_user_sgpr_dispatch_id 0
		.amdhsa_user_sgpr_flat_scratch_init 0
		.amdhsa_user_sgpr_kernarg_preload_length 0
		.amdhsa_user_sgpr_kernarg_preload_offset 0
		.amdhsa_user_sgpr_private_segment_size 0
		.amdhsa_uses_dynamic_stack 0
		.amdhsa_system_sgpr_private_segment_wavefront_offset 0
		.amdhsa_system_sgpr_workgroup_id_x 1
		.amdhsa_system_sgpr_workgroup_id_y 0
		.amdhsa_system_sgpr_workgroup_id_z 0
		.amdhsa_system_sgpr_workgroup_info 0
		.amdhsa_system_vgpr_workitem_id 0
		.amdhsa_next_free_vgpr 20
		.amdhsa_next_free_sgpr 28
		.amdhsa_accum_offset 20
		.amdhsa_reserve_vcc 1
		.amdhsa_reserve_flat_scratch 0
		.amdhsa_float_round_mode_32 0
		.amdhsa_float_round_mode_16_64 0
		.amdhsa_float_denorm_mode_32 3
		.amdhsa_float_denorm_mode_16_64 3
		.amdhsa_dx10_clamp 1
		.amdhsa_ieee_mode 1
		.amdhsa_fp16_overflow 0
		.amdhsa_tg_split 0
		.amdhsa_exception_fp_ieee_invalid_op 0
		.amdhsa_exception_fp_denorm_src 0
		.amdhsa_exception_fp_ieee_div_zero 0
		.amdhsa_exception_fp_ieee_overflow 0
		.amdhsa_exception_fp_ieee_underflow 0
		.amdhsa_exception_fp_ieee_inexact 0
		.amdhsa_exception_int_div_zero 0
	.end_amdhsa_kernel
	.section	.text._ZN9rocsparseL21csrmvn_general_kernelILj256ELj16Ell18rocsparse_bfloat16S1_ffEEvbT2_NS_24const_host_device_scalarIT6_EEPKT1_S8_PKS2_PKT3_PKT4_S5_PT5_21rocsparse_index_base_b,"axG",@progbits,_ZN9rocsparseL21csrmvn_general_kernelILj256ELj16Ell18rocsparse_bfloat16S1_ffEEvbT2_NS_24const_host_device_scalarIT6_EEPKT1_S8_PKS2_PKT3_PKT4_S5_PT5_21rocsparse_index_base_b,comdat
.Lfunc_end256:
	.size	_ZN9rocsparseL21csrmvn_general_kernelILj256ELj16Ell18rocsparse_bfloat16S1_ffEEvbT2_NS_24const_host_device_scalarIT6_EEPKT1_S8_PKS2_PKT3_PKT4_S5_PT5_21rocsparse_index_base_b, .Lfunc_end256-_ZN9rocsparseL21csrmvn_general_kernelILj256ELj16Ell18rocsparse_bfloat16S1_ffEEvbT2_NS_24const_host_device_scalarIT6_EEPKT1_S8_PKS2_PKT3_PKT4_S5_PT5_21rocsparse_index_base_b
                                        ; -- End function
	.section	.AMDGPU.csdata,"",@progbits
; Kernel info:
; codeLenInByte = 684
; NumSgprs: 32
; NumVgprs: 20
; NumAgprs: 0
; TotalNumVgprs: 20
; ScratchSize: 0
; MemoryBound: 0
; FloatMode: 240
; IeeeMode: 1
; LDSByteSize: 0 bytes/workgroup (compile time only)
; SGPRBlocks: 3
; VGPRBlocks: 2
; NumSGPRsForWavesPerEU: 32
; NumVGPRsForWavesPerEU: 20
; AccumOffset: 20
; Occupancy: 8
; WaveLimiterHint : 1
; COMPUTE_PGM_RSRC2:SCRATCH_EN: 0
; COMPUTE_PGM_RSRC2:USER_SGPR: 6
; COMPUTE_PGM_RSRC2:TRAP_HANDLER: 0
; COMPUTE_PGM_RSRC2:TGID_X_EN: 1
; COMPUTE_PGM_RSRC2:TGID_Y_EN: 0
; COMPUTE_PGM_RSRC2:TGID_Z_EN: 0
; COMPUTE_PGM_RSRC2:TIDIG_COMP_CNT: 0
; COMPUTE_PGM_RSRC3_GFX90A:ACCUM_OFFSET: 4
; COMPUTE_PGM_RSRC3_GFX90A:TG_SPLIT: 0
	.section	.text._ZN9rocsparseL21csrmvn_general_kernelILj256ELj32Ell18rocsparse_bfloat16S1_ffEEvbT2_NS_24const_host_device_scalarIT6_EEPKT1_S8_PKS2_PKT3_PKT4_S5_PT5_21rocsparse_index_base_b,"axG",@progbits,_ZN9rocsparseL21csrmvn_general_kernelILj256ELj32Ell18rocsparse_bfloat16S1_ffEEvbT2_NS_24const_host_device_scalarIT6_EEPKT1_S8_PKS2_PKT3_PKT4_S5_PT5_21rocsparse_index_base_b,comdat
	.globl	_ZN9rocsparseL21csrmvn_general_kernelILj256ELj32Ell18rocsparse_bfloat16S1_ffEEvbT2_NS_24const_host_device_scalarIT6_EEPKT1_S8_PKS2_PKT3_PKT4_S5_PT5_21rocsparse_index_base_b ; -- Begin function _ZN9rocsparseL21csrmvn_general_kernelILj256ELj32Ell18rocsparse_bfloat16S1_ffEEvbT2_NS_24const_host_device_scalarIT6_EEPKT1_S8_PKS2_PKT3_PKT4_S5_PT5_21rocsparse_index_base_b
	.p2align	8
	.type	_ZN9rocsparseL21csrmvn_general_kernelILj256ELj32Ell18rocsparse_bfloat16S1_ffEEvbT2_NS_24const_host_device_scalarIT6_EEPKT1_S8_PKS2_PKT3_PKT4_S5_PT5_21rocsparse_index_base_b,@function
_ZN9rocsparseL21csrmvn_general_kernelILj256ELj32Ell18rocsparse_bfloat16S1_ffEEvbT2_NS_24const_host_device_scalarIT6_EEPKT1_S8_PKS2_PKT3_PKT4_S5_PT5_21rocsparse_index_base_b: ; @_ZN9rocsparseL21csrmvn_general_kernelILj256ELj32Ell18rocsparse_bfloat16S1_ffEEvbT2_NS_24const_host_device_scalarIT6_EEPKT1_S8_PKS2_PKT3_PKT4_S5_PT5_21rocsparse_index_base_b
; %bb.0:
	s_load_dwordx2 s[20:21], s[4:5], 0x50
	s_load_dwordx2 s[22:23], s[4:5], 0x40
	s_load_dwordx8 s[8:15], s[4:5], 0x8
	s_waitcnt lgkmcnt(0)
	s_bitcmp1_b32 s21, 0
	s_cselect_b64 s[2:3], -1, 0
	s_xor_b64 s[0:1], s[2:3], -1
	s_and_b64 vcc, exec, s[2:3]
	s_cbranch_vccnz .LBB257_2
; %bb.1:
	s_load_dword s10, s[10:11], 0x0
.LBB257_2:
	s_andn2_b64 vcc, exec, s[0:1]
	s_cbranch_vccnz .LBB257_4
; %bb.3:
	s_load_dword s22, s[22:23], 0x0
.LBB257_4:
	s_waitcnt lgkmcnt(0)
	v_cmp_neq_f32_e64 s[0:1], s10, 0
	v_cmp_neq_f32_e64 s[2:3], s22, 1.0
	s_or_b64 s[0:1], s[0:1], s[2:3]
	s_andn2_b64 vcc, exec, s[0:1]
	s_cbranch_vccnz .LBB257_16
; %bb.5:
	v_lshl_or_b32 v1, s6, 8, v0
	v_lshrrev_b32_e32 v2, 5, v1
	v_mov_b32_e32 v3, 0
	v_cmp_gt_i64_e32 vcc, s[8:9], v[2:3]
	s_and_saveexec_b64 s[0:1], vcc
	s_cbranch_execz .LBB257_16
; %bb.6:
	s_load_dword s2, s[4:5], 0x58
	s_load_dwordx2 s[6:7], s[4:5], 0x48
	s_load_dwordx4 s[16:19], s[4:5], 0x28
	s_load_dwordx2 s[0:1], s[4:5], 0x38
	v_and_b32_e32 v0, 31, v0
	v_subrev_co_u32_e32 v10, vcc, s20, v0
	s_waitcnt lgkmcnt(0)
	s_lshl_b32 s21, s2, 3
	v_subb_co_u32_e64 v11, s[2:3], 0, 0, vcc
	s_ashr_i32 s3, s20, 31
	s_mov_b32 s2, s20
	s_lshl_b64 s[2:3], s[2:3], 1
	s_sub_u32 s23, s0, s2
	s_subb_u32 s2, s1, s3
	v_mov_b32_e32 v15, s2
	v_cmp_neq_f32_e64 s[2:3], s22, 0
	s_mov_b32 s11, 0
	v_cmp_eq_u32_e64 s[0:1], 31, v0
	v_cndmask_b32_e64 v0, 0, 1, s[2:3]
	s_mov_b64 s[24:25], 0
	v_mov_b32_e32 v12, s13
	v_mov_b32_e32 v13, s15
	;; [unrolled: 1-line block ×3, first 2 shown]
	v_cmp_ne_u32_e64 s[2:3], 1, v0
	s_branch .LBB257_9
.LBB257_7:                              ;   in Loop: Header=BB257_9 Depth=1
	global_store_dword v[0:1], v4, off
.LBB257_8:                              ;   in Loop: Header=BB257_9 Depth=1
	s_or_b64 exec, exec, s[26:27]
	v_mov_b32_e32 v0, s11
	v_add_co_u32_e32 v2, vcc, s21, v2
	v_addc_co_u32_e32 v3, vcc, v3, v0, vcc
	v_cmp_le_i64_e32 vcc, s[8:9], v[2:3]
	s_or_b64 s[24:25], vcc, s[24:25]
	s_andn2_b64 exec, exec, s[24:25]
	s_cbranch_execz .LBB257_16
.LBB257_9:                              ; =>This Loop Header: Depth=1
                                        ;     Child Loop BB257_11 Depth 2
	v_lshlrev_b64 v[0:1], 3, v[2:3]
	v_add_co_u32_e32 v4, vcc, s14, v0
	v_addc_co_u32_e32 v5, vcc, v13, v1, vcc
	global_load_dwordx2 v[4:5], v[4:5], off
	v_add_co_u32_e32 v0, vcc, s12, v0
	v_addc_co_u32_e32 v1, vcc, v12, v1, vcc
	global_load_dwordx2 v[6:7], v[0:1], off
	v_mov_b32_e32 v16, 0
	s_waitcnt vmcnt(1)
	v_subrev_co_u32_e32 v0, vcc, s20, v4
	v_subb_co_u32_e32 v1, vcc, v5, v14, vcc
	s_waitcnt vmcnt(0)
	v_add_co_u32_e32 v4, vcc, v6, v10
	v_addc_co_u32_e32 v5, vcc, v7, v11, vcc
	v_cmp_lt_i64_e32 vcc, v[4:5], v[0:1]
	s_and_saveexec_b64 s[4:5], vcc
	s_cbranch_execz .LBB257_13
; %bb.10:                               ;   in Loop: Header=BB257_9 Depth=1
	v_lshlrev_b64 v[6:7], 1, v[4:5]
	v_mov_b32_e32 v8, s19
	v_add_co_u32_e32 v6, vcc, s18, v6
	v_addc_co_u32_e32 v7, vcc, v8, v7, vcc
	v_lshlrev_b64 v[8:9], 3, v[4:5]
	v_mov_b32_e32 v16, s17
	v_add_co_u32_e32 v8, vcc, s16, v8
	v_addc_co_u32_e32 v9, vcc, v16, v9, vcc
	s_mov_b64 s[26:27], 0
	v_mov_b32_e32 v16, 0
.LBB257_11:                             ;   Parent Loop BB257_9 Depth=1
                                        ; =>  This Inner Loop Header: Depth=2
	global_load_dwordx2 v[18:19], v[8:9], off
	global_load_ushort v17, v[6:7], off
	s_waitcnt vmcnt(1)
	v_lshlrev_b64 v[18:19], 1, v[18:19]
	v_add_co_u32_e32 v18, vcc, s23, v18
	v_addc_co_u32_e32 v19, vcc, v15, v19, vcc
	global_load_ushort v18, v[18:19], off
	v_add_co_u32_e32 v4, vcc, 32, v4
	v_addc_co_u32_e32 v5, vcc, 0, v5, vcc
	v_add_co_u32_e32 v6, vcc, 64, v6
	v_addc_co_u32_e32 v7, vcc, 0, v7, vcc
	;; [unrolled: 2-line block ×3, first 2 shown]
	s_waitcnt vmcnt(1)
	v_lshlrev_b32_e32 v17, 16, v17
	v_cmp_ge_i64_e32 vcc, v[4:5], v[0:1]
	v_mul_f32_e32 v17, s10, v17
	s_or_b64 s[26:27], vcc, s[26:27]
	s_waitcnt vmcnt(0)
	v_lshlrev_b32_e32 v18, 16, v18
	v_fmac_f32_e32 v16, v17, v18
	s_andn2_b64 exec, exec, s[26:27]
	s_cbranch_execnz .LBB257_11
; %bb.12:                               ;   in Loop: Header=BB257_9 Depth=1
	s_or_b64 exec, exec, s[26:27]
.LBB257_13:                             ;   in Loop: Header=BB257_9 Depth=1
	s_or_b64 exec, exec, s[4:5]
	v_mov_b32_dpp v0, v16 row_shr:1 row_mask:0xf bank_mask:0xf
	v_add_f32_e32 v0, v16, v0
	s_nop 1
	v_mov_b32_dpp v1, v0 row_shr:2 row_mask:0xf bank_mask:0xf
	v_add_f32_e32 v0, v0, v1
	s_nop 1
	v_mov_b32_dpp v1, v0 row_shr:4 row_mask:0xf bank_mask:0xe
	v_add_f32_e32 v0, v0, v1
	s_nop 1
	v_mov_b32_dpp v1, v0 row_shr:8 row_mask:0xf bank_mask:0xc
	v_add_f32_e32 v0, v0, v1
	s_nop 1
	v_mov_b32_dpp v1, v0 row_bcast:15 row_mask:0xa bank_mask:0xf
	s_and_saveexec_b64 s[26:27], s[0:1]
	s_cbranch_execz .LBB257_8
; %bb.14:                               ;   in Loop: Header=BB257_9 Depth=1
	v_add_f32_e32 v4, v0, v1
	v_lshlrev_b64 v[0:1], 2, v[2:3]
	v_mov_b32_e32 v5, s7
	v_add_co_u32_e64 v0, s[4:5], s6, v0
	s_and_b64 vcc, exec, s[2:3]
	v_addc_co_u32_e64 v1, s[4:5], v5, v1, s[4:5]
	s_cbranch_vccnz .LBB257_7
; %bb.15:                               ;   in Loop: Header=BB257_9 Depth=1
	global_load_dword v5, v[0:1], off
	s_waitcnt vmcnt(0)
	v_fmac_f32_e32 v4, s22, v5
	s_branch .LBB257_7
.LBB257_16:
	s_endpgm
	.section	.rodata,"a",@progbits
	.p2align	6, 0x0
	.amdhsa_kernel _ZN9rocsparseL21csrmvn_general_kernelILj256ELj32Ell18rocsparse_bfloat16S1_ffEEvbT2_NS_24const_host_device_scalarIT6_EEPKT1_S8_PKS2_PKT3_PKT4_S5_PT5_21rocsparse_index_base_b
		.amdhsa_group_segment_fixed_size 0
		.amdhsa_private_segment_fixed_size 0
		.amdhsa_kernarg_size 344
		.amdhsa_user_sgpr_count 6
		.amdhsa_user_sgpr_private_segment_buffer 1
		.amdhsa_user_sgpr_dispatch_ptr 0
		.amdhsa_user_sgpr_queue_ptr 0
		.amdhsa_user_sgpr_kernarg_segment_ptr 1
		.amdhsa_user_sgpr_dispatch_id 0
		.amdhsa_user_sgpr_flat_scratch_init 0
		.amdhsa_user_sgpr_kernarg_preload_length 0
		.amdhsa_user_sgpr_kernarg_preload_offset 0
		.amdhsa_user_sgpr_private_segment_size 0
		.amdhsa_uses_dynamic_stack 0
		.amdhsa_system_sgpr_private_segment_wavefront_offset 0
		.amdhsa_system_sgpr_workgroup_id_x 1
		.amdhsa_system_sgpr_workgroup_id_y 0
		.amdhsa_system_sgpr_workgroup_id_z 0
		.amdhsa_system_sgpr_workgroup_info 0
		.amdhsa_system_vgpr_workitem_id 0
		.amdhsa_next_free_vgpr 20
		.amdhsa_next_free_sgpr 28
		.amdhsa_accum_offset 20
		.amdhsa_reserve_vcc 1
		.amdhsa_reserve_flat_scratch 0
		.amdhsa_float_round_mode_32 0
		.amdhsa_float_round_mode_16_64 0
		.amdhsa_float_denorm_mode_32 3
		.amdhsa_float_denorm_mode_16_64 3
		.amdhsa_dx10_clamp 1
		.amdhsa_ieee_mode 1
		.amdhsa_fp16_overflow 0
		.amdhsa_tg_split 0
		.amdhsa_exception_fp_ieee_invalid_op 0
		.amdhsa_exception_fp_denorm_src 0
		.amdhsa_exception_fp_ieee_div_zero 0
		.amdhsa_exception_fp_ieee_overflow 0
		.amdhsa_exception_fp_ieee_underflow 0
		.amdhsa_exception_fp_ieee_inexact 0
		.amdhsa_exception_int_div_zero 0
	.end_amdhsa_kernel
	.section	.text._ZN9rocsparseL21csrmvn_general_kernelILj256ELj32Ell18rocsparse_bfloat16S1_ffEEvbT2_NS_24const_host_device_scalarIT6_EEPKT1_S8_PKS2_PKT3_PKT4_S5_PT5_21rocsparse_index_base_b,"axG",@progbits,_ZN9rocsparseL21csrmvn_general_kernelILj256ELj32Ell18rocsparse_bfloat16S1_ffEEvbT2_NS_24const_host_device_scalarIT6_EEPKT1_S8_PKS2_PKT3_PKT4_S5_PT5_21rocsparse_index_base_b,comdat
.Lfunc_end257:
	.size	_ZN9rocsparseL21csrmvn_general_kernelILj256ELj32Ell18rocsparse_bfloat16S1_ffEEvbT2_NS_24const_host_device_scalarIT6_EEPKT1_S8_PKS2_PKT3_PKT4_S5_PT5_21rocsparse_index_base_b, .Lfunc_end257-_ZN9rocsparseL21csrmvn_general_kernelILj256ELj32Ell18rocsparse_bfloat16S1_ffEEvbT2_NS_24const_host_device_scalarIT6_EEPKT1_S8_PKS2_PKT3_PKT4_S5_PT5_21rocsparse_index_base_b
                                        ; -- End function
	.section	.AMDGPU.csdata,"",@progbits
; Kernel info:
; codeLenInByte = 700
; NumSgprs: 32
; NumVgprs: 20
; NumAgprs: 0
; TotalNumVgprs: 20
; ScratchSize: 0
; MemoryBound: 0
; FloatMode: 240
; IeeeMode: 1
; LDSByteSize: 0 bytes/workgroup (compile time only)
; SGPRBlocks: 3
; VGPRBlocks: 2
; NumSGPRsForWavesPerEU: 32
; NumVGPRsForWavesPerEU: 20
; AccumOffset: 20
; Occupancy: 8
; WaveLimiterHint : 1
; COMPUTE_PGM_RSRC2:SCRATCH_EN: 0
; COMPUTE_PGM_RSRC2:USER_SGPR: 6
; COMPUTE_PGM_RSRC2:TRAP_HANDLER: 0
; COMPUTE_PGM_RSRC2:TGID_X_EN: 1
; COMPUTE_PGM_RSRC2:TGID_Y_EN: 0
; COMPUTE_PGM_RSRC2:TGID_Z_EN: 0
; COMPUTE_PGM_RSRC2:TIDIG_COMP_CNT: 0
; COMPUTE_PGM_RSRC3_GFX90A:ACCUM_OFFSET: 4
; COMPUTE_PGM_RSRC3_GFX90A:TG_SPLIT: 0
	.section	.text._ZN9rocsparseL21csrmvn_general_kernelILj256ELj64Ell18rocsparse_bfloat16S1_ffEEvbT2_NS_24const_host_device_scalarIT6_EEPKT1_S8_PKS2_PKT3_PKT4_S5_PT5_21rocsparse_index_base_b,"axG",@progbits,_ZN9rocsparseL21csrmvn_general_kernelILj256ELj64Ell18rocsparse_bfloat16S1_ffEEvbT2_NS_24const_host_device_scalarIT6_EEPKT1_S8_PKS2_PKT3_PKT4_S5_PT5_21rocsparse_index_base_b,comdat
	.globl	_ZN9rocsparseL21csrmvn_general_kernelILj256ELj64Ell18rocsparse_bfloat16S1_ffEEvbT2_NS_24const_host_device_scalarIT6_EEPKT1_S8_PKS2_PKT3_PKT4_S5_PT5_21rocsparse_index_base_b ; -- Begin function _ZN9rocsparseL21csrmvn_general_kernelILj256ELj64Ell18rocsparse_bfloat16S1_ffEEvbT2_NS_24const_host_device_scalarIT6_EEPKT1_S8_PKS2_PKT3_PKT4_S5_PT5_21rocsparse_index_base_b
	.p2align	8
	.type	_ZN9rocsparseL21csrmvn_general_kernelILj256ELj64Ell18rocsparse_bfloat16S1_ffEEvbT2_NS_24const_host_device_scalarIT6_EEPKT1_S8_PKS2_PKT3_PKT4_S5_PT5_21rocsparse_index_base_b,@function
_ZN9rocsparseL21csrmvn_general_kernelILj256ELj64Ell18rocsparse_bfloat16S1_ffEEvbT2_NS_24const_host_device_scalarIT6_EEPKT1_S8_PKS2_PKT3_PKT4_S5_PT5_21rocsparse_index_base_b: ; @_ZN9rocsparseL21csrmvn_general_kernelILj256ELj64Ell18rocsparse_bfloat16S1_ffEEvbT2_NS_24const_host_device_scalarIT6_EEPKT1_S8_PKS2_PKT3_PKT4_S5_PT5_21rocsparse_index_base_b
; %bb.0:
	s_load_dwordx2 s[20:21], s[4:5], 0x50
	s_load_dwordx2 s[22:23], s[4:5], 0x40
	s_load_dwordx8 s[8:15], s[4:5], 0x8
	s_waitcnt lgkmcnt(0)
	s_bitcmp1_b32 s21, 0
	s_cselect_b64 s[2:3], -1, 0
	s_xor_b64 s[0:1], s[2:3], -1
	s_and_b64 vcc, exec, s[2:3]
	s_cbranch_vccnz .LBB258_2
; %bb.1:
	s_load_dword s10, s[10:11], 0x0
.LBB258_2:
	s_andn2_b64 vcc, exec, s[0:1]
	s_cbranch_vccnz .LBB258_4
; %bb.3:
	s_load_dword s22, s[22:23], 0x0
.LBB258_4:
	s_waitcnt lgkmcnt(0)
	v_cmp_neq_f32_e64 s[0:1], s10, 0
	v_cmp_neq_f32_e64 s[2:3], s22, 1.0
	s_or_b64 s[0:1], s[0:1], s[2:3]
	s_andn2_b64 vcc, exec, s[0:1]
	s_cbranch_vccnz .LBB258_16
; %bb.5:
	v_lshl_or_b32 v1, s6, 8, v0
	v_lshrrev_b32_e32 v2, 6, v1
	v_mov_b32_e32 v3, 0
	v_cmp_gt_i64_e32 vcc, s[8:9], v[2:3]
	s_and_saveexec_b64 s[0:1], vcc
	s_cbranch_execz .LBB258_16
; %bb.6:
	s_load_dword s2, s[4:5], 0x58
	s_load_dwordx2 s[6:7], s[4:5], 0x48
	s_load_dwordx4 s[16:19], s[4:5], 0x28
	s_load_dwordx2 s[0:1], s[4:5], 0x38
	v_and_b32_e32 v0, 63, v0
	v_subrev_co_u32_e32 v10, vcc, s20, v0
	s_waitcnt lgkmcnt(0)
	s_lshl_b32 s21, s2, 2
	v_subb_co_u32_e64 v11, s[2:3], 0, 0, vcc
	s_ashr_i32 s3, s20, 31
	s_mov_b32 s2, s20
	s_lshl_b64 s[2:3], s[2:3], 1
	s_sub_u32 s23, s0, s2
	s_subb_u32 s2, s1, s3
	v_mov_b32_e32 v15, s2
	v_cmp_neq_f32_e64 s[2:3], s22, 0
	s_mov_b32 s11, 0
	v_cmp_eq_u32_e64 s[0:1], 63, v0
	v_cndmask_b32_e64 v0, 0, 1, s[2:3]
	s_mov_b64 s[24:25], 0
	v_mov_b32_e32 v12, s13
	v_mov_b32_e32 v13, s15
	v_mov_b32_e32 v14, s11
	v_cmp_ne_u32_e64 s[2:3], 1, v0
	s_branch .LBB258_9
.LBB258_7:                              ;   in Loop: Header=BB258_9 Depth=1
	global_store_dword v[0:1], v4, off
.LBB258_8:                              ;   in Loop: Header=BB258_9 Depth=1
	s_or_b64 exec, exec, s[26:27]
	v_mov_b32_e32 v0, s11
	v_add_co_u32_e32 v2, vcc, s21, v2
	v_addc_co_u32_e32 v3, vcc, v3, v0, vcc
	v_cmp_le_i64_e32 vcc, s[8:9], v[2:3]
	s_or_b64 s[24:25], vcc, s[24:25]
	s_andn2_b64 exec, exec, s[24:25]
	s_cbranch_execz .LBB258_16
.LBB258_9:                              ; =>This Loop Header: Depth=1
                                        ;     Child Loop BB258_11 Depth 2
	v_lshlrev_b64 v[0:1], 3, v[2:3]
	v_add_co_u32_e32 v4, vcc, s14, v0
	v_addc_co_u32_e32 v5, vcc, v13, v1, vcc
	global_load_dwordx2 v[4:5], v[4:5], off
	v_add_co_u32_e32 v0, vcc, s12, v0
	v_addc_co_u32_e32 v1, vcc, v12, v1, vcc
	global_load_dwordx2 v[6:7], v[0:1], off
	v_mov_b32_e32 v16, 0
	s_waitcnt vmcnt(1)
	v_subrev_co_u32_e32 v0, vcc, s20, v4
	v_subb_co_u32_e32 v1, vcc, v5, v14, vcc
	s_waitcnt vmcnt(0)
	v_add_co_u32_e32 v4, vcc, v6, v10
	v_addc_co_u32_e32 v5, vcc, v7, v11, vcc
	v_cmp_lt_i64_e32 vcc, v[4:5], v[0:1]
	s_and_saveexec_b64 s[26:27], vcc
	s_cbranch_execz .LBB258_13
; %bb.10:                               ;   in Loop: Header=BB258_9 Depth=1
	v_lshlrev_b64 v[6:7], 1, v[4:5]
	v_mov_b32_e32 v8, s19
	v_add_co_u32_e32 v6, vcc, s18, v6
	v_addc_co_u32_e32 v7, vcc, v8, v7, vcc
	v_lshlrev_b64 v[8:9], 3, v[4:5]
	v_mov_b32_e32 v16, s17
	v_add_co_u32_e32 v8, vcc, s16, v8
	v_addc_co_u32_e32 v9, vcc, v16, v9, vcc
	s_mov_b64 s[28:29], 0
	v_mov_b32_e32 v16, 0
.LBB258_11:                             ;   Parent Loop BB258_9 Depth=1
                                        ; =>  This Inner Loop Header: Depth=2
	global_load_dwordx2 v[18:19], v[8:9], off
	global_load_ushort v17, v[6:7], off
	s_waitcnt vmcnt(1)
	v_lshlrev_b64 v[18:19], 1, v[18:19]
	v_add_co_u32_e32 v18, vcc, s23, v18
	v_addc_co_u32_e32 v19, vcc, v15, v19, vcc
	global_load_ushort v18, v[18:19], off
	v_add_co_u32_e32 v4, vcc, 64, v4
	v_addc_co_u32_e32 v5, vcc, 0, v5, vcc
	v_add_co_u32_e32 v6, vcc, 0x80, v6
	v_addc_co_u32_e32 v7, vcc, 0, v7, vcc
	s_waitcnt vmcnt(1)
	v_lshlrev_b32_e32 v17, 16, v17
	v_add_co_u32_e32 v8, vcc, 0x200, v8
	v_cmp_ge_i64_e64 s[4:5], v[4:5], v[0:1]
	v_mul_f32_e32 v17, s10, v17
	v_addc_co_u32_e32 v9, vcc, 0, v9, vcc
	s_or_b64 s[28:29], s[4:5], s[28:29]
	s_waitcnt vmcnt(0)
	v_lshlrev_b32_e32 v18, 16, v18
	v_fmac_f32_e32 v16, v17, v18
	s_andn2_b64 exec, exec, s[28:29]
	s_cbranch_execnz .LBB258_11
; %bb.12:                               ;   in Loop: Header=BB258_9 Depth=1
	s_or_b64 exec, exec, s[28:29]
.LBB258_13:                             ;   in Loop: Header=BB258_9 Depth=1
	s_or_b64 exec, exec, s[26:27]
	v_mov_b32_dpp v0, v16 row_shr:1 row_mask:0xf bank_mask:0xf
	v_add_f32_e32 v0, v16, v0
	s_nop 1
	v_mov_b32_dpp v1, v0 row_shr:2 row_mask:0xf bank_mask:0xf
	v_add_f32_e32 v0, v0, v1
	s_nop 1
	;; [unrolled: 3-line block ×4, first 2 shown]
	v_mov_b32_dpp v1, v0 row_bcast:15 row_mask:0xa bank_mask:0xf
	v_add_f32_e32 v0, v0, v1
	s_nop 1
	v_mov_b32_dpp v1, v0 row_bcast:31 row_mask:0xc bank_mask:0xf
	s_and_saveexec_b64 s[26:27], s[0:1]
	s_cbranch_execz .LBB258_8
; %bb.14:                               ;   in Loop: Header=BB258_9 Depth=1
	v_add_f32_e32 v4, v0, v1
	v_lshlrev_b64 v[0:1], 2, v[2:3]
	v_mov_b32_e32 v5, s7
	v_add_co_u32_e64 v0, s[4:5], s6, v0
	s_and_b64 vcc, exec, s[2:3]
	v_addc_co_u32_e64 v1, s[4:5], v5, v1, s[4:5]
	s_cbranch_vccnz .LBB258_7
; %bb.15:                               ;   in Loop: Header=BB258_9 Depth=1
	global_load_dword v5, v[0:1], off
	s_waitcnt vmcnt(0)
	v_fmac_f32_e32 v4, s22, v5
	s_branch .LBB258_7
.LBB258_16:
	s_endpgm
	.section	.rodata,"a",@progbits
	.p2align	6, 0x0
	.amdhsa_kernel _ZN9rocsparseL21csrmvn_general_kernelILj256ELj64Ell18rocsparse_bfloat16S1_ffEEvbT2_NS_24const_host_device_scalarIT6_EEPKT1_S8_PKS2_PKT3_PKT4_S5_PT5_21rocsparse_index_base_b
		.amdhsa_group_segment_fixed_size 0
		.amdhsa_private_segment_fixed_size 0
		.amdhsa_kernarg_size 344
		.amdhsa_user_sgpr_count 6
		.amdhsa_user_sgpr_private_segment_buffer 1
		.amdhsa_user_sgpr_dispatch_ptr 0
		.amdhsa_user_sgpr_queue_ptr 0
		.amdhsa_user_sgpr_kernarg_segment_ptr 1
		.amdhsa_user_sgpr_dispatch_id 0
		.amdhsa_user_sgpr_flat_scratch_init 0
		.amdhsa_user_sgpr_kernarg_preload_length 0
		.amdhsa_user_sgpr_kernarg_preload_offset 0
		.amdhsa_user_sgpr_private_segment_size 0
		.amdhsa_uses_dynamic_stack 0
		.amdhsa_system_sgpr_private_segment_wavefront_offset 0
		.amdhsa_system_sgpr_workgroup_id_x 1
		.amdhsa_system_sgpr_workgroup_id_y 0
		.amdhsa_system_sgpr_workgroup_id_z 0
		.amdhsa_system_sgpr_workgroup_info 0
		.amdhsa_system_vgpr_workitem_id 0
		.amdhsa_next_free_vgpr 20
		.amdhsa_next_free_sgpr 30
		.amdhsa_accum_offset 20
		.amdhsa_reserve_vcc 1
		.amdhsa_reserve_flat_scratch 0
		.amdhsa_float_round_mode_32 0
		.amdhsa_float_round_mode_16_64 0
		.amdhsa_float_denorm_mode_32 3
		.amdhsa_float_denorm_mode_16_64 3
		.amdhsa_dx10_clamp 1
		.amdhsa_ieee_mode 1
		.amdhsa_fp16_overflow 0
		.amdhsa_tg_split 0
		.amdhsa_exception_fp_ieee_invalid_op 0
		.amdhsa_exception_fp_denorm_src 0
		.amdhsa_exception_fp_ieee_div_zero 0
		.amdhsa_exception_fp_ieee_overflow 0
		.amdhsa_exception_fp_ieee_underflow 0
		.amdhsa_exception_fp_ieee_inexact 0
		.amdhsa_exception_int_div_zero 0
	.end_amdhsa_kernel
	.section	.text._ZN9rocsparseL21csrmvn_general_kernelILj256ELj64Ell18rocsparse_bfloat16S1_ffEEvbT2_NS_24const_host_device_scalarIT6_EEPKT1_S8_PKS2_PKT3_PKT4_S5_PT5_21rocsparse_index_base_b,"axG",@progbits,_ZN9rocsparseL21csrmvn_general_kernelILj256ELj64Ell18rocsparse_bfloat16S1_ffEEvbT2_NS_24const_host_device_scalarIT6_EEPKT1_S8_PKS2_PKT3_PKT4_S5_PT5_21rocsparse_index_base_b,comdat
.Lfunc_end258:
	.size	_ZN9rocsparseL21csrmvn_general_kernelILj256ELj64Ell18rocsparse_bfloat16S1_ffEEvbT2_NS_24const_host_device_scalarIT6_EEPKT1_S8_PKS2_PKT3_PKT4_S5_PT5_21rocsparse_index_base_b, .Lfunc_end258-_ZN9rocsparseL21csrmvn_general_kernelILj256ELj64Ell18rocsparse_bfloat16S1_ffEEvbT2_NS_24const_host_device_scalarIT6_EEPKT1_S8_PKS2_PKT3_PKT4_S5_PT5_21rocsparse_index_base_b
                                        ; -- End function
	.section	.AMDGPU.csdata,"",@progbits
; Kernel info:
; codeLenInByte = 724
; NumSgprs: 34
; NumVgprs: 20
; NumAgprs: 0
; TotalNumVgprs: 20
; ScratchSize: 0
; MemoryBound: 0
; FloatMode: 240
; IeeeMode: 1
; LDSByteSize: 0 bytes/workgroup (compile time only)
; SGPRBlocks: 4
; VGPRBlocks: 2
; NumSGPRsForWavesPerEU: 34
; NumVGPRsForWavesPerEU: 20
; AccumOffset: 20
; Occupancy: 8
; WaveLimiterHint : 1
; COMPUTE_PGM_RSRC2:SCRATCH_EN: 0
; COMPUTE_PGM_RSRC2:USER_SGPR: 6
; COMPUTE_PGM_RSRC2:TRAP_HANDLER: 0
; COMPUTE_PGM_RSRC2:TGID_X_EN: 1
; COMPUTE_PGM_RSRC2:TGID_Y_EN: 0
; COMPUTE_PGM_RSRC2:TGID_Z_EN: 0
; COMPUTE_PGM_RSRC2:TIDIG_COMP_CNT: 0
; COMPUTE_PGM_RSRC3_GFX90A:ACCUM_OFFSET: 4
; COMPUTE_PGM_RSRC3_GFX90A:TG_SPLIT: 0
	.section	.text._ZN9rocsparseL21csrmvt_general_kernelILj256ELj4Ell18rocsparse_bfloat16S1_ffEEvbbT2_NS_24const_host_device_scalarIT6_EEPKT1_S8_PKS2_PKT3_PKT4_PT5_21rocsparse_index_base_b,"axG",@progbits,_ZN9rocsparseL21csrmvt_general_kernelILj256ELj4Ell18rocsparse_bfloat16S1_ffEEvbbT2_NS_24const_host_device_scalarIT6_EEPKT1_S8_PKS2_PKT3_PKT4_PT5_21rocsparse_index_base_b,comdat
	.globl	_ZN9rocsparseL21csrmvt_general_kernelILj256ELj4Ell18rocsparse_bfloat16S1_ffEEvbbT2_NS_24const_host_device_scalarIT6_EEPKT1_S8_PKS2_PKT3_PKT4_PT5_21rocsparse_index_base_b ; -- Begin function _ZN9rocsparseL21csrmvt_general_kernelILj256ELj4Ell18rocsparse_bfloat16S1_ffEEvbbT2_NS_24const_host_device_scalarIT6_EEPKT1_S8_PKS2_PKT3_PKT4_PT5_21rocsparse_index_base_b
	.p2align	8
	.type	_ZN9rocsparseL21csrmvt_general_kernelILj256ELj4Ell18rocsparse_bfloat16S1_ffEEvbbT2_NS_24const_host_device_scalarIT6_EEPKT1_S8_PKS2_PKT3_PKT4_PT5_21rocsparse_index_base_b,@function
_ZN9rocsparseL21csrmvt_general_kernelILj256ELj4Ell18rocsparse_bfloat16S1_ffEEvbbT2_NS_24const_host_device_scalarIT6_EEPKT1_S8_PKS2_PKT3_PKT4_PT5_21rocsparse_index_base_b: ; @_ZN9rocsparseL21csrmvt_general_kernelILj256ELj4Ell18rocsparse_bfloat16S1_ffEEvbbT2_NS_24const_host_device_scalarIT6_EEPKT1_S8_PKS2_PKT3_PKT4_PT5_21rocsparse_index_base_b
; %bb.0:
	s_load_dwordx2 s[2:3], s[4:5], 0x48
	s_load_dwordx8 s[8:15], s[4:5], 0x8
	s_waitcnt lgkmcnt(0)
	s_bitcmp1_b32 s3, 0
	s_cselect_b64 s[0:1], -1, 0
	s_and_b64 vcc, exec, s[0:1]
	s_cbranch_vccnz .LBB259_2
; %bb.1:
	s_load_dword s10, s[10:11], 0x0
.LBB259_2:
	s_waitcnt lgkmcnt(0)
	v_cmp_eq_f32_e64 s[0:1], s10, 0
	s_and_b64 vcc, exec, s[0:1]
	s_cbranch_vccnz .LBB259_23
; %bb.3:
	s_load_dword s0, s[4:5], 0x0
	s_load_dword s1, s[4:5], 0x50
	s_load_dwordx8 s[16:23], s[4:5], 0x28
	v_and_b32_e32 v12, 3, v0
	v_lshl_or_b32 v0, s6, 8, v0
	s_waitcnt lgkmcnt(0)
	s_and_b32 s0, s0, 1
	s_lshl_b32 s3, s1, 6
	v_lshrrev_b32_e32 v0, 2, v0
	v_mov_b32_e32 v1, 0
	s_cmp_eq_u32 s0, 0
	v_cmp_gt_i64_e64 s[0:1], s[8:9], v[0:1]
	s_mov_b64 s[4:5], -1
	s_cbranch_scc0 .LBB259_13
; %bb.4:
	s_and_saveexec_b64 s[4:5], s[0:1]
	s_cbranch_execz .LBB259_12
; %bb.5:
	v_subrev_co_u32_e32 v13, vcc, s2, v12
	s_mov_b32 s11, 0
	v_subb_co_u32_e64 v14, s[6:7], 0, 0, vcc
	s_mov_b64 s[6:7], 0
	v_mov_b32_e32 v15, s13
	v_mov_b32_e32 v16, s15
	v_mov_b32_e32 v17, s11
	v_pk_mov_b32 v[2:3], v[0:1], v[0:1] op_sel:[0,1]
	s_branch .LBB259_7
.LBB259_6:                              ;   in Loop: Header=BB259_7 Depth=1
	s_or_b64 exec, exec, s[24:25]
	v_add_co_u32_e32 v2, vcc, s3, v2
	v_addc_co_u32_e32 v3, vcc, 0, v3, vcc
	v_cmp_le_i64_e32 vcc, s[8:9], v[2:3]
	s_or_b64 s[6:7], vcc, s[6:7]
	s_andn2_b64 exec, exec, s[6:7]
	s_cbranch_execz .LBB259_12
.LBB259_7:                              ; =>This Loop Header: Depth=1
                                        ;     Child Loop BB259_9 Depth 2
                                        ;       Child Loop BB259_10 Depth 3
	v_lshlrev_b64 v[4:5], 3, v[2:3]
	v_add_co_u32_e32 v6, vcc, s14, v4
	v_addc_co_u32_e32 v7, vcc, v16, v5, vcc
	global_load_dwordx2 v[6:7], v[6:7], off
	v_add_co_u32_e32 v4, vcc, s12, v4
	v_addc_co_u32_e32 v5, vcc, v15, v5, vcc
	global_load_dwordx2 v[8:9], v[4:5], off
	s_waitcnt vmcnt(1)
	v_subrev_co_u32_e32 v4, vcc, s2, v6
	v_subb_co_u32_e32 v5, vcc, v7, v17, vcc
	s_waitcnt vmcnt(0)
	v_add_co_u32_e32 v6, vcc, v8, v13
	v_addc_co_u32_e32 v7, vcc, v9, v14, vcc
	v_cmp_lt_i64_e32 vcc, v[6:7], v[4:5]
	s_and_saveexec_b64 s[24:25], vcc
	s_cbranch_execz .LBB259_6
; %bb.8:                                ;   in Loop: Header=BB259_7 Depth=1
	v_lshlrev_b64 v[8:9], 1, v[2:3]
	v_mov_b32_e32 v10, s21
	v_add_co_u32_e32 v8, vcc, s20, v8
	v_addc_co_u32_e32 v9, vcc, v10, v9, vcc
	global_load_ushort v8, v[8:9], off
	s_mov_b64 s[26:27], 0
	s_waitcnt vmcnt(0)
	v_lshlrev_b32_e32 v8, 16, v8
	v_mul_f32_e32 v18, s10, v8
.LBB259_9:                              ;   Parent Loop BB259_7 Depth=1
                                        ; =>  This Loop Header: Depth=2
                                        ;       Child Loop BB259_10 Depth 3
	v_lshlrev_b64 v[8:9], 3, v[6:7]
	v_mov_b32_e32 v10, s17
	v_add_co_u32_e32 v8, vcc, s16, v8
	v_addc_co_u32_e32 v9, vcc, v10, v9, vcc
	global_load_dwordx2 v[8:9], v[8:9], off
	v_lshlrev_b64 v[10:11], 1, v[6:7]
	v_mov_b32_e32 v19, s19
	v_add_co_u32_e32 v10, vcc, s18, v10
	v_addc_co_u32_e32 v11, vcc, v19, v11, vcc
	v_mov_b32_e32 v20, s23
	global_load_ushort v10, v[10:11], off
	s_mov_b64 s[28:29], 0
	s_waitcnt vmcnt(1)
	v_subrev_co_u32_e32 v8, vcc, s2, v8
	v_subb_co_u32_e32 v9, vcc, v9, v17, vcc
	v_lshlrev_b64 v[8:9], 2, v[8:9]
	v_add_co_u32_e32 v8, vcc, s22, v8
	v_addc_co_u32_e32 v9, vcc, v20, v9, vcc
	global_load_dword v11, v[8:9], off
	s_waitcnt vmcnt(1)
	v_lshlrev_b32_e32 v10, 16, v10
	v_mul_f32_e32 v19, v18, v10
.LBB259_10:                             ;   Parent Loop BB259_7 Depth=1
                                        ;     Parent Loop BB259_9 Depth=2
                                        ; =>    This Inner Loop Header: Depth=3
	s_waitcnt vmcnt(0)
	v_add_f32_e32 v10, v11, v19
	global_atomic_cmpswap v10, v[8:9], v[10:11], off glc
	s_waitcnt vmcnt(0)
	v_cmp_eq_u32_e32 vcc, v10, v11
	s_or_b64 s[28:29], vcc, s[28:29]
	v_mov_b32_e32 v11, v10
	s_andn2_b64 exec, exec, s[28:29]
	s_cbranch_execnz .LBB259_10
; %bb.11:                               ;   in Loop: Header=BB259_9 Depth=2
	s_or_b64 exec, exec, s[28:29]
	v_add_co_u32_e32 v6, vcc, 4, v6
	v_addc_co_u32_e32 v7, vcc, 0, v7, vcc
	v_cmp_ge_i64_e32 vcc, v[6:7], v[4:5]
	s_or_b64 s[26:27], vcc, s[26:27]
	s_andn2_b64 exec, exec, s[26:27]
	s_cbranch_execnz .LBB259_9
	s_branch .LBB259_6
.LBB259_12:
	s_or_b64 exec, exec, s[4:5]
	s_mov_b64 s[4:5], 0
.LBB259_13:
	s_andn2_b64 vcc, exec, s[4:5]
	s_cbranch_vccnz .LBB259_23
; %bb.14:
	s_and_saveexec_b64 s[4:5], s[0:1]
	s_cbranch_execz .LBB259_23
; %bb.15:
	v_subrev_co_u32_e32 v10, vcc, s2, v12
	s_mov_b32 s4, 0
	v_subb_co_u32_e64 v11, s[0:1], 0, 0, vcc
	s_mov_b64 s[0:1], 0
	v_mov_b32_e32 v12, s13
	v_mov_b32_e32 v13, s15
	;; [unrolled: 1-line block ×3, first 2 shown]
	s_branch .LBB259_17
.LBB259_16:                             ;   in Loop: Header=BB259_17 Depth=1
	s_or_b64 exec, exec, s[4:5]
	v_add_co_u32_e32 v0, vcc, s3, v0
	v_addc_co_u32_e32 v1, vcc, 0, v1, vcc
	v_cmp_le_i64_e32 vcc, s[8:9], v[0:1]
	s_or_b64 s[0:1], vcc, s[0:1]
	s_andn2_b64 exec, exec, s[0:1]
	s_cbranch_execz .LBB259_23
.LBB259_17:                             ; =>This Loop Header: Depth=1
                                        ;     Child Loop BB259_20 Depth 2
                                        ;       Child Loop BB259_22 Depth 3
	v_lshlrev_b64 v[2:3], 3, v[0:1]
	v_add_co_u32_e32 v4, vcc, s14, v2
	v_addc_co_u32_e32 v5, vcc, v13, v3, vcc
	global_load_dwordx2 v[4:5], v[4:5], off
	v_add_co_u32_e32 v2, vcc, s12, v2
	v_addc_co_u32_e32 v3, vcc, v12, v3, vcc
	global_load_dwordx2 v[6:7], v[2:3], off
	s_waitcnt vmcnt(1)
	v_subrev_co_u32_e32 v2, vcc, s2, v4
	v_subb_co_u32_e32 v3, vcc, v5, v14, vcc
	s_waitcnt vmcnt(0)
	v_add_co_u32_e32 v4, vcc, v6, v10
	v_addc_co_u32_e32 v5, vcc, v7, v11, vcc
	v_cmp_lt_i64_e32 vcc, v[4:5], v[2:3]
	s_and_saveexec_b64 s[4:5], vcc
	s_cbranch_execz .LBB259_16
; %bb.18:                               ;   in Loop: Header=BB259_17 Depth=1
	v_lshlrev_b64 v[6:7], 1, v[0:1]
	v_mov_b32_e32 v8, s21
	v_add_co_u32_e32 v6, vcc, s20, v6
	v_addc_co_u32_e32 v7, vcc, v8, v7, vcc
	global_load_ushort v6, v[6:7], off
	s_mov_b64 s[6:7], 0
	s_waitcnt vmcnt(0)
	v_lshlrev_b32_e32 v6, 16, v6
	v_mul_f32_e32 v15, s10, v6
	s_branch .LBB259_20
.LBB259_19:                             ;   in Loop: Header=BB259_20 Depth=2
	s_or_b64 exec, exec, s[24:25]
	v_add_co_u32_e32 v4, vcc, 4, v4
	v_addc_co_u32_e32 v5, vcc, 0, v5, vcc
	v_cmp_ge_i64_e32 vcc, v[4:5], v[2:3]
	s_or_b64 s[6:7], vcc, s[6:7]
	s_andn2_b64 exec, exec, s[6:7]
	s_cbranch_execz .LBB259_16
.LBB259_20:                             ;   Parent Loop BB259_17 Depth=1
                                        ; =>  This Loop Header: Depth=2
                                        ;       Child Loop BB259_22 Depth 3
	v_lshlrev_b64 v[6:7], 3, v[4:5]
	v_mov_b32_e32 v8, s17
	v_add_co_u32_e32 v6, vcc, s16, v6
	v_addc_co_u32_e32 v7, vcc, v8, v7, vcc
	global_load_dwordx2 v[6:7], v[6:7], off
	s_waitcnt vmcnt(0)
	v_subrev_co_u32_e32 v6, vcc, s2, v6
	v_subb_co_u32_e32 v7, vcc, v7, v14, vcc
	v_cmp_ne_u64_e32 vcc, v[6:7], v[0:1]
	s_and_saveexec_b64 s[24:25], vcc
	s_cbranch_execz .LBB259_19
; %bb.21:                               ;   in Loop: Header=BB259_20 Depth=2
	v_lshlrev_b64 v[8:9], 1, v[4:5]
	v_mov_b32_e32 v16, s19
	v_add_co_u32_e32 v8, vcc, s18, v8
	v_addc_co_u32_e32 v9, vcc, v16, v9, vcc
	v_lshlrev_b64 v[6:7], 2, v[6:7]
	v_mov_b32_e32 v16, s23
	global_load_ushort v8, v[8:9], off
	v_add_co_u32_e32 v6, vcc, s22, v6
	v_addc_co_u32_e32 v7, vcc, v16, v7, vcc
	global_load_dword v9, v[6:7], off
	s_mov_b64 s[26:27], 0
	s_waitcnt vmcnt(1)
	v_lshlrev_b32_e32 v8, 16, v8
	v_mul_f32_e32 v16, v15, v8
.LBB259_22:                             ;   Parent Loop BB259_17 Depth=1
                                        ;     Parent Loop BB259_20 Depth=2
                                        ; =>    This Inner Loop Header: Depth=3
	s_waitcnt vmcnt(0)
	v_add_f32_e32 v8, v9, v16
	global_atomic_cmpswap v8, v[6:7], v[8:9], off glc
	s_waitcnt vmcnt(0)
	v_cmp_eq_u32_e32 vcc, v8, v9
	s_or_b64 s[26:27], vcc, s[26:27]
	v_mov_b32_e32 v9, v8
	s_andn2_b64 exec, exec, s[26:27]
	s_cbranch_execnz .LBB259_22
	s_branch .LBB259_19
.LBB259_23:
	s_endpgm
	.section	.rodata,"a",@progbits
	.p2align	6, 0x0
	.amdhsa_kernel _ZN9rocsparseL21csrmvt_general_kernelILj256ELj4Ell18rocsparse_bfloat16S1_ffEEvbbT2_NS_24const_host_device_scalarIT6_EEPKT1_S8_PKS2_PKT3_PKT4_PT5_21rocsparse_index_base_b
		.amdhsa_group_segment_fixed_size 0
		.amdhsa_private_segment_fixed_size 0
		.amdhsa_kernarg_size 336
		.amdhsa_user_sgpr_count 6
		.amdhsa_user_sgpr_private_segment_buffer 1
		.amdhsa_user_sgpr_dispatch_ptr 0
		.amdhsa_user_sgpr_queue_ptr 0
		.amdhsa_user_sgpr_kernarg_segment_ptr 1
		.amdhsa_user_sgpr_dispatch_id 0
		.amdhsa_user_sgpr_flat_scratch_init 0
		.amdhsa_user_sgpr_kernarg_preload_length 0
		.amdhsa_user_sgpr_kernarg_preload_offset 0
		.amdhsa_user_sgpr_private_segment_size 0
		.amdhsa_uses_dynamic_stack 0
		.amdhsa_system_sgpr_private_segment_wavefront_offset 0
		.amdhsa_system_sgpr_workgroup_id_x 1
		.amdhsa_system_sgpr_workgroup_id_y 0
		.amdhsa_system_sgpr_workgroup_id_z 0
		.amdhsa_system_sgpr_workgroup_info 0
		.amdhsa_system_vgpr_workitem_id 0
		.amdhsa_next_free_vgpr 21
		.amdhsa_next_free_sgpr 30
		.amdhsa_accum_offset 24
		.amdhsa_reserve_vcc 1
		.amdhsa_reserve_flat_scratch 0
		.amdhsa_float_round_mode_32 0
		.amdhsa_float_round_mode_16_64 0
		.amdhsa_float_denorm_mode_32 3
		.amdhsa_float_denorm_mode_16_64 3
		.amdhsa_dx10_clamp 1
		.amdhsa_ieee_mode 1
		.amdhsa_fp16_overflow 0
		.amdhsa_tg_split 0
		.amdhsa_exception_fp_ieee_invalid_op 0
		.amdhsa_exception_fp_denorm_src 0
		.amdhsa_exception_fp_ieee_div_zero 0
		.amdhsa_exception_fp_ieee_overflow 0
		.amdhsa_exception_fp_ieee_underflow 0
		.amdhsa_exception_fp_ieee_inexact 0
		.amdhsa_exception_int_div_zero 0
	.end_amdhsa_kernel
	.section	.text._ZN9rocsparseL21csrmvt_general_kernelILj256ELj4Ell18rocsparse_bfloat16S1_ffEEvbbT2_NS_24const_host_device_scalarIT6_EEPKT1_S8_PKS2_PKT3_PKT4_PT5_21rocsparse_index_base_b,"axG",@progbits,_ZN9rocsparseL21csrmvt_general_kernelILj256ELj4Ell18rocsparse_bfloat16S1_ffEEvbbT2_NS_24const_host_device_scalarIT6_EEPKT1_S8_PKS2_PKT3_PKT4_PT5_21rocsparse_index_base_b,comdat
.Lfunc_end259:
	.size	_ZN9rocsparseL21csrmvt_general_kernelILj256ELj4Ell18rocsparse_bfloat16S1_ffEEvbbT2_NS_24const_host_device_scalarIT6_EEPKT1_S8_PKS2_PKT3_PKT4_PT5_21rocsparse_index_base_b, .Lfunc_end259-_ZN9rocsparseL21csrmvt_general_kernelILj256ELj4Ell18rocsparse_bfloat16S1_ffEEvbbT2_NS_24const_host_device_scalarIT6_EEPKT1_S8_PKS2_PKT3_PKT4_PT5_21rocsparse_index_base_b
                                        ; -- End function
	.section	.AMDGPU.csdata,"",@progbits
; Kernel info:
; codeLenInByte = 936
; NumSgprs: 34
; NumVgprs: 21
; NumAgprs: 0
; TotalNumVgprs: 21
; ScratchSize: 0
; MemoryBound: 0
; FloatMode: 240
; IeeeMode: 1
; LDSByteSize: 0 bytes/workgroup (compile time only)
; SGPRBlocks: 4
; VGPRBlocks: 2
; NumSGPRsForWavesPerEU: 34
; NumVGPRsForWavesPerEU: 21
; AccumOffset: 24
; Occupancy: 8
; WaveLimiterHint : 1
; COMPUTE_PGM_RSRC2:SCRATCH_EN: 0
; COMPUTE_PGM_RSRC2:USER_SGPR: 6
; COMPUTE_PGM_RSRC2:TRAP_HANDLER: 0
; COMPUTE_PGM_RSRC2:TGID_X_EN: 1
; COMPUTE_PGM_RSRC2:TGID_Y_EN: 0
; COMPUTE_PGM_RSRC2:TGID_Z_EN: 0
; COMPUTE_PGM_RSRC2:TIDIG_COMP_CNT: 0
; COMPUTE_PGM_RSRC3_GFX90A:ACCUM_OFFSET: 5
; COMPUTE_PGM_RSRC3_GFX90A:TG_SPLIT: 0
	.section	.text._ZN9rocsparseL21csrmvt_general_kernelILj256ELj8Ell18rocsparse_bfloat16S1_ffEEvbbT2_NS_24const_host_device_scalarIT6_EEPKT1_S8_PKS2_PKT3_PKT4_PT5_21rocsparse_index_base_b,"axG",@progbits,_ZN9rocsparseL21csrmvt_general_kernelILj256ELj8Ell18rocsparse_bfloat16S1_ffEEvbbT2_NS_24const_host_device_scalarIT6_EEPKT1_S8_PKS2_PKT3_PKT4_PT5_21rocsparse_index_base_b,comdat
	.globl	_ZN9rocsparseL21csrmvt_general_kernelILj256ELj8Ell18rocsparse_bfloat16S1_ffEEvbbT2_NS_24const_host_device_scalarIT6_EEPKT1_S8_PKS2_PKT3_PKT4_PT5_21rocsparse_index_base_b ; -- Begin function _ZN9rocsparseL21csrmvt_general_kernelILj256ELj8Ell18rocsparse_bfloat16S1_ffEEvbbT2_NS_24const_host_device_scalarIT6_EEPKT1_S8_PKS2_PKT3_PKT4_PT5_21rocsparse_index_base_b
	.p2align	8
	.type	_ZN9rocsparseL21csrmvt_general_kernelILj256ELj8Ell18rocsparse_bfloat16S1_ffEEvbbT2_NS_24const_host_device_scalarIT6_EEPKT1_S8_PKS2_PKT3_PKT4_PT5_21rocsparse_index_base_b,@function
_ZN9rocsparseL21csrmvt_general_kernelILj256ELj8Ell18rocsparse_bfloat16S1_ffEEvbbT2_NS_24const_host_device_scalarIT6_EEPKT1_S8_PKS2_PKT3_PKT4_PT5_21rocsparse_index_base_b: ; @_ZN9rocsparseL21csrmvt_general_kernelILj256ELj8Ell18rocsparse_bfloat16S1_ffEEvbbT2_NS_24const_host_device_scalarIT6_EEPKT1_S8_PKS2_PKT3_PKT4_PT5_21rocsparse_index_base_b
; %bb.0:
	s_load_dwordx2 s[2:3], s[4:5], 0x48
	s_load_dwordx8 s[8:15], s[4:5], 0x8
	s_waitcnt lgkmcnt(0)
	s_bitcmp1_b32 s3, 0
	s_cselect_b64 s[0:1], -1, 0
	s_and_b64 vcc, exec, s[0:1]
	s_cbranch_vccnz .LBB260_2
; %bb.1:
	s_load_dword s10, s[10:11], 0x0
.LBB260_2:
	s_waitcnt lgkmcnt(0)
	v_cmp_eq_f32_e64 s[0:1], s10, 0
	s_and_b64 vcc, exec, s[0:1]
	s_cbranch_vccnz .LBB260_23
; %bb.3:
	s_load_dword s0, s[4:5], 0x0
	s_load_dword s1, s[4:5], 0x50
	s_load_dwordx8 s[16:23], s[4:5], 0x28
	v_and_b32_e32 v12, 7, v0
	v_lshl_or_b32 v0, s6, 8, v0
	s_waitcnt lgkmcnt(0)
	s_and_b32 s0, s0, 1
	s_lshl_b32 s3, s1, 5
	v_lshrrev_b32_e32 v0, 3, v0
	v_mov_b32_e32 v1, 0
	s_cmp_eq_u32 s0, 0
	v_cmp_gt_i64_e64 s[0:1], s[8:9], v[0:1]
	s_mov_b64 s[4:5], -1
	s_cbranch_scc0 .LBB260_13
; %bb.4:
	s_and_saveexec_b64 s[4:5], s[0:1]
	s_cbranch_execz .LBB260_12
; %bb.5:
	v_subrev_co_u32_e32 v13, vcc, s2, v12
	s_mov_b32 s11, 0
	v_subb_co_u32_e64 v14, s[6:7], 0, 0, vcc
	s_mov_b64 s[6:7], 0
	v_mov_b32_e32 v15, s13
	v_mov_b32_e32 v16, s15
	;; [unrolled: 1-line block ×3, first 2 shown]
	v_pk_mov_b32 v[2:3], v[0:1], v[0:1] op_sel:[0,1]
	s_branch .LBB260_7
.LBB260_6:                              ;   in Loop: Header=BB260_7 Depth=1
	s_or_b64 exec, exec, s[24:25]
	v_add_co_u32_e32 v2, vcc, s3, v2
	v_addc_co_u32_e32 v3, vcc, 0, v3, vcc
	v_cmp_le_i64_e32 vcc, s[8:9], v[2:3]
	s_or_b64 s[6:7], vcc, s[6:7]
	s_andn2_b64 exec, exec, s[6:7]
	s_cbranch_execz .LBB260_12
.LBB260_7:                              ; =>This Loop Header: Depth=1
                                        ;     Child Loop BB260_9 Depth 2
                                        ;       Child Loop BB260_10 Depth 3
	v_lshlrev_b64 v[4:5], 3, v[2:3]
	v_add_co_u32_e32 v6, vcc, s14, v4
	v_addc_co_u32_e32 v7, vcc, v16, v5, vcc
	global_load_dwordx2 v[6:7], v[6:7], off
	v_add_co_u32_e32 v4, vcc, s12, v4
	v_addc_co_u32_e32 v5, vcc, v15, v5, vcc
	global_load_dwordx2 v[8:9], v[4:5], off
	s_waitcnt vmcnt(1)
	v_subrev_co_u32_e32 v4, vcc, s2, v6
	v_subb_co_u32_e32 v5, vcc, v7, v17, vcc
	s_waitcnt vmcnt(0)
	v_add_co_u32_e32 v6, vcc, v8, v13
	v_addc_co_u32_e32 v7, vcc, v9, v14, vcc
	v_cmp_lt_i64_e32 vcc, v[6:7], v[4:5]
	s_and_saveexec_b64 s[24:25], vcc
	s_cbranch_execz .LBB260_6
; %bb.8:                                ;   in Loop: Header=BB260_7 Depth=1
	v_lshlrev_b64 v[8:9], 1, v[2:3]
	v_mov_b32_e32 v10, s21
	v_add_co_u32_e32 v8, vcc, s20, v8
	v_addc_co_u32_e32 v9, vcc, v10, v9, vcc
	global_load_ushort v8, v[8:9], off
	s_mov_b64 s[26:27], 0
	s_waitcnt vmcnt(0)
	v_lshlrev_b32_e32 v8, 16, v8
	v_mul_f32_e32 v18, s10, v8
.LBB260_9:                              ;   Parent Loop BB260_7 Depth=1
                                        ; =>  This Loop Header: Depth=2
                                        ;       Child Loop BB260_10 Depth 3
	v_lshlrev_b64 v[8:9], 3, v[6:7]
	v_mov_b32_e32 v10, s17
	v_add_co_u32_e32 v8, vcc, s16, v8
	v_addc_co_u32_e32 v9, vcc, v10, v9, vcc
	global_load_dwordx2 v[8:9], v[8:9], off
	v_lshlrev_b64 v[10:11], 1, v[6:7]
	v_mov_b32_e32 v19, s19
	v_add_co_u32_e32 v10, vcc, s18, v10
	v_addc_co_u32_e32 v11, vcc, v19, v11, vcc
	v_mov_b32_e32 v20, s23
	global_load_ushort v10, v[10:11], off
	s_mov_b64 s[28:29], 0
	s_waitcnt vmcnt(1)
	v_subrev_co_u32_e32 v8, vcc, s2, v8
	v_subb_co_u32_e32 v9, vcc, v9, v17, vcc
	v_lshlrev_b64 v[8:9], 2, v[8:9]
	v_add_co_u32_e32 v8, vcc, s22, v8
	v_addc_co_u32_e32 v9, vcc, v20, v9, vcc
	global_load_dword v11, v[8:9], off
	s_waitcnt vmcnt(1)
	v_lshlrev_b32_e32 v10, 16, v10
	v_mul_f32_e32 v19, v18, v10
.LBB260_10:                             ;   Parent Loop BB260_7 Depth=1
                                        ;     Parent Loop BB260_9 Depth=2
                                        ; =>    This Inner Loop Header: Depth=3
	s_waitcnt vmcnt(0)
	v_add_f32_e32 v10, v11, v19
	global_atomic_cmpswap v10, v[8:9], v[10:11], off glc
	s_waitcnt vmcnt(0)
	v_cmp_eq_u32_e32 vcc, v10, v11
	s_or_b64 s[28:29], vcc, s[28:29]
	v_mov_b32_e32 v11, v10
	s_andn2_b64 exec, exec, s[28:29]
	s_cbranch_execnz .LBB260_10
; %bb.11:                               ;   in Loop: Header=BB260_9 Depth=2
	s_or_b64 exec, exec, s[28:29]
	v_add_co_u32_e32 v6, vcc, 8, v6
	v_addc_co_u32_e32 v7, vcc, 0, v7, vcc
	v_cmp_ge_i64_e32 vcc, v[6:7], v[4:5]
	s_or_b64 s[26:27], vcc, s[26:27]
	s_andn2_b64 exec, exec, s[26:27]
	s_cbranch_execnz .LBB260_9
	s_branch .LBB260_6
.LBB260_12:
	s_or_b64 exec, exec, s[4:5]
	s_mov_b64 s[4:5], 0
.LBB260_13:
	s_andn2_b64 vcc, exec, s[4:5]
	s_cbranch_vccnz .LBB260_23
; %bb.14:
	s_and_saveexec_b64 s[4:5], s[0:1]
	s_cbranch_execz .LBB260_23
; %bb.15:
	v_subrev_co_u32_e32 v10, vcc, s2, v12
	s_mov_b32 s4, 0
	v_subb_co_u32_e64 v11, s[0:1], 0, 0, vcc
	s_mov_b64 s[0:1], 0
	v_mov_b32_e32 v12, s13
	v_mov_b32_e32 v13, s15
	;; [unrolled: 1-line block ×3, first 2 shown]
	s_branch .LBB260_17
.LBB260_16:                             ;   in Loop: Header=BB260_17 Depth=1
	s_or_b64 exec, exec, s[4:5]
	v_add_co_u32_e32 v0, vcc, s3, v0
	v_addc_co_u32_e32 v1, vcc, 0, v1, vcc
	v_cmp_le_i64_e32 vcc, s[8:9], v[0:1]
	s_or_b64 s[0:1], vcc, s[0:1]
	s_andn2_b64 exec, exec, s[0:1]
	s_cbranch_execz .LBB260_23
.LBB260_17:                             ; =>This Loop Header: Depth=1
                                        ;     Child Loop BB260_20 Depth 2
                                        ;       Child Loop BB260_22 Depth 3
	v_lshlrev_b64 v[2:3], 3, v[0:1]
	v_add_co_u32_e32 v4, vcc, s14, v2
	v_addc_co_u32_e32 v5, vcc, v13, v3, vcc
	global_load_dwordx2 v[4:5], v[4:5], off
	v_add_co_u32_e32 v2, vcc, s12, v2
	v_addc_co_u32_e32 v3, vcc, v12, v3, vcc
	global_load_dwordx2 v[6:7], v[2:3], off
	s_waitcnt vmcnt(1)
	v_subrev_co_u32_e32 v2, vcc, s2, v4
	v_subb_co_u32_e32 v3, vcc, v5, v14, vcc
	s_waitcnt vmcnt(0)
	v_add_co_u32_e32 v4, vcc, v6, v10
	v_addc_co_u32_e32 v5, vcc, v7, v11, vcc
	v_cmp_lt_i64_e32 vcc, v[4:5], v[2:3]
	s_and_saveexec_b64 s[4:5], vcc
	s_cbranch_execz .LBB260_16
; %bb.18:                               ;   in Loop: Header=BB260_17 Depth=1
	v_lshlrev_b64 v[6:7], 1, v[0:1]
	v_mov_b32_e32 v8, s21
	v_add_co_u32_e32 v6, vcc, s20, v6
	v_addc_co_u32_e32 v7, vcc, v8, v7, vcc
	global_load_ushort v6, v[6:7], off
	s_mov_b64 s[6:7], 0
	s_waitcnt vmcnt(0)
	v_lshlrev_b32_e32 v6, 16, v6
	v_mul_f32_e32 v15, s10, v6
	s_branch .LBB260_20
.LBB260_19:                             ;   in Loop: Header=BB260_20 Depth=2
	s_or_b64 exec, exec, s[24:25]
	v_add_co_u32_e32 v4, vcc, 8, v4
	v_addc_co_u32_e32 v5, vcc, 0, v5, vcc
	v_cmp_ge_i64_e32 vcc, v[4:5], v[2:3]
	s_or_b64 s[6:7], vcc, s[6:7]
	s_andn2_b64 exec, exec, s[6:7]
	s_cbranch_execz .LBB260_16
.LBB260_20:                             ;   Parent Loop BB260_17 Depth=1
                                        ; =>  This Loop Header: Depth=2
                                        ;       Child Loop BB260_22 Depth 3
	v_lshlrev_b64 v[6:7], 3, v[4:5]
	v_mov_b32_e32 v8, s17
	v_add_co_u32_e32 v6, vcc, s16, v6
	v_addc_co_u32_e32 v7, vcc, v8, v7, vcc
	global_load_dwordx2 v[6:7], v[6:7], off
	s_waitcnt vmcnt(0)
	v_subrev_co_u32_e32 v6, vcc, s2, v6
	v_subb_co_u32_e32 v7, vcc, v7, v14, vcc
	v_cmp_ne_u64_e32 vcc, v[6:7], v[0:1]
	s_and_saveexec_b64 s[24:25], vcc
	s_cbranch_execz .LBB260_19
; %bb.21:                               ;   in Loop: Header=BB260_20 Depth=2
	v_lshlrev_b64 v[8:9], 1, v[4:5]
	v_mov_b32_e32 v16, s19
	v_add_co_u32_e32 v8, vcc, s18, v8
	v_addc_co_u32_e32 v9, vcc, v16, v9, vcc
	v_lshlrev_b64 v[6:7], 2, v[6:7]
	v_mov_b32_e32 v16, s23
	global_load_ushort v8, v[8:9], off
	v_add_co_u32_e32 v6, vcc, s22, v6
	v_addc_co_u32_e32 v7, vcc, v16, v7, vcc
	global_load_dword v9, v[6:7], off
	s_mov_b64 s[26:27], 0
	s_waitcnt vmcnt(1)
	v_lshlrev_b32_e32 v8, 16, v8
	v_mul_f32_e32 v16, v15, v8
.LBB260_22:                             ;   Parent Loop BB260_17 Depth=1
                                        ;     Parent Loop BB260_20 Depth=2
                                        ; =>    This Inner Loop Header: Depth=3
	s_waitcnt vmcnt(0)
	v_add_f32_e32 v8, v9, v16
	global_atomic_cmpswap v8, v[6:7], v[8:9], off glc
	s_waitcnt vmcnt(0)
	v_cmp_eq_u32_e32 vcc, v8, v9
	s_or_b64 s[26:27], vcc, s[26:27]
	v_mov_b32_e32 v9, v8
	s_andn2_b64 exec, exec, s[26:27]
	s_cbranch_execnz .LBB260_22
	s_branch .LBB260_19
.LBB260_23:
	s_endpgm
	.section	.rodata,"a",@progbits
	.p2align	6, 0x0
	.amdhsa_kernel _ZN9rocsparseL21csrmvt_general_kernelILj256ELj8Ell18rocsparse_bfloat16S1_ffEEvbbT2_NS_24const_host_device_scalarIT6_EEPKT1_S8_PKS2_PKT3_PKT4_PT5_21rocsparse_index_base_b
		.amdhsa_group_segment_fixed_size 0
		.amdhsa_private_segment_fixed_size 0
		.amdhsa_kernarg_size 336
		.amdhsa_user_sgpr_count 6
		.amdhsa_user_sgpr_private_segment_buffer 1
		.amdhsa_user_sgpr_dispatch_ptr 0
		.amdhsa_user_sgpr_queue_ptr 0
		.amdhsa_user_sgpr_kernarg_segment_ptr 1
		.amdhsa_user_sgpr_dispatch_id 0
		.amdhsa_user_sgpr_flat_scratch_init 0
		.amdhsa_user_sgpr_kernarg_preload_length 0
		.amdhsa_user_sgpr_kernarg_preload_offset 0
		.amdhsa_user_sgpr_private_segment_size 0
		.amdhsa_uses_dynamic_stack 0
		.amdhsa_system_sgpr_private_segment_wavefront_offset 0
		.amdhsa_system_sgpr_workgroup_id_x 1
		.amdhsa_system_sgpr_workgroup_id_y 0
		.amdhsa_system_sgpr_workgroup_id_z 0
		.amdhsa_system_sgpr_workgroup_info 0
		.amdhsa_system_vgpr_workitem_id 0
		.amdhsa_next_free_vgpr 21
		.amdhsa_next_free_sgpr 30
		.amdhsa_accum_offset 24
		.amdhsa_reserve_vcc 1
		.amdhsa_reserve_flat_scratch 0
		.amdhsa_float_round_mode_32 0
		.amdhsa_float_round_mode_16_64 0
		.amdhsa_float_denorm_mode_32 3
		.amdhsa_float_denorm_mode_16_64 3
		.amdhsa_dx10_clamp 1
		.amdhsa_ieee_mode 1
		.amdhsa_fp16_overflow 0
		.amdhsa_tg_split 0
		.amdhsa_exception_fp_ieee_invalid_op 0
		.amdhsa_exception_fp_denorm_src 0
		.amdhsa_exception_fp_ieee_div_zero 0
		.amdhsa_exception_fp_ieee_overflow 0
		.amdhsa_exception_fp_ieee_underflow 0
		.amdhsa_exception_fp_ieee_inexact 0
		.amdhsa_exception_int_div_zero 0
	.end_amdhsa_kernel
	.section	.text._ZN9rocsparseL21csrmvt_general_kernelILj256ELj8Ell18rocsparse_bfloat16S1_ffEEvbbT2_NS_24const_host_device_scalarIT6_EEPKT1_S8_PKS2_PKT3_PKT4_PT5_21rocsparse_index_base_b,"axG",@progbits,_ZN9rocsparseL21csrmvt_general_kernelILj256ELj8Ell18rocsparse_bfloat16S1_ffEEvbbT2_NS_24const_host_device_scalarIT6_EEPKT1_S8_PKS2_PKT3_PKT4_PT5_21rocsparse_index_base_b,comdat
.Lfunc_end260:
	.size	_ZN9rocsparseL21csrmvt_general_kernelILj256ELj8Ell18rocsparse_bfloat16S1_ffEEvbbT2_NS_24const_host_device_scalarIT6_EEPKT1_S8_PKS2_PKT3_PKT4_PT5_21rocsparse_index_base_b, .Lfunc_end260-_ZN9rocsparseL21csrmvt_general_kernelILj256ELj8Ell18rocsparse_bfloat16S1_ffEEvbbT2_NS_24const_host_device_scalarIT6_EEPKT1_S8_PKS2_PKT3_PKT4_PT5_21rocsparse_index_base_b
                                        ; -- End function
	.section	.AMDGPU.csdata,"",@progbits
; Kernel info:
; codeLenInByte = 936
; NumSgprs: 34
; NumVgprs: 21
; NumAgprs: 0
; TotalNumVgprs: 21
; ScratchSize: 0
; MemoryBound: 0
; FloatMode: 240
; IeeeMode: 1
; LDSByteSize: 0 bytes/workgroup (compile time only)
; SGPRBlocks: 4
; VGPRBlocks: 2
; NumSGPRsForWavesPerEU: 34
; NumVGPRsForWavesPerEU: 21
; AccumOffset: 24
; Occupancy: 8
; WaveLimiterHint : 1
; COMPUTE_PGM_RSRC2:SCRATCH_EN: 0
; COMPUTE_PGM_RSRC2:USER_SGPR: 6
; COMPUTE_PGM_RSRC2:TRAP_HANDLER: 0
; COMPUTE_PGM_RSRC2:TGID_X_EN: 1
; COMPUTE_PGM_RSRC2:TGID_Y_EN: 0
; COMPUTE_PGM_RSRC2:TGID_Z_EN: 0
; COMPUTE_PGM_RSRC2:TIDIG_COMP_CNT: 0
; COMPUTE_PGM_RSRC3_GFX90A:ACCUM_OFFSET: 5
; COMPUTE_PGM_RSRC3_GFX90A:TG_SPLIT: 0
	.section	.text._ZN9rocsparseL21csrmvt_general_kernelILj256ELj16Ell18rocsparse_bfloat16S1_ffEEvbbT2_NS_24const_host_device_scalarIT6_EEPKT1_S8_PKS2_PKT3_PKT4_PT5_21rocsparse_index_base_b,"axG",@progbits,_ZN9rocsparseL21csrmvt_general_kernelILj256ELj16Ell18rocsparse_bfloat16S1_ffEEvbbT2_NS_24const_host_device_scalarIT6_EEPKT1_S8_PKS2_PKT3_PKT4_PT5_21rocsparse_index_base_b,comdat
	.globl	_ZN9rocsparseL21csrmvt_general_kernelILj256ELj16Ell18rocsparse_bfloat16S1_ffEEvbbT2_NS_24const_host_device_scalarIT6_EEPKT1_S8_PKS2_PKT3_PKT4_PT5_21rocsparse_index_base_b ; -- Begin function _ZN9rocsparseL21csrmvt_general_kernelILj256ELj16Ell18rocsparse_bfloat16S1_ffEEvbbT2_NS_24const_host_device_scalarIT6_EEPKT1_S8_PKS2_PKT3_PKT4_PT5_21rocsparse_index_base_b
	.p2align	8
	.type	_ZN9rocsparseL21csrmvt_general_kernelILj256ELj16Ell18rocsparse_bfloat16S1_ffEEvbbT2_NS_24const_host_device_scalarIT6_EEPKT1_S8_PKS2_PKT3_PKT4_PT5_21rocsparse_index_base_b,@function
_ZN9rocsparseL21csrmvt_general_kernelILj256ELj16Ell18rocsparse_bfloat16S1_ffEEvbbT2_NS_24const_host_device_scalarIT6_EEPKT1_S8_PKS2_PKT3_PKT4_PT5_21rocsparse_index_base_b: ; @_ZN9rocsparseL21csrmvt_general_kernelILj256ELj16Ell18rocsparse_bfloat16S1_ffEEvbbT2_NS_24const_host_device_scalarIT6_EEPKT1_S8_PKS2_PKT3_PKT4_PT5_21rocsparse_index_base_b
; %bb.0:
	s_load_dwordx2 s[2:3], s[4:5], 0x48
	s_load_dwordx8 s[8:15], s[4:5], 0x8
	s_waitcnt lgkmcnt(0)
	s_bitcmp1_b32 s3, 0
	s_cselect_b64 s[0:1], -1, 0
	s_and_b64 vcc, exec, s[0:1]
	s_cbranch_vccnz .LBB261_2
; %bb.1:
	s_load_dword s10, s[10:11], 0x0
.LBB261_2:
	s_waitcnt lgkmcnt(0)
	v_cmp_eq_f32_e64 s[0:1], s10, 0
	s_and_b64 vcc, exec, s[0:1]
	s_cbranch_vccnz .LBB261_23
; %bb.3:
	s_load_dword s0, s[4:5], 0x0
	s_load_dword s1, s[4:5], 0x50
	s_load_dwordx8 s[16:23], s[4:5], 0x28
	v_and_b32_e32 v12, 15, v0
	v_lshl_or_b32 v0, s6, 8, v0
	s_waitcnt lgkmcnt(0)
	s_and_b32 s0, s0, 1
	s_lshl_b32 s3, s1, 4
	v_lshrrev_b32_e32 v0, 4, v0
	v_mov_b32_e32 v1, 0
	s_cmp_eq_u32 s0, 0
	v_cmp_gt_i64_e64 s[0:1], s[8:9], v[0:1]
	s_mov_b64 s[4:5], -1
	s_cbranch_scc0 .LBB261_13
; %bb.4:
	s_and_saveexec_b64 s[4:5], s[0:1]
	s_cbranch_execz .LBB261_12
; %bb.5:
	v_subrev_co_u32_e32 v13, vcc, s2, v12
	s_mov_b32 s11, 0
	v_subb_co_u32_e64 v14, s[6:7], 0, 0, vcc
	s_mov_b64 s[6:7], 0
	v_mov_b32_e32 v15, s13
	v_mov_b32_e32 v16, s15
	v_mov_b32_e32 v17, s11
	v_pk_mov_b32 v[2:3], v[0:1], v[0:1] op_sel:[0,1]
	s_branch .LBB261_7
.LBB261_6:                              ;   in Loop: Header=BB261_7 Depth=1
	s_or_b64 exec, exec, s[24:25]
	v_add_co_u32_e32 v2, vcc, s3, v2
	v_addc_co_u32_e32 v3, vcc, 0, v3, vcc
	v_cmp_le_i64_e32 vcc, s[8:9], v[2:3]
	s_or_b64 s[6:7], vcc, s[6:7]
	s_andn2_b64 exec, exec, s[6:7]
	s_cbranch_execz .LBB261_12
.LBB261_7:                              ; =>This Loop Header: Depth=1
                                        ;     Child Loop BB261_9 Depth 2
                                        ;       Child Loop BB261_10 Depth 3
	v_lshlrev_b64 v[4:5], 3, v[2:3]
	v_add_co_u32_e32 v6, vcc, s14, v4
	v_addc_co_u32_e32 v7, vcc, v16, v5, vcc
	global_load_dwordx2 v[6:7], v[6:7], off
	v_add_co_u32_e32 v4, vcc, s12, v4
	v_addc_co_u32_e32 v5, vcc, v15, v5, vcc
	global_load_dwordx2 v[8:9], v[4:5], off
	s_waitcnt vmcnt(1)
	v_subrev_co_u32_e32 v4, vcc, s2, v6
	v_subb_co_u32_e32 v5, vcc, v7, v17, vcc
	s_waitcnt vmcnt(0)
	v_add_co_u32_e32 v6, vcc, v8, v13
	v_addc_co_u32_e32 v7, vcc, v9, v14, vcc
	v_cmp_lt_i64_e32 vcc, v[6:7], v[4:5]
	s_and_saveexec_b64 s[24:25], vcc
	s_cbranch_execz .LBB261_6
; %bb.8:                                ;   in Loop: Header=BB261_7 Depth=1
	v_lshlrev_b64 v[8:9], 1, v[2:3]
	v_mov_b32_e32 v10, s21
	v_add_co_u32_e32 v8, vcc, s20, v8
	v_addc_co_u32_e32 v9, vcc, v10, v9, vcc
	global_load_ushort v8, v[8:9], off
	s_mov_b64 s[26:27], 0
	s_waitcnt vmcnt(0)
	v_lshlrev_b32_e32 v8, 16, v8
	v_mul_f32_e32 v18, s10, v8
.LBB261_9:                              ;   Parent Loop BB261_7 Depth=1
                                        ; =>  This Loop Header: Depth=2
                                        ;       Child Loop BB261_10 Depth 3
	v_lshlrev_b64 v[8:9], 3, v[6:7]
	v_mov_b32_e32 v10, s17
	v_add_co_u32_e32 v8, vcc, s16, v8
	v_addc_co_u32_e32 v9, vcc, v10, v9, vcc
	global_load_dwordx2 v[8:9], v[8:9], off
	v_lshlrev_b64 v[10:11], 1, v[6:7]
	v_mov_b32_e32 v19, s19
	v_add_co_u32_e32 v10, vcc, s18, v10
	v_addc_co_u32_e32 v11, vcc, v19, v11, vcc
	v_mov_b32_e32 v20, s23
	global_load_ushort v10, v[10:11], off
	s_mov_b64 s[28:29], 0
	s_waitcnt vmcnt(1)
	v_subrev_co_u32_e32 v8, vcc, s2, v8
	v_subb_co_u32_e32 v9, vcc, v9, v17, vcc
	v_lshlrev_b64 v[8:9], 2, v[8:9]
	v_add_co_u32_e32 v8, vcc, s22, v8
	v_addc_co_u32_e32 v9, vcc, v20, v9, vcc
	global_load_dword v11, v[8:9], off
	s_waitcnt vmcnt(1)
	v_lshlrev_b32_e32 v10, 16, v10
	v_mul_f32_e32 v19, v18, v10
.LBB261_10:                             ;   Parent Loop BB261_7 Depth=1
                                        ;     Parent Loop BB261_9 Depth=2
                                        ; =>    This Inner Loop Header: Depth=3
	s_waitcnt vmcnt(0)
	v_add_f32_e32 v10, v11, v19
	global_atomic_cmpswap v10, v[8:9], v[10:11], off glc
	s_waitcnt vmcnt(0)
	v_cmp_eq_u32_e32 vcc, v10, v11
	s_or_b64 s[28:29], vcc, s[28:29]
	v_mov_b32_e32 v11, v10
	s_andn2_b64 exec, exec, s[28:29]
	s_cbranch_execnz .LBB261_10
; %bb.11:                               ;   in Loop: Header=BB261_9 Depth=2
	s_or_b64 exec, exec, s[28:29]
	v_add_co_u32_e32 v6, vcc, 16, v6
	v_addc_co_u32_e32 v7, vcc, 0, v7, vcc
	v_cmp_ge_i64_e32 vcc, v[6:7], v[4:5]
	s_or_b64 s[26:27], vcc, s[26:27]
	s_andn2_b64 exec, exec, s[26:27]
	s_cbranch_execnz .LBB261_9
	s_branch .LBB261_6
.LBB261_12:
	s_or_b64 exec, exec, s[4:5]
	s_mov_b64 s[4:5], 0
.LBB261_13:
	s_andn2_b64 vcc, exec, s[4:5]
	s_cbranch_vccnz .LBB261_23
; %bb.14:
	s_and_saveexec_b64 s[4:5], s[0:1]
	s_cbranch_execz .LBB261_23
; %bb.15:
	v_subrev_co_u32_e32 v10, vcc, s2, v12
	s_mov_b32 s4, 0
	v_subb_co_u32_e64 v11, s[0:1], 0, 0, vcc
	s_mov_b64 s[0:1], 0
	v_mov_b32_e32 v12, s13
	v_mov_b32_e32 v13, s15
	v_mov_b32_e32 v14, s4
	s_branch .LBB261_17
.LBB261_16:                             ;   in Loop: Header=BB261_17 Depth=1
	s_or_b64 exec, exec, s[4:5]
	v_add_co_u32_e32 v0, vcc, s3, v0
	v_addc_co_u32_e32 v1, vcc, 0, v1, vcc
	v_cmp_le_i64_e32 vcc, s[8:9], v[0:1]
	s_or_b64 s[0:1], vcc, s[0:1]
	s_andn2_b64 exec, exec, s[0:1]
	s_cbranch_execz .LBB261_23
.LBB261_17:                             ; =>This Loop Header: Depth=1
                                        ;     Child Loop BB261_20 Depth 2
                                        ;       Child Loop BB261_22 Depth 3
	v_lshlrev_b64 v[2:3], 3, v[0:1]
	v_add_co_u32_e32 v4, vcc, s14, v2
	v_addc_co_u32_e32 v5, vcc, v13, v3, vcc
	global_load_dwordx2 v[4:5], v[4:5], off
	v_add_co_u32_e32 v2, vcc, s12, v2
	v_addc_co_u32_e32 v3, vcc, v12, v3, vcc
	global_load_dwordx2 v[6:7], v[2:3], off
	s_waitcnt vmcnt(1)
	v_subrev_co_u32_e32 v2, vcc, s2, v4
	v_subb_co_u32_e32 v3, vcc, v5, v14, vcc
	s_waitcnt vmcnt(0)
	v_add_co_u32_e32 v4, vcc, v6, v10
	v_addc_co_u32_e32 v5, vcc, v7, v11, vcc
	v_cmp_lt_i64_e32 vcc, v[4:5], v[2:3]
	s_and_saveexec_b64 s[4:5], vcc
	s_cbranch_execz .LBB261_16
; %bb.18:                               ;   in Loop: Header=BB261_17 Depth=1
	v_lshlrev_b64 v[6:7], 1, v[0:1]
	v_mov_b32_e32 v8, s21
	v_add_co_u32_e32 v6, vcc, s20, v6
	v_addc_co_u32_e32 v7, vcc, v8, v7, vcc
	global_load_ushort v6, v[6:7], off
	s_mov_b64 s[6:7], 0
	s_waitcnt vmcnt(0)
	v_lshlrev_b32_e32 v6, 16, v6
	v_mul_f32_e32 v15, s10, v6
	s_branch .LBB261_20
.LBB261_19:                             ;   in Loop: Header=BB261_20 Depth=2
	s_or_b64 exec, exec, s[24:25]
	v_add_co_u32_e32 v4, vcc, 16, v4
	v_addc_co_u32_e32 v5, vcc, 0, v5, vcc
	v_cmp_ge_i64_e32 vcc, v[4:5], v[2:3]
	s_or_b64 s[6:7], vcc, s[6:7]
	s_andn2_b64 exec, exec, s[6:7]
	s_cbranch_execz .LBB261_16
.LBB261_20:                             ;   Parent Loop BB261_17 Depth=1
                                        ; =>  This Loop Header: Depth=2
                                        ;       Child Loop BB261_22 Depth 3
	v_lshlrev_b64 v[6:7], 3, v[4:5]
	v_mov_b32_e32 v8, s17
	v_add_co_u32_e32 v6, vcc, s16, v6
	v_addc_co_u32_e32 v7, vcc, v8, v7, vcc
	global_load_dwordx2 v[6:7], v[6:7], off
	s_waitcnt vmcnt(0)
	v_subrev_co_u32_e32 v6, vcc, s2, v6
	v_subb_co_u32_e32 v7, vcc, v7, v14, vcc
	v_cmp_ne_u64_e32 vcc, v[6:7], v[0:1]
	s_and_saveexec_b64 s[24:25], vcc
	s_cbranch_execz .LBB261_19
; %bb.21:                               ;   in Loop: Header=BB261_20 Depth=2
	v_lshlrev_b64 v[8:9], 1, v[4:5]
	v_mov_b32_e32 v16, s19
	v_add_co_u32_e32 v8, vcc, s18, v8
	v_addc_co_u32_e32 v9, vcc, v16, v9, vcc
	v_lshlrev_b64 v[6:7], 2, v[6:7]
	v_mov_b32_e32 v16, s23
	global_load_ushort v8, v[8:9], off
	v_add_co_u32_e32 v6, vcc, s22, v6
	v_addc_co_u32_e32 v7, vcc, v16, v7, vcc
	global_load_dword v9, v[6:7], off
	s_mov_b64 s[26:27], 0
	s_waitcnt vmcnt(1)
	v_lshlrev_b32_e32 v8, 16, v8
	v_mul_f32_e32 v16, v15, v8
.LBB261_22:                             ;   Parent Loop BB261_17 Depth=1
                                        ;     Parent Loop BB261_20 Depth=2
                                        ; =>    This Inner Loop Header: Depth=3
	s_waitcnt vmcnt(0)
	v_add_f32_e32 v8, v9, v16
	global_atomic_cmpswap v8, v[6:7], v[8:9], off glc
	s_waitcnt vmcnt(0)
	v_cmp_eq_u32_e32 vcc, v8, v9
	s_or_b64 s[26:27], vcc, s[26:27]
	v_mov_b32_e32 v9, v8
	s_andn2_b64 exec, exec, s[26:27]
	s_cbranch_execnz .LBB261_22
	s_branch .LBB261_19
.LBB261_23:
	s_endpgm
	.section	.rodata,"a",@progbits
	.p2align	6, 0x0
	.amdhsa_kernel _ZN9rocsparseL21csrmvt_general_kernelILj256ELj16Ell18rocsparse_bfloat16S1_ffEEvbbT2_NS_24const_host_device_scalarIT6_EEPKT1_S8_PKS2_PKT3_PKT4_PT5_21rocsparse_index_base_b
		.amdhsa_group_segment_fixed_size 0
		.amdhsa_private_segment_fixed_size 0
		.amdhsa_kernarg_size 336
		.amdhsa_user_sgpr_count 6
		.amdhsa_user_sgpr_private_segment_buffer 1
		.amdhsa_user_sgpr_dispatch_ptr 0
		.amdhsa_user_sgpr_queue_ptr 0
		.amdhsa_user_sgpr_kernarg_segment_ptr 1
		.amdhsa_user_sgpr_dispatch_id 0
		.amdhsa_user_sgpr_flat_scratch_init 0
		.amdhsa_user_sgpr_kernarg_preload_length 0
		.amdhsa_user_sgpr_kernarg_preload_offset 0
		.amdhsa_user_sgpr_private_segment_size 0
		.amdhsa_uses_dynamic_stack 0
		.amdhsa_system_sgpr_private_segment_wavefront_offset 0
		.amdhsa_system_sgpr_workgroup_id_x 1
		.amdhsa_system_sgpr_workgroup_id_y 0
		.amdhsa_system_sgpr_workgroup_id_z 0
		.amdhsa_system_sgpr_workgroup_info 0
		.amdhsa_system_vgpr_workitem_id 0
		.amdhsa_next_free_vgpr 21
		.amdhsa_next_free_sgpr 30
		.amdhsa_accum_offset 24
		.amdhsa_reserve_vcc 1
		.amdhsa_reserve_flat_scratch 0
		.amdhsa_float_round_mode_32 0
		.amdhsa_float_round_mode_16_64 0
		.amdhsa_float_denorm_mode_32 3
		.amdhsa_float_denorm_mode_16_64 3
		.amdhsa_dx10_clamp 1
		.amdhsa_ieee_mode 1
		.amdhsa_fp16_overflow 0
		.amdhsa_tg_split 0
		.amdhsa_exception_fp_ieee_invalid_op 0
		.amdhsa_exception_fp_denorm_src 0
		.amdhsa_exception_fp_ieee_div_zero 0
		.amdhsa_exception_fp_ieee_overflow 0
		.amdhsa_exception_fp_ieee_underflow 0
		.amdhsa_exception_fp_ieee_inexact 0
		.amdhsa_exception_int_div_zero 0
	.end_amdhsa_kernel
	.section	.text._ZN9rocsparseL21csrmvt_general_kernelILj256ELj16Ell18rocsparse_bfloat16S1_ffEEvbbT2_NS_24const_host_device_scalarIT6_EEPKT1_S8_PKS2_PKT3_PKT4_PT5_21rocsparse_index_base_b,"axG",@progbits,_ZN9rocsparseL21csrmvt_general_kernelILj256ELj16Ell18rocsparse_bfloat16S1_ffEEvbbT2_NS_24const_host_device_scalarIT6_EEPKT1_S8_PKS2_PKT3_PKT4_PT5_21rocsparse_index_base_b,comdat
.Lfunc_end261:
	.size	_ZN9rocsparseL21csrmvt_general_kernelILj256ELj16Ell18rocsparse_bfloat16S1_ffEEvbbT2_NS_24const_host_device_scalarIT6_EEPKT1_S8_PKS2_PKT3_PKT4_PT5_21rocsparse_index_base_b, .Lfunc_end261-_ZN9rocsparseL21csrmvt_general_kernelILj256ELj16Ell18rocsparse_bfloat16S1_ffEEvbbT2_NS_24const_host_device_scalarIT6_EEPKT1_S8_PKS2_PKT3_PKT4_PT5_21rocsparse_index_base_b
                                        ; -- End function
	.section	.AMDGPU.csdata,"",@progbits
; Kernel info:
; codeLenInByte = 936
; NumSgprs: 34
; NumVgprs: 21
; NumAgprs: 0
; TotalNumVgprs: 21
; ScratchSize: 0
; MemoryBound: 0
; FloatMode: 240
; IeeeMode: 1
; LDSByteSize: 0 bytes/workgroup (compile time only)
; SGPRBlocks: 4
; VGPRBlocks: 2
; NumSGPRsForWavesPerEU: 34
; NumVGPRsForWavesPerEU: 21
; AccumOffset: 24
; Occupancy: 8
; WaveLimiterHint : 1
; COMPUTE_PGM_RSRC2:SCRATCH_EN: 0
; COMPUTE_PGM_RSRC2:USER_SGPR: 6
; COMPUTE_PGM_RSRC2:TRAP_HANDLER: 0
; COMPUTE_PGM_RSRC2:TGID_X_EN: 1
; COMPUTE_PGM_RSRC2:TGID_Y_EN: 0
; COMPUTE_PGM_RSRC2:TGID_Z_EN: 0
; COMPUTE_PGM_RSRC2:TIDIG_COMP_CNT: 0
; COMPUTE_PGM_RSRC3_GFX90A:ACCUM_OFFSET: 5
; COMPUTE_PGM_RSRC3_GFX90A:TG_SPLIT: 0
	.section	.text._ZN9rocsparseL21csrmvt_general_kernelILj256ELj32Ell18rocsparse_bfloat16S1_ffEEvbbT2_NS_24const_host_device_scalarIT6_EEPKT1_S8_PKS2_PKT3_PKT4_PT5_21rocsparse_index_base_b,"axG",@progbits,_ZN9rocsparseL21csrmvt_general_kernelILj256ELj32Ell18rocsparse_bfloat16S1_ffEEvbbT2_NS_24const_host_device_scalarIT6_EEPKT1_S8_PKS2_PKT3_PKT4_PT5_21rocsparse_index_base_b,comdat
	.globl	_ZN9rocsparseL21csrmvt_general_kernelILj256ELj32Ell18rocsparse_bfloat16S1_ffEEvbbT2_NS_24const_host_device_scalarIT6_EEPKT1_S8_PKS2_PKT3_PKT4_PT5_21rocsparse_index_base_b ; -- Begin function _ZN9rocsparseL21csrmvt_general_kernelILj256ELj32Ell18rocsparse_bfloat16S1_ffEEvbbT2_NS_24const_host_device_scalarIT6_EEPKT1_S8_PKS2_PKT3_PKT4_PT5_21rocsparse_index_base_b
	.p2align	8
	.type	_ZN9rocsparseL21csrmvt_general_kernelILj256ELj32Ell18rocsparse_bfloat16S1_ffEEvbbT2_NS_24const_host_device_scalarIT6_EEPKT1_S8_PKS2_PKT3_PKT4_PT5_21rocsparse_index_base_b,@function
_ZN9rocsparseL21csrmvt_general_kernelILj256ELj32Ell18rocsparse_bfloat16S1_ffEEvbbT2_NS_24const_host_device_scalarIT6_EEPKT1_S8_PKS2_PKT3_PKT4_PT5_21rocsparse_index_base_b: ; @_ZN9rocsparseL21csrmvt_general_kernelILj256ELj32Ell18rocsparse_bfloat16S1_ffEEvbbT2_NS_24const_host_device_scalarIT6_EEPKT1_S8_PKS2_PKT3_PKT4_PT5_21rocsparse_index_base_b
; %bb.0:
	s_load_dwordx2 s[2:3], s[4:5], 0x48
	s_load_dwordx8 s[8:15], s[4:5], 0x8
	s_waitcnt lgkmcnt(0)
	s_bitcmp1_b32 s3, 0
	s_cselect_b64 s[0:1], -1, 0
	s_and_b64 vcc, exec, s[0:1]
	s_cbranch_vccnz .LBB262_2
; %bb.1:
	s_load_dword s10, s[10:11], 0x0
.LBB262_2:
	s_waitcnt lgkmcnt(0)
	v_cmp_eq_f32_e64 s[0:1], s10, 0
	s_and_b64 vcc, exec, s[0:1]
	s_cbranch_vccnz .LBB262_23
; %bb.3:
	s_load_dword s0, s[4:5], 0x0
	s_load_dword s1, s[4:5], 0x50
	s_load_dwordx8 s[16:23], s[4:5], 0x28
	v_and_b32_e32 v12, 31, v0
	v_lshl_or_b32 v0, s6, 8, v0
	s_waitcnt lgkmcnt(0)
	s_and_b32 s0, s0, 1
	s_lshl_b32 s3, s1, 3
	v_lshrrev_b32_e32 v0, 5, v0
	v_mov_b32_e32 v1, 0
	s_cmp_eq_u32 s0, 0
	v_cmp_gt_i64_e64 s[0:1], s[8:9], v[0:1]
	s_mov_b64 s[4:5], -1
	s_cbranch_scc0 .LBB262_13
; %bb.4:
	s_and_saveexec_b64 s[4:5], s[0:1]
	s_cbranch_execz .LBB262_12
; %bb.5:
	v_subrev_co_u32_e32 v13, vcc, s2, v12
	s_mov_b32 s11, 0
	v_subb_co_u32_e64 v14, s[6:7], 0, 0, vcc
	s_mov_b64 s[6:7], 0
	v_mov_b32_e32 v15, s13
	v_mov_b32_e32 v16, s15
	;; [unrolled: 1-line block ×3, first 2 shown]
	v_pk_mov_b32 v[2:3], v[0:1], v[0:1] op_sel:[0,1]
	s_branch .LBB262_7
.LBB262_6:                              ;   in Loop: Header=BB262_7 Depth=1
	s_or_b64 exec, exec, s[24:25]
	v_add_co_u32_e32 v2, vcc, s3, v2
	v_addc_co_u32_e32 v3, vcc, 0, v3, vcc
	v_cmp_le_i64_e32 vcc, s[8:9], v[2:3]
	s_or_b64 s[6:7], vcc, s[6:7]
	s_andn2_b64 exec, exec, s[6:7]
	s_cbranch_execz .LBB262_12
.LBB262_7:                              ; =>This Loop Header: Depth=1
                                        ;     Child Loop BB262_9 Depth 2
                                        ;       Child Loop BB262_10 Depth 3
	v_lshlrev_b64 v[4:5], 3, v[2:3]
	v_add_co_u32_e32 v6, vcc, s14, v4
	v_addc_co_u32_e32 v7, vcc, v16, v5, vcc
	global_load_dwordx2 v[6:7], v[6:7], off
	v_add_co_u32_e32 v4, vcc, s12, v4
	v_addc_co_u32_e32 v5, vcc, v15, v5, vcc
	global_load_dwordx2 v[8:9], v[4:5], off
	s_waitcnt vmcnt(1)
	v_subrev_co_u32_e32 v4, vcc, s2, v6
	v_subb_co_u32_e32 v5, vcc, v7, v17, vcc
	s_waitcnt vmcnt(0)
	v_add_co_u32_e32 v6, vcc, v8, v13
	v_addc_co_u32_e32 v7, vcc, v9, v14, vcc
	v_cmp_lt_i64_e32 vcc, v[6:7], v[4:5]
	s_and_saveexec_b64 s[24:25], vcc
	s_cbranch_execz .LBB262_6
; %bb.8:                                ;   in Loop: Header=BB262_7 Depth=1
	v_lshlrev_b64 v[8:9], 1, v[2:3]
	v_mov_b32_e32 v10, s21
	v_add_co_u32_e32 v8, vcc, s20, v8
	v_addc_co_u32_e32 v9, vcc, v10, v9, vcc
	global_load_ushort v8, v[8:9], off
	s_mov_b64 s[26:27], 0
	s_waitcnt vmcnt(0)
	v_lshlrev_b32_e32 v8, 16, v8
	v_mul_f32_e32 v18, s10, v8
.LBB262_9:                              ;   Parent Loop BB262_7 Depth=1
                                        ; =>  This Loop Header: Depth=2
                                        ;       Child Loop BB262_10 Depth 3
	v_lshlrev_b64 v[8:9], 3, v[6:7]
	v_mov_b32_e32 v10, s17
	v_add_co_u32_e32 v8, vcc, s16, v8
	v_addc_co_u32_e32 v9, vcc, v10, v9, vcc
	global_load_dwordx2 v[8:9], v[8:9], off
	v_lshlrev_b64 v[10:11], 1, v[6:7]
	v_mov_b32_e32 v19, s19
	v_add_co_u32_e32 v10, vcc, s18, v10
	v_addc_co_u32_e32 v11, vcc, v19, v11, vcc
	v_mov_b32_e32 v20, s23
	global_load_ushort v10, v[10:11], off
	s_mov_b64 s[28:29], 0
	s_waitcnt vmcnt(1)
	v_subrev_co_u32_e32 v8, vcc, s2, v8
	v_subb_co_u32_e32 v9, vcc, v9, v17, vcc
	v_lshlrev_b64 v[8:9], 2, v[8:9]
	v_add_co_u32_e32 v8, vcc, s22, v8
	v_addc_co_u32_e32 v9, vcc, v20, v9, vcc
	global_load_dword v11, v[8:9], off
	s_waitcnt vmcnt(1)
	v_lshlrev_b32_e32 v10, 16, v10
	v_mul_f32_e32 v19, v18, v10
.LBB262_10:                             ;   Parent Loop BB262_7 Depth=1
                                        ;     Parent Loop BB262_9 Depth=2
                                        ; =>    This Inner Loop Header: Depth=3
	s_waitcnt vmcnt(0)
	v_add_f32_e32 v10, v11, v19
	global_atomic_cmpswap v10, v[8:9], v[10:11], off glc
	s_waitcnt vmcnt(0)
	v_cmp_eq_u32_e32 vcc, v10, v11
	s_or_b64 s[28:29], vcc, s[28:29]
	v_mov_b32_e32 v11, v10
	s_andn2_b64 exec, exec, s[28:29]
	s_cbranch_execnz .LBB262_10
; %bb.11:                               ;   in Loop: Header=BB262_9 Depth=2
	s_or_b64 exec, exec, s[28:29]
	v_add_co_u32_e32 v6, vcc, 32, v6
	v_addc_co_u32_e32 v7, vcc, 0, v7, vcc
	v_cmp_ge_i64_e32 vcc, v[6:7], v[4:5]
	s_or_b64 s[26:27], vcc, s[26:27]
	s_andn2_b64 exec, exec, s[26:27]
	s_cbranch_execnz .LBB262_9
	s_branch .LBB262_6
.LBB262_12:
	s_or_b64 exec, exec, s[4:5]
	s_mov_b64 s[4:5], 0
.LBB262_13:
	s_andn2_b64 vcc, exec, s[4:5]
	s_cbranch_vccnz .LBB262_23
; %bb.14:
	s_and_saveexec_b64 s[4:5], s[0:1]
	s_cbranch_execz .LBB262_23
; %bb.15:
	v_subrev_co_u32_e32 v10, vcc, s2, v12
	s_mov_b32 s4, 0
	v_subb_co_u32_e64 v11, s[0:1], 0, 0, vcc
	s_mov_b64 s[0:1], 0
	v_mov_b32_e32 v12, s13
	v_mov_b32_e32 v13, s15
	;; [unrolled: 1-line block ×3, first 2 shown]
	s_branch .LBB262_17
.LBB262_16:                             ;   in Loop: Header=BB262_17 Depth=1
	s_or_b64 exec, exec, s[4:5]
	v_add_co_u32_e32 v0, vcc, s3, v0
	v_addc_co_u32_e32 v1, vcc, 0, v1, vcc
	v_cmp_le_i64_e32 vcc, s[8:9], v[0:1]
	s_or_b64 s[0:1], vcc, s[0:1]
	s_andn2_b64 exec, exec, s[0:1]
	s_cbranch_execz .LBB262_23
.LBB262_17:                             ; =>This Loop Header: Depth=1
                                        ;     Child Loop BB262_20 Depth 2
                                        ;       Child Loop BB262_22 Depth 3
	v_lshlrev_b64 v[2:3], 3, v[0:1]
	v_add_co_u32_e32 v4, vcc, s14, v2
	v_addc_co_u32_e32 v5, vcc, v13, v3, vcc
	global_load_dwordx2 v[4:5], v[4:5], off
	v_add_co_u32_e32 v2, vcc, s12, v2
	v_addc_co_u32_e32 v3, vcc, v12, v3, vcc
	global_load_dwordx2 v[6:7], v[2:3], off
	s_waitcnt vmcnt(1)
	v_subrev_co_u32_e32 v2, vcc, s2, v4
	v_subb_co_u32_e32 v3, vcc, v5, v14, vcc
	s_waitcnt vmcnt(0)
	v_add_co_u32_e32 v4, vcc, v6, v10
	v_addc_co_u32_e32 v5, vcc, v7, v11, vcc
	v_cmp_lt_i64_e32 vcc, v[4:5], v[2:3]
	s_and_saveexec_b64 s[4:5], vcc
	s_cbranch_execz .LBB262_16
; %bb.18:                               ;   in Loop: Header=BB262_17 Depth=1
	v_lshlrev_b64 v[6:7], 1, v[0:1]
	v_mov_b32_e32 v8, s21
	v_add_co_u32_e32 v6, vcc, s20, v6
	v_addc_co_u32_e32 v7, vcc, v8, v7, vcc
	global_load_ushort v6, v[6:7], off
	s_mov_b64 s[6:7], 0
	s_waitcnt vmcnt(0)
	v_lshlrev_b32_e32 v6, 16, v6
	v_mul_f32_e32 v15, s10, v6
	s_branch .LBB262_20
.LBB262_19:                             ;   in Loop: Header=BB262_20 Depth=2
	s_or_b64 exec, exec, s[24:25]
	v_add_co_u32_e32 v4, vcc, 32, v4
	v_addc_co_u32_e32 v5, vcc, 0, v5, vcc
	v_cmp_ge_i64_e32 vcc, v[4:5], v[2:3]
	s_or_b64 s[6:7], vcc, s[6:7]
	s_andn2_b64 exec, exec, s[6:7]
	s_cbranch_execz .LBB262_16
.LBB262_20:                             ;   Parent Loop BB262_17 Depth=1
                                        ; =>  This Loop Header: Depth=2
                                        ;       Child Loop BB262_22 Depth 3
	v_lshlrev_b64 v[6:7], 3, v[4:5]
	v_mov_b32_e32 v8, s17
	v_add_co_u32_e32 v6, vcc, s16, v6
	v_addc_co_u32_e32 v7, vcc, v8, v7, vcc
	global_load_dwordx2 v[6:7], v[6:7], off
	s_waitcnt vmcnt(0)
	v_subrev_co_u32_e32 v6, vcc, s2, v6
	v_subb_co_u32_e32 v7, vcc, v7, v14, vcc
	v_cmp_ne_u64_e32 vcc, v[6:7], v[0:1]
	s_and_saveexec_b64 s[24:25], vcc
	s_cbranch_execz .LBB262_19
; %bb.21:                               ;   in Loop: Header=BB262_20 Depth=2
	v_lshlrev_b64 v[8:9], 1, v[4:5]
	v_mov_b32_e32 v16, s19
	v_add_co_u32_e32 v8, vcc, s18, v8
	v_addc_co_u32_e32 v9, vcc, v16, v9, vcc
	v_lshlrev_b64 v[6:7], 2, v[6:7]
	v_mov_b32_e32 v16, s23
	global_load_ushort v8, v[8:9], off
	v_add_co_u32_e32 v6, vcc, s22, v6
	v_addc_co_u32_e32 v7, vcc, v16, v7, vcc
	global_load_dword v9, v[6:7], off
	s_mov_b64 s[26:27], 0
	s_waitcnt vmcnt(1)
	v_lshlrev_b32_e32 v8, 16, v8
	v_mul_f32_e32 v16, v15, v8
.LBB262_22:                             ;   Parent Loop BB262_17 Depth=1
                                        ;     Parent Loop BB262_20 Depth=2
                                        ; =>    This Inner Loop Header: Depth=3
	s_waitcnt vmcnt(0)
	v_add_f32_e32 v8, v9, v16
	global_atomic_cmpswap v8, v[6:7], v[8:9], off glc
	s_waitcnt vmcnt(0)
	v_cmp_eq_u32_e32 vcc, v8, v9
	s_or_b64 s[26:27], vcc, s[26:27]
	v_mov_b32_e32 v9, v8
	s_andn2_b64 exec, exec, s[26:27]
	s_cbranch_execnz .LBB262_22
	s_branch .LBB262_19
.LBB262_23:
	s_endpgm
	.section	.rodata,"a",@progbits
	.p2align	6, 0x0
	.amdhsa_kernel _ZN9rocsparseL21csrmvt_general_kernelILj256ELj32Ell18rocsparse_bfloat16S1_ffEEvbbT2_NS_24const_host_device_scalarIT6_EEPKT1_S8_PKS2_PKT3_PKT4_PT5_21rocsparse_index_base_b
		.amdhsa_group_segment_fixed_size 0
		.amdhsa_private_segment_fixed_size 0
		.amdhsa_kernarg_size 336
		.amdhsa_user_sgpr_count 6
		.amdhsa_user_sgpr_private_segment_buffer 1
		.amdhsa_user_sgpr_dispatch_ptr 0
		.amdhsa_user_sgpr_queue_ptr 0
		.amdhsa_user_sgpr_kernarg_segment_ptr 1
		.amdhsa_user_sgpr_dispatch_id 0
		.amdhsa_user_sgpr_flat_scratch_init 0
		.amdhsa_user_sgpr_kernarg_preload_length 0
		.amdhsa_user_sgpr_kernarg_preload_offset 0
		.amdhsa_user_sgpr_private_segment_size 0
		.amdhsa_uses_dynamic_stack 0
		.amdhsa_system_sgpr_private_segment_wavefront_offset 0
		.amdhsa_system_sgpr_workgroup_id_x 1
		.amdhsa_system_sgpr_workgroup_id_y 0
		.amdhsa_system_sgpr_workgroup_id_z 0
		.amdhsa_system_sgpr_workgroup_info 0
		.amdhsa_system_vgpr_workitem_id 0
		.amdhsa_next_free_vgpr 21
		.amdhsa_next_free_sgpr 30
		.amdhsa_accum_offset 24
		.amdhsa_reserve_vcc 1
		.amdhsa_reserve_flat_scratch 0
		.amdhsa_float_round_mode_32 0
		.amdhsa_float_round_mode_16_64 0
		.amdhsa_float_denorm_mode_32 3
		.amdhsa_float_denorm_mode_16_64 3
		.amdhsa_dx10_clamp 1
		.amdhsa_ieee_mode 1
		.amdhsa_fp16_overflow 0
		.amdhsa_tg_split 0
		.amdhsa_exception_fp_ieee_invalid_op 0
		.amdhsa_exception_fp_denorm_src 0
		.amdhsa_exception_fp_ieee_div_zero 0
		.amdhsa_exception_fp_ieee_overflow 0
		.amdhsa_exception_fp_ieee_underflow 0
		.amdhsa_exception_fp_ieee_inexact 0
		.amdhsa_exception_int_div_zero 0
	.end_amdhsa_kernel
	.section	.text._ZN9rocsparseL21csrmvt_general_kernelILj256ELj32Ell18rocsparse_bfloat16S1_ffEEvbbT2_NS_24const_host_device_scalarIT6_EEPKT1_S8_PKS2_PKT3_PKT4_PT5_21rocsparse_index_base_b,"axG",@progbits,_ZN9rocsparseL21csrmvt_general_kernelILj256ELj32Ell18rocsparse_bfloat16S1_ffEEvbbT2_NS_24const_host_device_scalarIT6_EEPKT1_S8_PKS2_PKT3_PKT4_PT5_21rocsparse_index_base_b,comdat
.Lfunc_end262:
	.size	_ZN9rocsparseL21csrmvt_general_kernelILj256ELj32Ell18rocsparse_bfloat16S1_ffEEvbbT2_NS_24const_host_device_scalarIT6_EEPKT1_S8_PKS2_PKT3_PKT4_PT5_21rocsparse_index_base_b, .Lfunc_end262-_ZN9rocsparseL21csrmvt_general_kernelILj256ELj32Ell18rocsparse_bfloat16S1_ffEEvbbT2_NS_24const_host_device_scalarIT6_EEPKT1_S8_PKS2_PKT3_PKT4_PT5_21rocsparse_index_base_b
                                        ; -- End function
	.section	.AMDGPU.csdata,"",@progbits
; Kernel info:
; codeLenInByte = 936
; NumSgprs: 34
; NumVgprs: 21
; NumAgprs: 0
; TotalNumVgprs: 21
; ScratchSize: 0
; MemoryBound: 0
; FloatMode: 240
; IeeeMode: 1
; LDSByteSize: 0 bytes/workgroup (compile time only)
; SGPRBlocks: 4
; VGPRBlocks: 2
; NumSGPRsForWavesPerEU: 34
; NumVGPRsForWavesPerEU: 21
; AccumOffset: 24
; Occupancy: 8
; WaveLimiterHint : 1
; COMPUTE_PGM_RSRC2:SCRATCH_EN: 0
; COMPUTE_PGM_RSRC2:USER_SGPR: 6
; COMPUTE_PGM_RSRC2:TRAP_HANDLER: 0
; COMPUTE_PGM_RSRC2:TGID_X_EN: 1
; COMPUTE_PGM_RSRC2:TGID_Y_EN: 0
; COMPUTE_PGM_RSRC2:TGID_Z_EN: 0
; COMPUTE_PGM_RSRC2:TIDIG_COMP_CNT: 0
; COMPUTE_PGM_RSRC3_GFX90A:ACCUM_OFFSET: 5
; COMPUTE_PGM_RSRC3_GFX90A:TG_SPLIT: 0
	.section	.text._ZN9rocsparseL21csrmvt_general_kernelILj256ELj64Ell18rocsparse_bfloat16S1_ffEEvbbT2_NS_24const_host_device_scalarIT6_EEPKT1_S8_PKS2_PKT3_PKT4_PT5_21rocsparse_index_base_b,"axG",@progbits,_ZN9rocsparseL21csrmvt_general_kernelILj256ELj64Ell18rocsparse_bfloat16S1_ffEEvbbT2_NS_24const_host_device_scalarIT6_EEPKT1_S8_PKS2_PKT3_PKT4_PT5_21rocsparse_index_base_b,comdat
	.globl	_ZN9rocsparseL21csrmvt_general_kernelILj256ELj64Ell18rocsparse_bfloat16S1_ffEEvbbT2_NS_24const_host_device_scalarIT6_EEPKT1_S8_PKS2_PKT3_PKT4_PT5_21rocsparse_index_base_b ; -- Begin function _ZN9rocsparseL21csrmvt_general_kernelILj256ELj64Ell18rocsparse_bfloat16S1_ffEEvbbT2_NS_24const_host_device_scalarIT6_EEPKT1_S8_PKS2_PKT3_PKT4_PT5_21rocsparse_index_base_b
	.p2align	8
	.type	_ZN9rocsparseL21csrmvt_general_kernelILj256ELj64Ell18rocsparse_bfloat16S1_ffEEvbbT2_NS_24const_host_device_scalarIT6_EEPKT1_S8_PKS2_PKT3_PKT4_PT5_21rocsparse_index_base_b,@function
_ZN9rocsparseL21csrmvt_general_kernelILj256ELj64Ell18rocsparse_bfloat16S1_ffEEvbbT2_NS_24const_host_device_scalarIT6_EEPKT1_S8_PKS2_PKT3_PKT4_PT5_21rocsparse_index_base_b: ; @_ZN9rocsparseL21csrmvt_general_kernelILj256ELj64Ell18rocsparse_bfloat16S1_ffEEvbbT2_NS_24const_host_device_scalarIT6_EEPKT1_S8_PKS2_PKT3_PKT4_PT5_21rocsparse_index_base_b
; %bb.0:
	s_load_dwordx2 s[2:3], s[4:5], 0x48
	s_load_dwordx8 s[8:15], s[4:5], 0x8
	s_waitcnt lgkmcnt(0)
	s_bitcmp1_b32 s3, 0
	s_cselect_b64 s[0:1], -1, 0
	s_and_b64 vcc, exec, s[0:1]
	s_cbranch_vccnz .LBB263_2
; %bb.1:
	s_load_dword s10, s[10:11], 0x0
.LBB263_2:
	s_waitcnt lgkmcnt(0)
	v_cmp_eq_f32_e64 s[0:1], s10, 0
	s_and_b64 vcc, exec, s[0:1]
	s_cbranch_vccnz .LBB263_23
; %bb.3:
	s_load_dword s0, s[4:5], 0x0
	s_load_dword s1, s[4:5], 0x50
	s_load_dwordx8 s[16:23], s[4:5], 0x28
	v_and_b32_e32 v12, 63, v0
	v_lshl_or_b32 v0, s6, 8, v0
	s_waitcnt lgkmcnt(0)
	s_and_b32 s0, s0, 1
	s_lshl_b32 s3, s1, 2
	v_lshrrev_b32_e32 v0, 6, v0
	v_mov_b32_e32 v1, 0
	s_cmp_eq_u32 s0, 0
	v_cmp_gt_i64_e64 s[0:1], s[8:9], v[0:1]
	s_mov_b64 s[4:5], -1
	s_cbranch_scc0 .LBB263_13
; %bb.4:
	s_and_saveexec_b64 s[4:5], s[0:1]
	s_cbranch_execz .LBB263_12
; %bb.5:
	v_subrev_co_u32_e32 v13, vcc, s2, v12
	s_mov_b32 s11, 0
	v_subb_co_u32_e64 v14, s[6:7], 0, 0, vcc
	s_mov_b64 s[6:7], 0
	v_mov_b32_e32 v15, s13
	v_mov_b32_e32 v16, s15
	;; [unrolled: 1-line block ×3, first 2 shown]
	v_pk_mov_b32 v[2:3], v[0:1], v[0:1] op_sel:[0,1]
	s_branch .LBB263_7
.LBB263_6:                              ;   in Loop: Header=BB263_7 Depth=1
	s_or_b64 exec, exec, s[24:25]
	v_add_co_u32_e32 v2, vcc, s3, v2
	v_addc_co_u32_e32 v3, vcc, 0, v3, vcc
	v_cmp_le_i64_e32 vcc, s[8:9], v[2:3]
	s_or_b64 s[6:7], vcc, s[6:7]
	s_andn2_b64 exec, exec, s[6:7]
	s_cbranch_execz .LBB263_12
.LBB263_7:                              ; =>This Loop Header: Depth=1
                                        ;     Child Loop BB263_9 Depth 2
                                        ;       Child Loop BB263_10 Depth 3
	v_lshlrev_b64 v[4:5], 3, v[2:3]
	v_add_co_u32_e32 v6, vcc, s14, v4
	v_addc_co_u32_e32 v7, vcc, v16, v5, vcc
	global_load_dwordx2 v[6:7], v[6:7], off
	v_add_co_u32_e32 v4, vcc, s12, v4
	v_addc_co_u32_e32 v5, vcc, v15, v5, vcc
	global_load_dwordx2 v[8:9], v[4:5], off
	s_waitcnt vmcnt(1)
	v_subrev_co_u32_e32 v4, vcc, s2, v6
	v_subb_co_u32_e32 v5, vcc, v7, v17, vcc
	s_waitcnt vmcnt(0)
	v_add_co_u32_e32 v6, vcc, v8, v13
	v_addc_co_u32_e32 v7, vcc, v9, v14, vcc
	v_cmp_lt_i64_e32 vcc, v[6:7], v[4:5]
	s_and_saveexec_b64 s[24:25], vcc
	s_cbranch_execz .LBB263_6
; %bb.8:                                ;   in Loop: Header=BB263_7 Depth=1
	v_lshlrev_b64 v[8:9], 1, v[2:3]
	v_mov_b32_e32 v10, s21
	v_add_co_u32_e32 v8, vcc, s20, v8
	v_addc_co_u32_e32 v9, vcc, v10, v9, vcc
	global_load_ushort v8, v[8:9], off
	s_mov_b64 s[26:27], 0
	s_waitcnt vmcnt(0)
	v_lshlrev_b32_e32 v8, 16, v8
	v_mul_f32_e32 v18, s10, v8
.LBB263_9:                              ;   Parent Loop BB263_7 Depth=1
                                        ; =>  This Loop Header: Depth=2
                                        ;       Child Loop BB263_10 Depth 3
	v_lshlrev_b64 v[8:9], 3, v[6:7]
	v_mov_b32_e32 v10, s17
	v_add_co_u32_e32 v8, vcc, s16, v8
	v_addc_co_u32_e32 v9, vcc, v10, v9, vcc
	global_load_dwordx2 v[8:9], v[8:9], off
	v_lshlrev_b64 v[10:11], 1, v[6:7]
	v_mov_b32_e32 v19, s19
	v_add_co_u32_e32 v10, vcc, s18, v10
	v_addc_co_u32_e32 v11, vcc, v19, v11, vcc
	v_mov_b32_e32 v20, s23
	global_load_ushort v10, v[10:11], off
	s_mov_b64 s[28:29], 0
	s_waitcnt vmcnt(1)
	v_subrev_co_u32_e32 v8, vcc, s2, v8
	v_subb_co_u32_e32 v9, vcc, v9, v17, vcc
	v_lshlrev_b64 v[8:9], 2, v[8:9]
	v_add_co_u32_e32 v8, vcc, s22, v8
	v_addc_co_u32_e32 v9, vcc, v20, v9, vcc
	global_load_dword v11, v[8:9], off
	s_waitcnt vmcnt(1)
	v_lshlrev_b32_e32 v10, 16, v10
	v_mul_f32_e32 v19, v18, v10
.LBB263_10:                             ;   Parent Loop BB263_7 Depth=1
                                        ;     Parent Loop BB263_9 Depth=2
                                        ; =>    This Inner Loop Header: Depth=3
	s_waitcnt vmcnt(0)
	v_add_f32_e32 v10, v11, v19
	global_atomic_cmpswap v10, v[8:9], v[10:11], off glc
	s_waitcnt vmcnt(0)
	v_cmp_eq_u32_e32 vcc, v10, v11
	s_or_b64 s[28:29], vcc, s[28:29]
	v_mov_b32_e32 v11, v10
	s_andn2_b64 exec, exec, s[28:29]
	s_cbranch_execnz .LBB263_10
; %bb.11:                               ;   in Loop: Header=BB263_9 Depth=2
	s_or_b64 exec, exec, s[28:29]
	v_add_co_u32_e32 v6, vcc, 64, v6
	v_addc_co_u32_e32 v7, vcc, 0, v7, vcc
	v_cmp_ge_i64_e32 vcc, v[6:7], v[4:5]
	s_or_b64 s[26:27], vcc, s[26:27]
	s_andn2_b64 exec, exec, s[26:27]
	s_cbranch_execnz .LBB263_9
	s_branch .LBB263_6
.LBB263_12:
	s_or_b64 exec, exec, s[4:5]
	s_mov_b64 s[4:5], 0
.LBB263_13:
	s_andn2_b64 vcc, exec, s[4:5]
	s_cbranch_vccnz .LBB263_23
; %bb.14:
	s_and_saveexec_b64 s[4:5], s[0:1]
	s_cbranch_execz .LBB263_23
; %bb.15:
	v_subrev_co_u32_e32 v10, vcc, s2, v12
	s_mov_b32 s4, 0
	v_subb_co_u32_e64 v11, s[0:1], 0, 0, vcc
	s_mov_b64 s[0:1], 0
	v_mov_b32_e32 v12, s13
	v_mov_b32_e32 v13, s15
	;; [unrolled: 1-line block ×3, first 2 shown]
	s_branch .LBB263_17
.LBB263_16:                             ;   in Loop: Header=BB263_17 Depth=1
	s_or_b64 exec, exec, s[4:5]
	v_add_co_u32_e32 v0, vcc, s3, v0
	v_addc_co_u32_e32 v1, vcc, 0, v1, vcc
	v_cmp_le_i64_e32 vcc, s[8:9], v[0:1]
	s_or_b64 s[0:1], vcc, s[0:1]
	s_andn2_b64 exec, exec, s[0:1]
	s_cbranch_execz .LBB263_23
.LBB263_17:                             ; =>This Loop Header: Depth=1
                                        ;     Child Loop BB263_20 Depth 2
                                        ;       Child Loop BB263_22 Depth 3
	v_lshlrev_b64 v[2:3], 3, v[0:1]
	v_add_co_u32_e32 v4, vcc, s14, v2
	v_addc_co_u32_e32 v5, vcc, v13, v3, vcc
	global_load_dwordx2 v[4:5], v[4:5], off
	v_add_co_u32_e32 v2, vcc, s12, v2
	v_addc_co_u32_e32 v3, vcc, v12, v3, vcc
	global_load_dwordx2 v[6:7], v[2:3], off
	s_waitcnt vmcnt(1)
	v_subrev_co_u32_e32 v2, vcc, s2, v4
	v_subb_co_u32_e32 v3, vcc, v5, v14, vcc
	s_waitcnt vmcnt(0)
	v_add_co_u32_e32 v4, vcc, v6, v10
	v_addc_co_u32_e32 v5, vcc, v7, v11, vcc
	v_cmp_lt_i64_e32 vcc, v[4:5], v[2:3]
	s_and_saveexec_b64 s[4:5], vcc
	s_cbranch_execz .LBB263_16
; %bb.18:                               ;   in Loop: Header=BB263_17 Depth=1
	v_lshlrev_b64 v[6:7], 1, v[0:1]
	v_mov_b32_e32 v8, s21
	v_add_co_u32_e32 v6, vcc, s20, v6
	v_addc_co_u32_e32 v7, vcc, v8, v7, vcc
	global_load_ushort v6, v[6:7], off
	s_mov_b64 s[6:7], 0
	s_waitcnt vmcnt(0)
	v_lshlrev_b32_e32 v6, 16, v6
	v_mul_f32_e32 v15, s10, v6
	s_branch .LBB263_20
.LBB263_19:                             ;   in Loop: Header=BB263_20 Depth=2
	s_or_b64 exec, exec, s[24:25]
	v_add_co_u32_e32 v4, vcc, 64, v4
	v_addc_co_u32_e32 v5, vcc, 0, v5, vcc
	v_cmp_ge_i64_e32 vcc, v[4:5], v[2:3]
	s_or_b64 s[6:7], vcc, s[6:7]
	s_andn2_b64 exec, exec, s[6:7]
	s_cbranch_execz .LBB263_16
.LBB263_20:                             ;   Parent Loop BB263_17 Depth=1
                                        ; =>  This Loop Header: Depth=2
                                        ;       Child Loop BB263_22 Depth 3
	v_lshlrev_b64 v[6:7], 3, v[4:5]
	v_mov_b32_e32 v8, s17
	v_add_co_u32_e32 v6, vcc, s16, v6
	v_addc_co_u32_e32 v7, vcc, v8, v7, vcc
	global_load_dwordx2 v[6:7], v[6:7], off
	s_waitcnt vmcnt(0)
	v_subrev_co_u32_e32 v6, vcc, s2, v6
	v_subb_co_u32_e32 v7, vcc, v7, v14, vcc
	v_cmp_ne_u64_e32 vcc, v[6:7], v[0:1]
	s_and_saveexec_b64 s[24:25], vcc
	s_cbranch_execz .LBB263_19
; %bb.21:                               ;   in Loop: Header=BB263_20 Depth=2
	v_lshlrev_b64 v[8:9], 1, v[4:5]
	v_mov_b32_e32 v16, s19
	v_add_co_u32_e32 v8, vcc, s18, v8
	v_addc_co_u32_e32 v9, vcc, v16, v9, vcc
	v_lshlrev_b64 v[6:7], 2, v[6:7]
	v_mov_b32_e32 v16, s23
	global_load_ushort v8, v[8:9], off
	v_add_co_u32_e32 v6, vcc, s22, v6
	v_addc_co_u32_e32 v7, vcc, v16, v7, vcc
	global_load_dword v9, v[6:7], off
	s_mov_b64 s[26:27], 0
	s_waitcnt vmcnt(1)
	v_lshlrev_b32_e32 v8, 16, v8
	v_mul_f32_e32 v16, v15, v8
.LBB263_22:                             ;   Parent Loop BB263_17 Depth=1
                                        ;     Parent Loop BB263_20 Depth=2
                                        ; =>    This Inner Loop Header: Depth=3
	s_waitcnt vmcnt(0)
	v_add_f32_e32 v8, v9, v16
	global_atomic_cmpswap v8, v[6:7], v[8:9], off glc
	s_waitcnt vmcnt(0)
	v_cmp_eq_u32_e32 vcc, v8, v9
	s_or_b64 s[26:27], vcc, s[26:27]
	v_mov_b32_e32 v9, v8
	s_andn2_b64 exec, exec, s[26:27]
	s_cbranch_execnz .LBB263_22
	s_branch .LBB263_19
.LBB263_23:
	s_endpgm
	.section	.rodata,"a",@progbits
	.p2align	6, 0x0
	.amdhsa_kernel _ZN9rocsparseL21csrmvt_general_kernelILj256ELj64Ell18rocsparse_bfloat16S1_ffEEvbbT2_NS_24const_host_device_scalarIT6_EEPKT1_S8_PKS2_PKT3_PKT4_PT5_21rocsparse_index_base_b
		.amdhsa_group_segment_fixed_size 0
		.amdhsa_private_segment_fixed_size 0
		.amdhsa_kernarg_size 336
		.amdhsa_user_sgpr_count 6
		.amdhsa_user_sgpr_private_segment_buffer 1
		.amdhsa_user_sgpr_dispatch_ptr 0
		.amdhsa_user_sgpr_queue_ptr 0
		.amdhsa_user_sgpr_kernarg_segment_ptr 1
		.amdhsa_user_sgpr_dispatch_id 0
		.amdhsa_user_sgpr_flat_scratch_init 0
		.amdhsa_user_sgpr_kernarg_preload_length 0
		.amdhsa_user_sgpr_kernarg_preload_offset 0
		.amdhsa_user_sgpr_private_segment_size 0
		.amdhsa_uses_dynamic_stack 0
		.amdhsa_system_sgpr_private_segment_wavefront_offset 0
		.amdhsa_system_sgpr_workgroup_id_x 1
		.amdhsa_system_sgpr_workgroup_id_y 0
		.amdhsa_system_sgpr_workgroup_id_z 0
		.amdhsa_system_sgpr_workgroup_info 0
		.amdhsa_system_vgpr_workitem_id 0
		.amdhsa_next_free_vgpr 21
		.amdhsa_next_free_sgpr 30
		.amdhsa_accum_offset 24
		.amdhsa_reserve_vcc 1
		.amdhsa_reserve_flat_scratch 0
		.amdhsa_float_round_mode_32 0
		.amdhsa_float_round_mode_16_64 0
		.amdhsa_float_denorm_mode_32 3
		.amdhsa_float_denorm_mode_16_64 3
		.amdhsa_dx10_clamp 1
		.amdhsa_ieee_mode 1
		.amdhsa_fp16_overflow 0
		.amdhsa_tg_split 0
		.amdhsa_exception_fp_ieee_invalid_op 0
		.amdhsa_exception_fp_denorm_src 0
		.amdhsa_exception_fp_ieee_div_zero 0
		.amdhsa_exception_fp_ieee_overflow 0
		.amdhsa_exception_fp_ieee_underflow 0
		.amdhsa_exception_fp_ieee_inexact 0
		.amdhsa_exception_int_div_zero 0
	.end_amdhsa_kernel
	.section	.text._ZN9rocsparseL21csrmvt_general_kernelILj256ELj64Ell18rocsparse_bfloat16S1_ffEEvbbT2_NS_24const_host_device_scalarIT6_EEPKT1_S8_PKS2_PKT3_PKT4_PT5_21rocsparse_index_base_b,"axG",@progbits,_ZN9rocsparseL21csrmvt_general_kernelILj256ELj64Ell18rocsparse_bfloat16S1_ffEEvbbT2_NS_24const_host_device_scalarIT6_EEPKT1_S8_PKS2_PKT3_PKT4_PT5_21rocsparse_index_base_b,comdat
.Lfunc_end263:
	.size	_ZN9rocsparseL21csrmvt_general_kernelILj256ELj64Ell18rocsparse_bfloat16S1_ffEEvbbT2_NS_24const_host_device_scalarIT6_EEPKT1_S8_PKS2_PKT3_PKT4_PT5_21rocsparse_index_base_b, .Lfunc_end263-_ZN9rocsparseL21csrmvt_general_kernelILj256ELj64Ell18rocsparse_bfloat16S1_ffEEvbbT2_NS_24const_host_device_scalarIT6_EEPKT1_S8_PKS2_PKT3_PKT4_PT5_21rocsparse_index_base_b
                                        ; -- End function
	.section	.AMDGPU.csdata,"",@progbits
; Kernel info:
; codeLenInByte = 936
; NumSgprs: 34
; NumVgprs: 21
; NumAgprs: 0
; TotalNumVgprs: 21
; ScratchSize: 0
; MemoryBound: 0
; FloatMode: 240
; IeeeMode: 1
; LDSByteSize: 0 bytes/workgroup (compile time only)
; SGPRBlocks: 4
; VGPRBlocks: 2
; NumSGPRsForWavesPerEU: 34
; NumVGPRsForWavesPerEU: 21
; AccumOffset: 24
; Occupancy: 8
; WaveLimiterHint : 1
; COMPUTE_PGM_RSRC2:SCRATCH_EN: 0
; COMPUTE_PGM_RSRC2:USER_SGPR: 6
; COMPUTE_PGM_RSRC2:TRAP_HANDLER: 0
; COMPUTE_PGM_RSRC2:TGID_X_EN: 1
; COMPUTE_PGM_RSRC2:TGID_Y_EN: 0
; COMPUTE_PGM_RSRC2:TGID_Z_EN: 0
; COMPUTE_PGM_RSRC2:TIDIG_COMP_CNT: 0
; COMPUTE_PGM_RSRC3_GFX90A:ACCUM_OFFSET: 5
; COMPUTE_PGM_RSRC3_GFX90A:TG_SPLIT: 0
	.section	.text._ZN9rocsparseL21csrmvn_general_kernelILj256ELj2Eiif21rocsparse_complex_numIfES2_S2_EEvbT2_NS_24const_host_device_scalarIT6_EEPKT1_S9_PKS3_PKT3_PKT4_S6_PT5_21rocsparse_index_base_b,"axG",@progbits,_ZN9rocsparseL21csrmvn_general_kernelILj256ELj2Eiif21rocsparse_complex_numIfES2_S2_EEvbT2_NS_24const_host_device_scalarIT6_EEPKT1_S9_PKS3_PKT3_PKT4_S6_PT5_21rocsparse_index_base_b,comdat
	.globl	_ZN9rocsparseL21csrmvn_general_kernelILj256ELj2Eiif21rocsparse_complex_numIfES2_S2_EEvbT2_NS_24const_host_device_scalarIT6_EEPKT1_S9_PKS3_PKT3_PKT4_S6_PT5_21rocsparse_index_base_b ; -- Begin function _ZN9rocsparseL21csrmvn_general_kernelILj256ELj2Eiif21rocsparse_complex_numIfES2_S2_EEvbT2_NS_24const_host_device_scalarIT6_EEPKT1_S9_PKS3_PKT3_PKT4_S6_PT5_21rocsparse_index_base_b
	.p2align	8
	.type	_ZN9rocsparseL21csrmvn_general_kernelILj256ELj2Eiif21rocsparse_complex_numIfES2_S2_EEvbT2_NS_24const_host_device_scalarIT6_EEPKT1_S9_PKS3_PKT3_PKT4_S6_PT5_21rocsparse_index_base_b,@function
_ZN9rocsparseL21csrmvn_general_kernelILj256ELj2Eiif21rocsparse_complex_numIfES2_S2_EEvbT2_NS_24const_host_device_scalarIT6_EEPKT1_S9_PKS3_PKT3_PKT4_S6_PT5_21rocsparse_index_base_b: ; @_ZN9rocsparseL21csrmvn_general_kernelILj256ELj2Eiif21rocsparse_complex_numIfES2_S2_EEvbT2_NS_24const_host_device_scalarIT6_EEPKT1_S9_PKS3_PKT3_PKT4_S6_PT5_21rocsparse_index_base_b
; %bb.0:
	s_load_dwordx2 s[20:21], s[4:5], 0x48
	s_load_dwordx4 s[16:19], s[4:5], 0x8
	s_load_dwordx2 s[2:3], s[4:5], 0x38
	s_waitcnt lgkmcnt(0)
	s_bitcmp1_b32 s21, 0
	s_cselect_b64 s[0:1], -1, 0
	s_xor_b64 s[8:9], s[0:1], -1
	s_and_b64 vcc, exec, s[0:1]
	v_mov_b32_e32 v2, s16
	s_cbranch_vccnz .LBB264_2
; %bb.1:
	v_pk_mov_b32 v[2:3], s[16:17], s[16:17] op_sel:[0,1]
	flat_load_dword v2, v[2:3]
.LBB264_2:
	v_cndmask_b32_e64 v1, 0, 1, s[8:9]
	v_cmp_ne_u32_e64 s[0:1], 1, v1
	s_andn2_b64 vcc, exec, s[8:9]
	v_mov_b32_e32 v3, s17
	s_cbranch_vccz .LBB264_21
; %bb.3:
	s_and_b64 vcc, exec, s[0:1]
	v_mov_b32_e32 v4, s2
	s_cbranch_vccz .LBB264_22
.LBB264_4:
	s_and_b64 vcc, exec, s[0:1]
	v_mov_b32_e32 v5, s3
	s_cbranch_vccnz .LBB264_6
.LBB264_5:
	v_pk_mov_b32 v[6:7], s[2:3], s[2:3] op_sel:[0,1]
	flat_load_dword v5, v[6:7] offset:4
.LBB264_6:
	s_waitcnt vmcnt(0) lgkmcnt(0)
	v_or_b32_e32 v1, v2, v3
	v_and_b32_e32 v1, 0x7fffffff, v1
	v_cmp_eq_u32_e32 vcc, 0, v1
	s_mov_b64 s[0:1], -1
	s_and_saveexec_b64 s[2:3], vcc
; %bb.7:
	v_and_b32_e32 v1, 0x7fffffff, v5
	v_cmp_neq_f32_e32 vcc, 1.0, v4
	v_cmp_ne_u32_e64 s[0:1], 0, v1
	s_or_b64 s[0:1], vcc, s[0:1]
	s_orn2_b64 s[0:1], s[0:1], exec
; %bb.8:
	s_or_b64 exec, exec, s[2:3]
	s_and_saveexec_b64 s[2:3], s[0:1]
	s_cbranch_execz .LBB264_20
; %bb.9:
	s_load_dword s22, s[4:5], 0x4
	v_lshl_or_b32 v1, s6, 8, v0
	v_lshrrev_b32_e32 v6, 1, v1
	s_waitcnt lgkmcnt(0)
	v_cmp_gt_i32_e32 vcc, s22, v6
	s_and_b64 exec, exec, vcc
	s_cbranch_execz .LBB264_20
; %bb.10:
	s_load_dword s0, s[4:5], 0x50
	s_load_dwordx2 s[6:7], s[4:5], 0x40
	s_load_dwordx8 s[8:15], s[4:5], 0x18
	s_ashr_i32 s21, s20, 31
	v_and_b32_e32 v7, 1, v0
	s_waitcnt lgkmcnt(0)
	s_lshl_b32 s23, s0, 7
	s_mov_b32 s0, 0
	s_brev_b32 s1, 1
	v_pk_mul_f32 v[8:9], v[2:3], s[0:1]
	s_lshl_b64 s[0:1], s[20:21], 3
	v_subrev_u32_e32 v14, s20, v7
	s_sub_u32 s21, s14, s0
	v_cmp_eq_u32_e32 vcc, 1, v7
	v_and_b32_e32 v7, 0x7fffffff, v4
	s_subb_u32 s24, s15, s1
	v_cmp_ne_u32_e64 s[0:1], 0, v7
	v_cmp_neq_f32_e64 s[2:3], 0, v5
	v_mov_b32_e32 v0, v9
	v_mov_b32_e32 v1, v8
	s_or_b64 s[2:3], s[0:1], s[2:3]
	v_xor_b32_e32 v8, 0x80000000, v5
	v_mov_b32_e32 v9, v4
	s_mov_b64 s[4:5], 0
	v_mov_b32_e32 v15, s19
	v_mov_b32_e32 v16, s9
	s_branch .LBB264_13
.LBB264_11:                             ;   in Loop: Header=BB264_13 Depth=1
	s_or_b64 exec, exec, s[0:1]
	global_store_dwordx2 v[12:13], v[10:11], off
.LBB264_12:                             ;   in Loop: Header=BB264_13 Depth=1
	s_or_b64 exec, exec, s[14:15]
	v_add_u32_e32 v6, s23, v6
	v_cmp_le_i32_e64 s[0:1], s22, v6
	s_or_b64 s[4:5], s[0:1], s[4:5]
	s_andn2_b64 exec, exec, s[4:5]
	s_cbranch_execz .LBB264_20
.LBB264_13:                             ; =>This Loop Header: Depth=1
                                        ;     Child Loop BB264_15 Depth 2
	v_ashrrev_i32_e32 v7, 31, v6
	v_lshlrev_b64 v[10:11], 2, v[6:7]
	v_add_co_u32_e64 v12, s[0:1], s18, v10
	v_addc_co_u32_e64 v13, s[0:1], v15, v11, s[0:1]
	v_add_co_u32_e64 v10, s[0:1], s8, v10
	v_addc_co_u32_e64 v11, s[0:1], v16, v11, s[0:1]
	global_load_dword v17, v[10:11], off
	global_load_dword v18, v[12:13], off
	v_mov_b32_e32 v11, 0
	v_mov_b32_e32 v10, v11
	s_waitcnt vmcnt(1)
	v_subrev_u32_e32 v17, s20, v17
	s_waitcnt vmcnt(0)
	v_add_u32_e32 v12, v18, v14
	v_cmp_lt_i32_e64 s[0:1], v12, v17
	s_and_saveexec_b64 s[14:15], s[0:1]
	s_cbranch_execz .LBB264_17
; %bb.14:                               ;   in Loop: Header=BB264_13 Depth=1
	v_mov_b32_e32 v10, 0
	s_mov_b64 s[16:17], 0
	v_mov_b32_e32 v11, v10
.LBB264_15:                             ;   Parent Loop BB264_13 Depth=1
                                        ; =>  This Inner Loop Header: Depth=2
	v_ashrrev_i32_e32 v13, 31, v12
	v_lshlrev_b64 v[18:19], 2, v[12:13]
	v_mov_b32_e32 v21, s11
	v_add_co_u32_e64 v20, s[0:1], s10, v18
	v_addc_co_u32_e64 v21, s[0:1], v21, v19, s[0:1]
	global_load_dword v20, v[20:21], off
	v_mov_b32_e32 v13, s13
	v_add_co_u32_e64 v18, s[0:1], s12, v18
	v_addc_co_u32_e64 v19, s[0:1], v13, v19, s[0:1]
	v_mov_b32_e32 v22, s24
	global_load_dword v18, v[18:19], off
	v_add_u32_e32 v12, 2, v12
	s_waitcnt vmcnt(1)
	v_ashrrev_i32_e32 v21, 31, v20
	v_lshlrev_b64 v[20:21], 3, v[20:21]
	v_add_co_u32_e64 v20, s[0:1], s21, v20
	v_addc_co_u32_e64 v21, s[0:1], v22, v21, s[0:1]
	global_load_dwordx2 v[20:21], v[20:21], off
	s_waitcnt vmcnt(1)
	v_pk_fma_f32 v[18:19], v[2:3], v[18:19], v[0:1] op_sel_hi:[1,0,1]
	v_cmp_ge_i32_e64 s[0:1], v12, v17
	s_or_b64 s[16:17], s[0:1], s[16:17]
	s_waitcnt vmcnt(0)
	v_pk_fma_f32 v[10:11], v[18:19], v[20:21], v[10:11] op_sel_hi:[1,0,1]
	v_pk_fma_f32 v[10:11], v[18:19], v[20:21], v[10:11] op_sel:[1,1,0] op_sel_hi:[0,1,1] neg_lo:[1,0,0]
	s_andn2_b64 exec, exec, s[16:17]
	s_cbranch_execnz .LBB264_15
; %bb.16:                               ;   in Loop: Header=BB264_13 Depth=1
	s_or_b64 exec, exec, s[16:17]
.LBB264_17:                             ;   in Loop: Header=BB264_13 Depth=1
	s_or_b64 exec, exec, s[14:15]
	v_mov_b32_dpp v12, v10 row_shr:1 row_mask:0xf bank_mask:0xf
	v_mov_b32_dpp v13, v11 row_shr:1 row_mask:0xf bank_mask:0xf
	s_and_saveexec_b64 s[14:15], vcc
	s_cbranch_execz .LBB264_12
; %bb.18:                               ;   in Loop: Header=BB264_13 Depth=1
	v_pk_add_f32 v[10:11], v[10:11], v[12:13]
	v_lshlrev_b64 v[12:13], 3, v[6:7]
	v_mov_b32_e32 v7, s7
	v_add_co_u32_e64 v12, s[0:1], s6, v12
	v_addc_co_u32_e64 v13, s[0:1], v7, v13, s[0:1]
	s_and_saveexec_b64 s[0:1], s[2:3]
	s_cbranch_execz .LBB264_11
; %bb.19:                               ;   in Loop: Header=BB264_13 Depth=1
	global_load_dwordx2 v[18:19], v[12:13], off
	s_waitcnt vmcnt(0)
	v_pk_fma_f32 v[10:11], v[4:5], v[18:19], v[10:11] op_sel_hi:[1,0,1]
	v_pk_fma_f32 v[10:11], v[8:9], v[18:19], v[10:11] op_sel:[0,1,0]
	s_branch .LBB264_11
.LBB264_20:
	s_endpgm
.LBB264_21:
	v_pk_mov_b32 v[4:5], s[16:17], s[16:17] op_sel:[0,1]
	flat_load_dword v3, v[4:5] offset:4
	s_and_b64 vcc, exec, s[0:1]
	v_mov_b32_e32 v4, s2
	s_cbranch_vccnz .LBB264_4
.LBB264_22:
	v_pk_mov_b32 v[4:5], s[2:3], s[2:3] op_sel:[0,1]
	flat_load_dword v4, v[4:5]
	s_and_b64 vcc, exec, s[0:1]
	v_mov_b32_e32 v5, s3
	s_cbranch_vccz .LBB264_5
	s_branch .LBB264_6
	.section	.rodata,"a",@progbits
	.p2align	6, 0x0
	.amdhsa_kernel _ZN9rocsparseL21csrmvn_general_kernelILj256ELj2Eiif21rocsparse_complex_numIfES2_S2_EEvbT2_NS_24const_host_device_scalarIT6_EEPKT1_S9_PKS3_PKT3_PKT4_S6_PT5_21rocsparse_index_base_b
		.amdhsa_group_segment_fixed_size 0
		.amdhsa_private_segment_fixed_size 0
		.amdhsa_kernarg_size 336
		.amdhsa_user_sgpr_count 6
		.amdhsa_user_sgpr_private_segment_buffer 1
		.amdhsa_user_sgpr_dispatch_ptr 0
		.amdhsa_user_sgpr_queue_ptr 0
		.amdhsa_user_sgpr_kernarg_segment_ptr 1
		.amdhsa_user_sgpr_dispatch_id 0
		.amdhsa_user_sgpr_flat_scratch_init 0
		.amdhsa_user_sgpr_kernarg_preload_length 0
		.amdhsa_user_sgpr_kernarg_preload_offset 0
		.amdhsa_user_sgpr_private_segment_size 0
		.amdhsa_uses_dynamic_stack 0
		.amdhsa_system_sgpr_private_segment_wavefront_offset 0
		.amdhsa_system_sgpr_workgroup_id_x 1
		.amdhsa_system_sgpr_workgroup_id_y 0
		.amdhsa_system_sgpr_workgroup_id_z 0
		.amdhsa_system_sgpr_workgroup_info 0
		.amdhsa_system_vgpr_workitem_id 0
		.amdhsa_next_free_vgpr 23
		.amdhsa_next_free_sgpr 25
		.amdhsa_accum_offset 24
		.amdhsa_reserve_vcc 1
		.amdhsa_reserve_flat_scratch 0
		.amdhsa_float_round_mode_32 0
		.amdhsa_float_round_mode_16_64 0
		.amdhsa_float_denorm_mode_32 3
		.amdhsa_float_denorm_mode_16_64 3
		.amdhsa_dx10_clamp 1
		.amdhsa_ieee_mode 1
		.amdhsa_fp16_overflow 0
		.amdhsa_tg_split 0
		.amdhsa_exception_fp_ieee_invalid_op 0
		.amdhsa_exception_fp_denorm_src 0
		.amdhsa_exception_fp_ieee_div_zero 0
		.amdhsa_exception_fp_ieee_overflow 0
		.amdhsa_exception_fp_ieee_underflow 0
		.amdhsa_exception_fp_ieee_inexact 0
		.amdhsa_exception_int_div_zero 0
	.end_amdhsa_kernel
	.section	.text._ZN9rocsparseL21csrmvn_general_kernelILj256ELj2Eiif21rocsparse_complex_numIfES2_S2_EEvbT2_NS_24const_host_device_scalarIT6_EEPKT1_S9_PKS3_PKT3_PKT4_S6_PT5_21rocsparse_index_base_b,"axG",@progbits,_ZN9rocsparseL21csrmvn_general_kernelILj256ELj2Eiif21rocsparse_complex_numIfES2_S2_EEvbT2_NS_24const_host_device_scalarIT6_EEPKT1_S9_PKS3_PKT3_PKT4_S6_PT5_21rocsparse_index_base_b,comdat
.Lfunc_end264:
	.size	_ZN9rocsparseL21csrmvn_general_kernelILj256ELj2Eiif21rocsparse_complex_numIfES2_S2_EEvbT2_NS_24const_host_device_scalarIT6_EEPKT1_S9_PKS3_PKT3_PKT4_S6_PT5_21rocsparse_index_base_b, .Lfunc_end264-_ZN9rocsparseL21csrmvn_general_kernelILj256ELj2Eiif21rocsparse_complex_numIfES2_S2_EEvbT2_NS_24const_host_device_scalarIT6_EEPKT1_S9_PKS3_PKT3_PKT4_S6_PT5_21rocsparse_index_base_b
                                        ; -- End function
	.section	.AMDGPU.csdata,"",@progbits
; Kernel info:
; codeLenInByte = 872
; NumSgprs: 29
; NumVgprs: 23
; NumAgprs: 0
; TotalNumVgprs: 23
; ScratchSize: 0
; MemoryBound: 0
; FloatMode: 240
; IeeeMode: 1
; LDSByteSize: 0 bytes/workgroup (compile time only)
; SGPRBlocks: 3
; VGPRBlocks: 2
; NumSGPRsForWavesPerEU: 29
; NumVGPRsForWavesPerEU: 23
; AccumOffset: 24
; Occupancy: 8
; WaveLimiterHint : 1
; COMPUTE_PGM_RSRC2:SCRATCH_EN: 0
; COMPUTE_PGM_RSRC2:USER_SGPR: 6
; COMPUTE_PGM_RSRC2:TRAP_HANDLER: 0
; COMPUTE_PGM_RSRC2:TGID_X_EN: 1
; COMPUTE_PGM_RSRC2:TGID_Y_EN: 0
; COMPUTE_PGM_RSRC2:TGID_Z_EN: 0
; COMPUTE_PGM_RSRC2:TIDIG_COMP_CNT: 0
; COMPUTE_PGM_RSRC3_GFX90A:ACCUM_OFFSET: 5
; COMPUTE_PGM_RSRC3_GFX90A:TG_SPLIT: 0
	.section	.text._ZN9rocsparseL21csrmvn_general_kernelILj256ELj4Eiif21rocsparse_complex_numIfES2_S2_EEvbT2_NS_24const_host_device_scalarIT6_EEPKT1_S9_PKS3_PKT3_PKT4_S6_PT5_21rocsparse_index_base_b,"axG",@progbits,_ZN9rocsparseL21csrmvn_general_kernelILj256ELj4Eiif21rocsparse_complex_numIfES2_S2_EEvbT2_NS_24const_host_device_scalarIT6_EEPKT1_S9_PKS3_PKT3_PKT4_S6_PT5_21rocsparse_index_base_b,comdat
	.globl	_ZN9rocsparseL21csrmvn_general_kernelILj256ELj4Eiif21rocsparse_complex_numIfES2_S2_EEvbT2_NS_24const_host_device_scalarIT6_EEPKT1_S9_PKS3_PKT3_PKT4_S6_PT5_21rocsparse_index_base_b ; -- Begin function _ZN9rocsparseL21csrmvn_general_kernelILj256ELj4Eiif21rocsparse_complex_numIfES2_S2_EEvbT2_NS_24const_host_device_scalarIT6_EEPKT1_S9_PKS3_PKT3_PKT4_S6_PT5_21rocsparse_index_base_b
	.p2align	8
	.type	_ZN9rocsparseL21csrmvn_general_kernelILj256ELj4Eiif21rocsparse_complex_numIfES2_S2_EEvbT2_NS_24const_host_device_scalarIT6_EEPKT1_S9_PKS3_PKT3_PKT4_S6_PT5_21rocsparse_index_base_b,@function
_ZN9rocsparseL21csrmvn_general_kernelILj256ELj4Eiif21rocsparse_complex_numIfES2_S2_EEvbT2_NS_24const_host_device_scalarIT6_EEPKT1_S9_PKS3_PKT3_PKT4_S6_PT5_21rocsparse_index_base_b: ; @_ZN9rocsparseL21csrmvn_general_kernelILj256ELj4Eiif21rocsparse_complex_numIfES2_S2_EEvbT2_NS_24const_host_device_scalarIT6_EEPKT1_S9_PKS3_PKT3_PKT4_S6_PT5_21rocsparse_index_base_b
; %bb.0:
	s_load_dwordx2 s[20:21], s[4:5], 0x48
	s_load_dwordx4 s[16:19], s[4:5], 0x8
	s_load_dwordx2 s[2:3], s[4:5], 0x38
	s_waitcnt lgkmcnt(0)
	s_bitcmp1_b32 s21, 0
	s_cselect_b64 s[0:1], -1, 0
	s_xor_b64 s[8:9], s[0:1], -1
	s_and_b64 vcc, exec, s[0:1]
	v_mov_b32_e32 v2, s16
	s_cbranch_vccnz .LBB265_2
; %bb.1:
	v_pk_mov_b32 v[2:3], s[16:17], s[16:17] op_sel:[0,1]
	flat_load_dword v2, v[2:3]
.LBB265_2:
	v_cndmask_b32_e64 v1, 0, 1, s[8:9]
	v_cmp_ne_u32_e64 s[0:1], 1, v1
	s_andn2_b64 vcc, exec, s[8:9]
	v_mov_b32_e32 v3, s17
	s_cbranch_vccz .LBB265_21
; %bb.3:
	s_and_b64 vcc, exec, s[0:1]
	v_mov_b32_e32 v4, s2
	s_cbranch_vccz .LBB265_22
.LBB265_4:
	s_and_b64 vcc, exec, s[0:1]
	v_mov_b32_e32 v5, s3
	s_cbranch_vccnz .LBB265_6
.LBB265_5:
	v_pk_mov_b32 v[6:7], s[2:3], s[2:3] op_sel:[0,1]
	flat_load_dword v5, v[6:7] offset:4
.LBB265_6:
	s_waitcnt vmcnt(0) lgkmcnt(0)
	v_or_b32_e32 v1, v2, v3
	v_and_b32_e32 v1, 0x7fffffff, v1
	v_cmp_eq_u32_e32 vcc, 0, v1
	s_mov_b64 s[0:1], -1
	s_and_saveexec_b64 s[2:3], vcc
; %bb.7:
	v_and_b32_e32 v1, 0x7fffffff, v5
	v_cmp_neq_f32_e32 vcc, 1.0, v4
	v_cmp_ne_u32_e64 s[0:1], 0, v1
	s_or_b64 s[0:1], vcc, s[0:1]
	s_orn2_b64 s[0:1], s[0:1], exec
; %bb.8:
	s_or_b64 exec, exec, s[2:3]
	s_and_saveexec_b64 s[2:3], s[0:1]
	s_cbranch_execz .LBB265_20
; %bb.9:
	s_load_dword s22, s[4:5], 0x4
	v_lshl_or_b32 v1, s6, 8, v0
	v_lshrrev_b32_e32 v6, 2, v1
	s_waitcnt lgkmcnt(0)
	v_cmp_gt_i32_e32 vcc, s22, v6
	s_and_b64 exec, exec, vcc
	s_cbranch_execz .LBB265_20
; %bb.10:
	s_load_dword s0, s[4:5], 0x50
	s_load_dwordx2 s[6:7], s[4:5], 0x40
	s_load_dwordx8 s[8:15], s[4:5], 0x18
	s_ashr_i32 s21, s20, 31
	v_and_b32_e32 v7, 3, v0
	s_waitcnt lgkmcnt(0)
	s_lshl_b32 s23, s0, 6
	s_mov_b32 s0, 0
	s_brev_b32 s1, 1
	v_pk_mul_f32 v[8:9], v[2:3], s[0:1]
	s_lshl_b64 s[0:1], s[20:21], 3
	v_subrev_u32_e32 v14, s20, v7
	s_sub_u32 s21, s14, s0
	v_cmp_eq_u32_e32 vcc, 3, v7
	v_and_b32_e32 v7, 0x7fffffff, v4
	s_subb_u32 s24, s15, s1
	v_cmp_ne_u32_e64 s[0:1], 0, v7
	v_cmp_neq_f32_e64 s[2:3], 0, v5
	v_mov_b32_e32 v0, v9
	v_mov_b32_e32 v1, v8
	s_or_b64 s[2:3], s[0:1], s[2:3]
	v_xor_b32_e32 v8, 0x80000000, v5
	v_mov_b32_e32 v9, v4
	s_mov_b64 s[4:5], 0
	v_mov_b32_e32 v15, s19
	v_mov_b32_e32 v16, s9
	s_branch .LBB265_13
.LBB265_11:                             ;   in Loop: Header=BB265_13 Depth=1
	s_or_b64 exec, exec, s[0:1]
	global_store_dwordx2 v[12:13], v[10:11], off
.LBB265_12:                             ;   in Loop: Header=BB265_13 Depth=1
	s_or_b64 exec, exec, s[14:15]
	v_add_u32_e32 v6, s23, v6
	v_cmp_le_i32_e64 s[0:1], s22, v6
	s_or_b64 s[4:5], s[0:1], s[4:5]
	s_andn2_b64 exec, exec, s[4:5]
	s_cbranch_execz .LBB265_20
.LBB265_13:                             ; =>This Loop Header: Depth=1
                                        ;     Child Loop BB265_15 Depth 2
	v_ashrrev_i32_e32 v7, 31, v6
	v_lshlrev_b64 v[10:11], 2, v[6:7]
	v_add_co_u32_e64 v12, s[0:1], s18, v10
	v_addc_co_u32_e64 v13, s[0:1], v15, v11, s[0:1]
	v_add_co_u32_e64 v10, s[0:1], s8, v10
	v_addc_co_u32_e64 v11, s[0:1], v16, v11, s[0:1]
	global_load_dword v17, v[10:11], off
	global_load_dword v18, v[12:13], off
	v_mov_b32_e32 v11, 0
	v_mov_b32_e32 v10, v11
	s_waitcnt vmcnt(1)
	v_subrev_u32_e32 v17, s20, v17
	s_waitcnt vmcnt(0)
	v_add_u32_e32 v12, v18, v14
	v_cmp_lt_i32_e64 s[0:1], v12, v17
	s_and_saveexec_b64 s[14:15], s[0:1]
	s_cbranch_execz .LBB265_17
; %bb.14:                               ;   in Loop: Header=BB265_13 Depth=1
	v_mov_b32_e32 v10, 0
	s_mov_b64 s[16:17], 0
	v_mov_b32_e32 v11, v10
.LBB265_15:                             ;   Parent Loop BB265_13 Depth=1
                                        ; =>  This Inner Loop Header: Depth=2
	v_ashrrev_i32_e32 v13, 31, v12
	v_lshlrev_b64 v[18:19], 2, v[12:13]
	v_mov_b32_e32 v21, s11
	v_add_co_u32_e64 v20, s[0:1], s10, v18
	v_addc_co_u32_e64 v21, s[0:1], v21, v19, s[0:1]
	global_load_dword v20, v[20:21], off
	v_mov_b32_e32 v13, s13
	v_add_co_u32_e64 v18, s[0:1], s12, v18
	v_addc_co_u32_e64 v19, s[0:1], v13, v19, s[0:1]
	v_mov_b32_e32 v22, s24
	global_load_dword v18, v[18:19], off
	v_add_u32_e32 v12, 4, v12
	s_waitcnt vmcnt(1)
	v_ashrrev_i32_e32 v21, 31, v20
	v_lshlrev_b64 v[20:21], 3, v[20:21]
	v_add_co_u32_e64 v20, s[0:1], s21, v20
	v_addc_co_u32_e64 v21, s[0:1], v22, v21, s[0:1]
	global_load_dwordx2 v[20:21], v[20:21], off
	s_waitcnt vmcnt(1)
	v_pk_fma_f32 v[18:19], v[2:3], v[18:19], v[0:1] op_sel_hi:[1,0,1]
	v_cmp_ge_i32_e64 s[0:1], v12, v17
	s_or_b64 s[16:17], s[0:1], s[16:17]
	s_waitcnt vmcnt(0)
	v_pk_fma_f32 v[10:11], v[18:19], v[20:21], v[10:11] op_sel_hi:[1,0,1]
	v_pk_fma_f32 v[10:11], v[18:19], v[20:21], v[10:11] op_sel:[1,1,0] op_sel_hi:[0,1,1] neg_lo:[1,0,0]
	s_andn2_b64 exec, exec, s[16:17]
	s_cbranch_execnz .LBB265_15
; %bb.16:                               ;   in Loop: Header=BB265_13 Depth=1
	s_or_b64 exec, exec, s[16:17]
.LBB265_17:                             ;   in Loop: Header=BB265_13 Depth=1
	s_or_b64 exec, exec, s[14:15]
	v_mov_b32_dpp v12, v10 row_shr:1 row_mask:0xf bank_mask:0xf
	v_mov_b32_dpp v13, v11 row_shr:1 row_mask:0xf bank_mask:0xf
	v_pk_add_f32 v[10:11], v[10:11], v[12:13]
	s_nop 1
	v_mov_b32_dpp v12, v10 row_shr:2 row_mask:0xf bank_mask:0xf
	v_mov_b32_dpp v13, v11 row_shr:2 row_mask:0xf bank_mask:0xf
	s_and_saveexec_b64 s[14:15], vcc
	s_cbranch_execz .LBB265_12
; %bb.18:                               ;   in Loop: Header=BB265_13 Depth=1
	v_pk_add_f32 v[10:11], v[10:11], v[12:13]
	v_lshlrev_b64 v[12:13], 3, v[6:7]
	v_mov_b32_e32 v7, s7
	v_add_co_u32_e64 v12, s[0:1], s6, v12
	v_addc_co_u32_e64 v13, s[0:1], v7, v13, s[0:1]
	s_and_saveexec_b64 s[0:1], s[2:3]
	s_cbranch_execz .LBB265_11
; %bb.19:                               ;   in Loop: Header=BB265_13 Depth=1
	global_load_dwordx2 v[18:19], v[12:13], off
	s_waitcnt vmcnt(0)
	v_pk_fma_f32 v[10:11], v[4:5], v[18:19], v[10:11] op_sel_hi:[1,0,1]
	v_pk_fma_f32 v[10:11], v[8:9], v[18:19], v[10:11] op_sel:[0,1,0]
	s_branch .LBB265_11
.LBB265_20:
	s_endpgm
.LBB265_21:
	v_pk_mov_b32 v[4:5], s[16:17], s[16:17] op_sel:[0,1]
	flat_load_dword v3, v[4:5] offset:4
	s_and_b64 vcc, exec, s[0:1]
	v_mov_b32_e32 v4, s2
	s_cbranch_vccnz .LBB265_4
.LBB265_22:
	v_pk_mov_b32 v[4:5], s[2:3], s[2:3] op_sel:[0,1]
	flat_load_dword v4, v[4:5]
	s_and_b64 vcc, exec, s[0:1]
	v_mov_b32_e32 v5, s3
	s_cbranch_vccz .LBB265_5
	s_branch .LBB265_6
	.section	.rodata,"a",@progbits
	.p2align	6, 0x0
	.amdhsa_kernel _ZN9rocsparseL21csrmvn_general_kernelILj256ELj4Eiif21rocsparse_complex_numIfES2_S2_EEvbT2_NS_24const_host_device_scalarIT6_EEPKT1_S9_PKS3_PKT3_PKT4_S6_PT5_21rocsparse_index_base_b
		.amdhsa_group_segment_fixed_size 0
		.amdhsa_private_segment_fixed_size 0
		.amdhsa_kernarg_size 336
		.amdhsa_user_sgpr_count 6
		.amdhsa_user_sgpr_private_segment_buffer 1
		.amdhsa_user_sgpr_dispatch_ptr 0
		.amdhsa_user_sgpr_queue_ptr 0
		.amdhsa_user_sgpr_kernarg_segment_ptr 1
		.amdhsa_user_sgpr_dispatch_id 0
		.amdhsa_user_sgpr_flat_scratch_init 0
		.amdhsa_user_sgpr_kernarg_preload_length 0
		.amdhsa_user_sgpr_kernarg_preload_offset 0
		.amdhsa_user_sgpr_private_segment_size 0
		.amdhsa_uses_dynamic_stack 0
		.amdhsa_system_sgpr_private_segment_wavefront_offset 0
		.amdhsa_system_sgpr_workgroup_id_x 1
		.amdhsa_system_sgpr_workgroup_id_y 0
		.amdhsa_system_sgpr_workgroup_id_z 0
		.amdhsa_system_sgpr_workgroup_info 0
		.amdhsa_system_vgpr_workitem_id 0
		.amdhsa_next_free_vgpr 23
		.amdhsa_next_free_sgpr 25
		.amdhsa_accum_offset 24
		.amdhsa_reserve_vcc 1
		.amdhsa_reserve_flat_scratch 0
		.amdhsa_float_round_mode_32 0
		.amdhsa_float_round_mode_16_64 0
		.amdhsa_float_denorm_mode_32 3
		.amdhsa_float_denorm_mode_16_64 3
		.amdhsa_dx10_clamp 1
		.amdhsa_ieee_mode 1
		.amdhsa_fp16_overflow 0
		.amdhsa_tg_split 0
		.amdhsa_exception_fp_ieee_invalid_op 0
		.amdhsa_exception_fp_denorm_src 0
		.amdhsa_exception_fp_ieee_div_zero 0
		.amdhsa_exception_fp_ieee_overflow 0
		.amdhsa_exception_fp_ieee_underflow 0
		.amdhsa_exception_fp_ieee_inexact 0
		.amdhsa_exception_int_div_zero 0
	.end_amdhsa_kernel
	.section	.text._ZN9rocsparseL21csrmvn_general_kernelILj256ELj4Eiif21rocsparse_complex_numIfES2_S2_EEvbT2_NS_24const_host_device_scalarIT6_EEPKT1_S9_PKS3_PKT3_PKT4_S6_PT5_21rocsparse_index_base_b,"axG",@progbits,_ZN9rocsparseL21csrmvn_general_kernelILj256ELj4Eiif21rocsparse_complex_numIfES2_S2_EEvbT2_NS_24const_host_device_scalarIT6_EEPKT1_S9_PKS3_PKT3_PKT4_S6_PT5_21rocsparse_index_base_b,comdat
.Lfunc_end265:
	.size	_ZN9rocsparseL21csrmvn_general_kernelILj256ELj4Eiif21rocsparse_complex_numIfES2_S2_EEvbT2_NS_24const_host_device_scalarIT6_EEPKT1_S9_PKS3_PKT3_PKT4_S6_PT5_21rocsparse_index_base_b, .Lfunc_end265-_ZN9rocsparseL21csrmvn_general_kernelILj256ELj4Eiif21rocsparse_complex_numIfES2_S2_EEvbT2_NS_24const_host_device_scalarIT6_EEPKT1_S9_PKS3_PKT3_PKT4_S6_PT5_21rocsparse_index_base_b
                                        ; -- End function
	.section	.AMDGPU.csdata,"",@progbits
; Kernel info:
; codeLenInByte = 900
; NumSgprs: 29
; NumVgprs: 23
; NumAgprs: 0
; TotalNumVgprs: 23
; ScratchSize: 0
; MemoryBound: 0
; FloatMode: 240
; IeeeMode: 1
; LDSByteSize: 0 bytes/workgroup (compile time only)
; SGPRBlocks: 3
; VGPRBlocks: 2
; NumSGPRsForWavesPerEU: 29
; NumVGPRsForWavesPerEU: 23
; AccumOffset: 24
; Occupancy: 8
; WaveLimiterHint : 1
; COMPUTE_PGM_RSRC2:SCRATCH_EN: 0
; COMPUTE_PGM_RSRC2:USER_SGPR: 6
; COMPUTE_PGM_RSRC2:TRAP_HANDLER: 0
; COMPUTE_PGM_RSRC2:TGID_X_EN: 1
; COMPUTE_PGM_RSRC2:TGID_Y_EN: 0
; COMPUTE_PGM_RSRC2:TGID_Z_EN: 0
; COMPUTE_PGM_RSRC2:TIDIG_COMP_CNT: 0
; COMPUTE_PGM_RSRC3_GFX90A:ACCUM_OFFSET: 5
; COMPUTE_PGM_RSRC3_GFX90A:TG_SPLIT: 0
	.section	.text._ZN9rocsparseL21csrmvn_general_kernelILj256ELj8Eiif21rocsparse_complex_numIfES2_S2_EEvbT2_NS_24const_host_device_scalarIT6_EEPKT1_S9_PKS3_PKT3_PKT4_S6_PT5_21rocsparse_index_base_b,"axG",@progbits,_ZN9rocsparseL21csrmvn_general_kernelILj256ELj8Eiif21rocsparse_complex_numIfES2_S2_EEvbT2_NS_24const_host_device_scalarIT6_EEPKT1_S9_PKS3_PKT3_PKT4_S6_PT5_21rocsparse_index_base_b,comdat
	.globl	_ZN9rocsparseL21csrmvn_general_kernelILj256ELj8Eiif21rocsparse_complex_numIfES2_S2_EEvbT2_NS_24const_host_device_scalarIT6_EEPKT1_S9_PKS3_PKT3_PKT4_S6_PT5_21rocsparse_index_base_b ; -- Begin function _ZN9rocsparseL21csrmvn_general_kernelILj256ELj8Eiif21rocsparse_complex_numIfES2_S2_EEvbT2_NS_24const_host_device_scalarIT6_EEPKT1_S9_PKS3_PKT3_PKT4_S6_PT5_21rocsparse_index_base_b
	.p2align	8
	.type	_ZN9rocsparseL21csrmvn_general_kernelILj256ELj8Eiif21rocsparse_complex_numIfES2_S2_EEvbT2_NS_24const_host_device_scalarIT6_EEPKT1_S9_PKS3_PKT3_PKT4_S6_PT5_21rocsparse_index_base_b,@function
_ZN9rocsparseL21csrmvn_general_kernelILj256ELj8Eiif21rocsparse_complex_numIfES2_S2_EEvbT2_NS_24const_host_device_scalarIT6_EEPKT1_S9_PKS3_PKT3_PKT4_S6_PT5_21rocsparse_index_base_b: ; @_ZN9rocsparseL21csrmvn_general_kernelILj256ELj8Eiif21rocsparse_complex_numIfES2_S2_EEvbT2_NS_24const_host_device_scalarIT6_EEPKT1_S9_PKS3_PKT3_PKT4_S6_PT5_21rocsparse_index_base_b
; %bb.0:
	s_load_dwordx2 s[20:21], s[4:5], 0x48
	s_load_dwordx4 s[16:19], s[4:5], 0x8
	s_load_dwordx2 s[2:3], s[4:5], 0x38
	s_waitcnt lgkmcnt(0)
	s_bitcmp1_b32 s21, 0
	s_cselect_b64 s[0:1], -1, 0
	s_xor_b64 s[8:9], s[0:1], -1
	s_and_b64 vcc, exec, s[0:1]
	v_mov_b32_e32 v2, s16
	s_cbranch_vccnz .LBB266_2
; %bb.1:
	v_pk_mov_b32 v[2:3], s[16:17], s[16:17] op_sel:[0,1]
	flat_load_dword v2, v[2:3]
.LBB266_2:
	v_cndmask_b32_e64 v1, 0, 1, s[8:9]
	v_cmp_ne_u32_e64 s[0:1], 1, v1
	s_andn2_b64 vcc, exec, s[8:9]
	v_mov_b32_e32 v3, s17
	s_cbranch_vccz .LBB266_21
; %bb.3:
	s_and_b64 vcc, exec, s[0:1]
	v_mov_b32_e32 v4, s2
	s_cbranch_vccz .LBB266_22
.LBB266_4:
	s_and_b64 vcc, exec, s[0:1]
	v_mov_b32_e32 v5, s3
	s_cbranch_vccnz .LBB266_6
.LBB266_5:
	v_pk_mov_b32 v[6:7], s[2:3], s[2:3] op_sel:[0,1]
	flat_load_dword v5, v[6:7] offset:4
.LBB266_6:
	s_waitcnt vmcnt(0) lgkmcnt(0)
	v_or_b32_e32 v1, v2, v3
	v_and_b32_e32 v1, 0x7fffffff, v1
	v_cmp_eq_u32_e32 vcc, 0, v1
	s_mov_b64 s[0:1], -1
	s_and_saveexec_b64 s[2:3], vcc
; %bb.7:
	v_and_b32_e32 v1, 0x7fffffff, v5
	v_cmp_neq_f32_e32 vcc, 1.0, v4
	v_cmp_ne_u32_e64 s[0:1], 0, v1
	s_or_b64 s[0:1], vcc, s[0:1]
	s_orn2_b64 s[0:1], s[0:1], exec
; %bb.8:
	s_or_b64 exec, exec, s[2:3]
	s_and_saveexec_b64 s[2:3], s[0:1]
	s_cbranch_execz .LBB266_20
; %bb.9:
	s_load_dword s22, s[4:5], 0x4
	v_lshl_or_b32 v1, s6, 8, v0
	v_lshrrev_b32_e32 v6, 3, v1
	s_waitcnt lgkmcnt(0)
	v_cmp_gt_i32_e32 vcc, s22, v6
	s_and_b64 exec, exec, vcc
	s_cbranch_execz .LBB266_20
; %bb.10:
	s_load_dword s0, s[4:5], 0x50
	s_load_dwordx2 s[6:7], s[4:5], 0x40
	s_load_dwordx8 s[8:15], s[4:5], 0x18
	s_ashr_i32 s21, s20, 31
	v_and_b32_e32 v7, 7, v0
	s_waitcnt lgkmcnt(0)
	s_lshl_b32 s23, s0, 5
	s_mov_b32 s0, 0
	s_brev_b32 s1, 1
	v_pk_mul_f32 v[8:9], v[2:3], s[0:1]
	s_lshl_b64 s[0:1], s[20:21], 3
	v_subrev_u32_e32 v14, s20, v7
	s_sub_u32 s21, s14, s0
	v_cmp_eq_u32_e32 vcc, 7, v7
	v_and_b32_e32 v7, 0x7fffffff, v4
	s_subb_u32 s24, s15, s1
	v_cmp_ne_u32_e64 s[0:1], 0, v7
	v_cmp_neq_f32_e64 s[2:3], 0, v5
	v_mov_b32_e32 v0, v9
	v_mov_b32_e32 v1, v8
	s_or_b64 s[2:3], s[0:1], s[2:3]
	v_xor_b32_e32 v8, 0x80000000, v5
	v_mov_b32_e32 v9, v4
	s_mov_b64 s[4:5], 0
	v_mov_b32_e32 v15, s19
	v_mov_b32_e32 v16, s9
	s_branch .LBB266_13
.LBB266_11:                             ;   in Loop: Header=BB266_13 Depth=1
	s_or_b64 exec, exec, s[0:1]
	global_store_dwordx2 v[12:13], v[10:11], off
.LBB266_12:                             ;   in Loop: Header=BB266_13 Depth=1
	s_or_b64 exec, exec, s[14:15]
	v_add_u32_e32 v6, s23, v6
	v_cmp_le_i32_e64 s[0:1], s22, v6
	s_or_b64 s[4:5], s[0:1], s[4:5]
	s_andn2_b64 exec, exec, s[4:5]
	s_cbranch_execz .LBB266_20
.LBB266_13:                             ; =>This Loop Header: Depth=1
                                        ;     Child Loop BB266_15 Depth 2
	v_ashrrev_i32_e32 v7, 31, v6
	v_lshlrev_b64 v[10:11], 2, v[6:7]
	v_add_co_u32_e64 v12, s[0:1], s18, v10
	v_addc_co_u32_e64 v13, s[0:1], v15, v11, s[0:1]
	v_add_co_u32_e64 v10, s[0:1], s8, v10
	v_addc_co_u32_e64 v11, s[0:1], v16, v11, s[0:1]
	global_load_dword v17, v[10:11], off
	global_load_dword v18, v[12:13], off
	v_mov_b32_e32 v11, 0
	v_mov_b32_e32 v10, v11
	s_waitcnt vmcnt(1)
	v_subrev_u32_e32 v17, s20, v17
	s_waitcnt vmcnt(0)
	v_add_u32_e32 v12, v18, v14
	v_cmp_lt_i32_e64 s[0:1], v12, v17
	s_and_saveexec_b64 s[14:15], s[0:1]
	s_cbranch_execz .LBB266_17
; %bb.14:                               ;   in Loop: Header=BB266_13 Depth=1
	v_mov_b32_e32 v10, 0
	s_mov_b64 s[16:17], 0
	v_mov_b32_e32 v11, v10
.LBB266_15:                             ;   Parent Loop BB266_13 Depth=1
                                        ; =>  This Inner Loop Header: Depth=2
	v_ashrrev_i32_e32 v13, 31, v12
	v_lshlrev_b64 v[18:19], 2, v[12:13]
	v_mov_b32_e32 v21, s11
	v_add_co_u32_e64 v20, s[0:1], s10, v18
	v_addc_co_u32_e64 v21, s[0:1], v21, v19, s[0:1]
	global_load_dword v20, v[20:21], off
	v_mov_b32_e32 v13, s13
	v_add_co_u32_e64 v18, s[0:1], s12, v18
	v_addc_co_u32_e64 v19, s[0:1], v13, v19, s[0:1]
	v_mov_b32_e32 v22, s24
	global_load_dword v18, v[18:19], off
	v_add_u32_e32 v12, 8, v12
	s_waitcnt vmcnt(1)
	v_ashrrev_i32_e32 v21, 31, v20
	v_lshlrev_b64 v[20:21], 3, v[20:21]
	v_add_co_u32_e64 v20, s[0:1], s21, v20
	v_addc_co_u32_e64 v21, s[0:1], v22, v21, s[0:1]
	global_load_dwordx2 v[20:21], v[20:21], off
	s_waitcnt vmcnt(1)
	v_pk_fma_f32 v[18:19], v[2:3], v[18:19], v[0:1] op_sel_hi:[1,0,1]
	v_cmp_ge_i32_e64 s[0:1], v12, v17
	s_or_b64 s[16:17], s[0:1], s[16:17]
	s_waitcnt vmcnt(0)
	v_pk_fma_f32 v[10:11], v[18:19], v[20:21], v[10:11] op_sel_hi:[1,0,1]
	v_pk_fma_f32 v[10:11], v[18:19], v[20:21], v[10:11] op_sel:[1,1,0] op_sel_hi:[0,1,1] neg_lo:[1,0,0]
	s_andn2_b64 exec, exec, s[16:17]
	s_cbranch_execnz .LBB266_15
; %bb.16:                               ;   in Loop: Header=BB266_13 Depth=1
	s_or_b64 exec, exec, s[16:17]
.LBB266_17:                             ;   in Loop: Header=BB266_13 Depth=1
	s_or_b64 exec, exec, s[14:15]
	v_mov_b32_dpp v12, v10 row_shr:1 row_mask:0xf bank_mask:0xf
	v_mov_b32_dpp v13, v11 row_shr:1 row_mask:0xf bank_mask:0xf
	v_pk_add_f32 v[10:11], v[10:11], v[12:13]
	s_nop 1
	v_mov_b32_dpp v12, v10 row_shr:2 row_mask:0xf bank_mask:0xf
	v_mov_b32_dpp v13, v11 row_shr:2 row_mask:0xf bank_mask:0xf
	v_pk_add_f32 v[10:11], v[10:11], v[12:13]
	s_nop 1
	v_mov_b32_dpp v12, v10 row_shr:4 row_mask:0xf bank_mask:0xe
	v_mov_b32_dpp v13, v11 row_shr:4 row_mask:0xf bank_mask:0xe
	s_and_saveexec_b64 s[14:15], vcc
	s_cbranch_execz .LBB266_12
; %bb.18:                               ;   in Loop: Header=BB266_13 Depth=1
	v_pk_add_f32 v[10:11], v[10:11], v[12:13]
	v_lshlrev_b64 v[12:13], 3, v[6:7]
	v_mov_b32_e32 v7, s7
	v_add_co_u32_e64 v12, s[0:1], s6, v12
	v_addc_co_u32_e64 v13, s[0:1], v7, v13, s[0:1]
	s_and_saveexec_b64 s[0:1], s[2:3]
	s_cbranch_execz .LBB266_11
; %bb.19:                               ;   in Loop: Header=BB266_13 Depth=1
	global_load_dwordx2 v[18:19], v[12:13], off
	s_waitcnt vmcnt(0)
	v_pk_fma_f32 v[10:11], v[4:5], v[18:19], v[10:11] op_sel_hi:[1,0,1]
	v_pk_fma_f32 v[10:11], v[8:9], v[18:19], v[10:11] op_sel:[0,1,0]
	s_branch .LBB266_11
.LBB266_20:
	s_endpgm
.LBB266_21:
	v_pk_mov_b32 v[4:5], s[16:17], s[16:17] op_sel:[0,1]
	flat_load_dword v3, v[4:5] offset:4
	s_and_b64 vcc, exec, s[0:1]
	v_mov_b32_e32 v4, s2
	s_cbranch_vccnz .LBB266_4
.LBB266_22:
	v_pk_mov_b32 v[4:5], s[2:3], s[2:3] op_sel:[0,1]
	flat_load_dword v4, v[4:5]
	s_and_b64 vcc, exec, s[0:1]
	v_mov_b32_e32 v5, s3
	s_cbranch_vccz .LBB266_5
	s_branch .LBB266_6
	.section	.rodata,"a",@progbits
	.p2align	6, 0x0
	.amdhsa_kernel _ZN9rocsparseL21csrmvn_general_kernelILj256ELj8Eiif21rocsparse_complex_numIfES2_S2_EEvbT2_NS_24const_host_device_scalarIT6_EEPKT1_S9_PKS3_PKT3_PKT4_S6_PT5_21rocsparse_index_base_b
		.amdhsa_group_segment_fixed_size 0
		.amdhsa_private_segment_fixed_size 0
		.amdhsa_kernarg_size 336
		.amdhsa_user_sgpr_count 6
		.amdhsa_user_sgpr_private_segment_buffer 1
		.amdhsa_user_sgpr_dispatch_ptr 0
		.amdhsa_user_sgpr_queue_ptr 0
		.amdhsa_user_sgpr_kernarg_segment_ptr 1
		.amdhsa_user_sgpr_dispatch_id 0
		.amdhsa_user_sgpr_flat_scratch_init 0
		.amdhsa_user_sgpr_kernarg_preload_length 0
		.amdhsa_user_sgpr_kernarg_preload_offset 0
		.amdhsa_user_sgpr_private_segment_size 0
		.amdhsa_uses_dynamic_stack 0
		.amdhsa_system_sgpr_private_segment_wavefront_offset 0
		.amdhsa_system_sgpr_workgroup_id_x 1
		.amdhsa_system_sgpr_workgroup_id_y 0
		.amdhsa_system_sgpr_workgroup_id_z 0
		.amdhsa_system_sgpr_workgroup_info 0
		.amdhsa_system_vgpr_workitem_id 0
		.amdhsa_next_free_vgpr 23
		.amdhsa_next_free_sgpr 25
		.amdhsa_accum_offset 24
		.amdhsa_reserve_vcc 1
		.amdhsa_reserve_flat_scratch 0
		.amdhsa_float_round_mode_32 0
		.amdhsa_float_round_mode_16_64 0
		.amdhsa_float_denorm_mode_32 3
		.amdhsa_float_denorm_mode_16_64 3
		.amdhsa_dx10_clamp 1
		.amdhsa_ieee_mode 1
		.amdhsa_fp16_overflow 0
		.amdhsa_tg_split 0
		.amdhsa_exception_fp_ieee_invalid_op 0
		.amdhsa_exception_fp_denorm_src 0
		.amdhsa_exception_fp_ieee_div_zero 0
		.amdhsa_exception_fp_ieee_overflow 0
		.amdhsa_exception_fp_ieee_underflow 0
		.amdhsa_exception_fp_ieee_inexact 0
		.amdhsa_exception_int_div_zero 0
	.end_amdhsa_kernel
	.section	.text._ZN9rocsparseL21csrmvn_general_kernelILj256ELj8Eiif21rocsparse_complex_numIfES2_S2_EEvbT2_NS_24const_host_device_scalarIT6_EEPKT1_S9_PKS3_PKT3_PKT4_S6_PT5_21rocsparse_index_base_b,"axG",@progbits,_ZN9rocsparseL21csrmvn_general_kernelILj256ELj8Eiif21rocsparse_complex_numIfES2_S2_EEvbT2_NS_24const_host_device_scalarIT6_EEPKT1_S9_PKS3_PKT3_PKT4_S6_PT5_21rocsparse_index_base_b,comdat
.Lfunc_end266:
	.size	_ZN9rocsparseL21csrmvn_general_kernelILj256ELj8Eiif21rocsparse_complex_numIfES2_S2_EEvbT2_NS_24const_host_device_scalarIT6_EEPKT1_S9_PKS3_PKT3_PKT4_S6_PT5_21rocsparse_index_base_b, .Lfunc_end266-_ZN9rocsparseL21csrmvn_general_kernelILj256ELj8Eiif21rocsparse_complex_numIfES2_S2_EEvbT2_NS_24const_host_device_scalarIT6_EEPKT1_S9_PKS3_PKT3_PKT4_S6_PT5_21rocsparse_index_base_b
                                        ; -- End function
	.section	.AMDGPU.csdata,"",@progbits
; Kernel info:
; codeLenInByte = 928
; NumSgprs: 29
; NumVgprs: 23
; NumAgprs: 0
; TotalNumVgprs: 23
; ScratchSize: 0
; MemoryBound: 0
; FloatMode: 240
; IeeeMode: 1
; LDSByteSize: 0 bytes/workgroup (compile time only)
; SGPRBlocks: 3
; VGPRBlocks: 2
; NumSGPRsForWavesPerEU: 29
; NumVGPRsForWavesPerEU: 23
; AccumOffset: 24
; Occupancy: 8
; WaveLimiterHint : 1
; COMPUTE_PGM_RSRC2:SCRATCH_EN: 0
; COMPUTE_PGM_RSRC2:USER_SGPR: 6
; COMPUTE_PGM_RSRC2:TRAP_HANDLER: 0
; COMPUTE_PGM_RSRC2:TGID_X_EN: 1
; COMPUTE_PGM_RSRC2:TGID_Y_EN: 0
; COMPUTE_PGM_RSRC2:TGID_Z_EN: 0
; COMPUTE_PGM_RSRC2:TIDIG_COMP_CNT: 0
; COMPUTE_PGM_RSRC3_GFX90A:ACCUM_OFFSET: 5
; COMPUTE_PGM_RSRC3_GFX90A:TG_SPLIT: 0
	.section	.text._ZN9rocsparseL21csrmvn_general_kernelILj256ELj16Eiif21rocsparse_complex_numIfES2_S2_EEvbT2_NS_24const_host_device_scalarIT6_EEPKT1_S9_PKS3_PKT3_PKT4_S6_PT5_21rocsparse_index_base_b,"axG",@progbits,_ZN9rocsparseL21csrmvn_general_kernelILj256ELj16Eiif21rocsparse_complex_numIfES2_S2_EEvbT2_NS_24const_host_device_scalarIT6_EEPKT1_S9_PKS3_PKT3_PKT4_S6_PT5_21rocsparse_index_base_b,comdat
	.globl	_ZN9rocsparseL21csrmvn_general_kernelILj256ELj16Eiif21rocsparse_complex_numIfES2_S2_EEvbT2_NS_24const_host_device_scalarIT6_EEPKT1_S9_PKS3_PKT3_PKT4_S6_PT5_21rocsparse_index_base_b ; -- Begin function _ZN9rocsparseL21csrmvn_general_kernelILj256ELj16Eiif21rocsparse_complex_numIfES2_S2_EEvbT2_NS_24const_host_device_scalarIT6_EEPKT1_S9_PKS3_PKT3_PKT4_S6_PT5_21rocsparse_index_base_b
	.p2align	8
	.type	_ZN9rocsparseL21csrmvn_general_kernelILj256ELj16Eiif21rocsparse_complex_numIfES2_S2_EEvbT2_NS_24const_host_device_scalarIT6_EEPKT1_S9_PKS3_PKT3_PKT4_S6_PT5_21rocsparse_index_base_b,@function
_ZN9rocsparseL21csrmvn_general_kernelILj256ELj16Eiif21rocsparse_complex_numIfES2_S2_EEvbT2_NS_24const_host_device_scalarIT6_EEPKT1_S9_PKS3_PKT3_PKT4_S6_PT5_21rocsparse_index_base_b: ; @_ZN9rocsparseL21csrmvn_general_kernelILj256ELj16Eiif21rocsparse_complex_numIfES2_S2_EEvbT2_NS_24const_host_device_scalarIT6_EEPKT1_S9_PKS3_PKT3_PKT4_S6_PT5_21rocsparse_index_base_b
; %bb.0:
	s_load_dwordx2 s[20:21], s[4:5], 0x48
	s_load_dwordx4 s[16:19], s[4:5], 0x8
	s_load_dwordx2 s[2:3], s[4:5], 0x38
	s_waitcnt lgkmcnt(0)
	s_bitcmp1_b32 s21, 0
	s_cselect_b64 s[0:1], -1, 0
	s_xor_b64 s[8:9], s[0:1], -1
	s_and_b64 vcc, exec, s[0:1]
	v_mov_b32_e32 v2, s16
	s_cbranch_vccnz .LBB267_2
; %bb.1:
	v_pk_mov_b32 v[2:3], s[16:17], s[16:17] op_sel:[0,1]
	flat_load_dword v2, v[2:3]
.LBB267_2:
	v_cndmask_b32_e64 v1, 0, 1, s[8:9]
	v_cmp_ne_u32_e64 s[0:1], 1, v1
	s_andn2_b64 vcc, exec, s[8:9]
	v_mov_b32_e32 v3, s17
	s_cbranch_vccz .LBB267_21
; %bb.3:
	s_and_b64 vcc, exec, s[0:1]
	v_mov_b32_e32 v4, s2
	s_cbranch_vccz .LBB267_22
.LBB267_4:
	s_and_b64 vcc, exec, s[0:1]
	v_mov_b32_e32 v5, s3
	s_cbranch_vccnz .LBB267_6
.LBB267_5:
	v_pk_mov_b32 v[6:7], s[2:3], s[2:3] op_sel:[0,1]
	flat_load_dword v5, v[6:7] offset:4
.LBB267_6:
	s_waitcnt vmcnt(0) lgkmcnt(0)
	v_or_b32_e32 v1, v2, v3
	v_and_b32_e32 v1, 0x7fffffff, v1
	v_cmp_eq_u32_e32 vcc, 0, v1
	s_mov_b64 s[0:1], -1
	s_and_saveexec_b64 s[2:3], vcc
; %bb.7:
	v_and_b32_e32 v1, 0x7fffffff, v5
	v_cmp_neq_f32_e32 vcc, 1.0, v4
	v_cmp_ne_u32_e64 s[0:1], 0, v1
	s_or_b64 s[0:1], vcc, s[0:1]
	s_orn2_b64 s[0:1], s[0:1], exec
; %bb.8:
	s_or_b64 exec, exec, s[2:3]
	s_and_saveexec_b64 s[2:3], s[0:1]
	s_cbranch_execz .LBB267_20
; %bb.9:
	s_load_dword s22, s[4:5], 0x4
	v_lshl_or_b32 v1, s6, 8, v0
	v_lshrrev_b32_e32 v6, 4, v1
	s_waitcnt lgkmcnt(0)
	v_cmp_gt_i32_e32 vcc, s22, v6
	s_and_b64 exec, exec, vcc
	s_cbranch_execz .LBB267_20
; %bb.10:
	s_load_dword s0, s[4:5], 0x50
	s_load_dwordx2 s[6:7], s[4:5], 0x40
	s_load_dwordx8 s[8:15], s[4:5], 0x18
	v_mov_b32_e32 v8, v3
	v_mov_b32_e32 v9, v2
	s_waitcnt lgkmcnt(0)
	s_lshl_b32 s23, s0, 4
	s_mov_b64 s[0:1], 0x80000000
	s_ashr_i32 s21, s20, 31
	v_and_b32_e32 v7, 15, v0
	v_pk_mul_f32 v[0:1], v[8:9], s[0:1]
	s_lshl_b64 s[0:1], s[20:21], 3
	v_subrev_u32_e32 v14, s20, v7
	s_sub_u32 s21, s14, s0
	v_cmp_eq_u32_e32 vcc, 15, v7
	v_and_b32_e32 v7, 0x7fffffff, v4
	s_subb_u32 s24, s15, s1
	v_cmp_ne_u32_e64 s[0:1], 0, v7
	v_cmp_neq_f32_e64 s[2:3], 0, v5
	s_or_b64 s[2:3], s[0:1], s[2:3]
	v_xor_b32_e32 v8, 0x80000000, v5
	v_mov_b32_e32 v9, v4
	s_mov_b64 s[4:5], 0
	v_mov_b32_e32 v15, s19
	v_mov_b32_e32 v16, s9
	s_branch .LBB267_13
.LBB267_11:                             ;   in Loop: Header=BB267_13 Depth=1
	s_or_b64 exec, exec, s[0:1]
	global_store_dwordx2 v[12:13], v[10:11], off
.LBB267_12:                             ;   in Loop: Header=BB267_13 Depth=1
	s_or_b64 exec, exec, s[14:15]
	v_add_u32_e32 v6, s23, v6
	v_cmp_le_i32_e64 s[0:1], s22, v6
	s_or_b64 s[4:5], s[0:1], s[4:5]
	s_andn2_b64 exec, exec, s[4:5]
	s_cbranch_execz .LBB267_20
.LBB267_13:                             ; =>This Loop Header: Depth=1
                                        ;     Child Loop BB267_15 Depth 2
	v_ashrrev_i32_e32 v7, 31, v6
	v_lshlrev_b64 v[10:11], 2, v[6:7]
	v_add_co_u32_e64 v12, s[0:1], s18, v10
	v_addc_co_u32_e64 v13, s[0:1], v15, v11, s[0:1]
	v_add_co_u32_e64 v10, s[0:1], s8, v10
	v_addc_co_u32_e64 v11, s[0:1], v16, v11, s[0:1]
	global_load_dword v17, v[10:11], off
	global_load_dword v18, v[12:13], off
	v_mov_b32_e32 v11, 0
	v_mov_b32_e32 v10, v11
	s_waitcnt vmcnt(1)
	v_subrev_u32_e32 v17, s20, v17
	s_waitcnt vmcnt(0)
	v_add_u32_e32 v12, v18, v14
	v_cmp_lt_i32_e64 s[0:1], v12, v17
	s_and_saveexec_b64 s[14:15], s[0:1]
	s_cbranch_execz .LBB267_17
; %bb.14:                               ;   in Loop: Header=BB267_13 Depth=1
	v_mov_b32_e32 v10, 0
	s_mov_b64 s[16:17], 0
	v_mov_b32_e32 v11, v10
.LBB267_15:                             ;   Parent Loop BB267_13 Depth=1
                                        ; =>  This Inner Loop Header: Depth=2
	v_ashrrev_i32_e32 v13, 31, v12
	v_lshlrev_b64 v[18:19], 2, v[12:13]
	v_mov_b32_e32 v21, s11
	v_add_co_u32_e64 v20, s[0:1], s10, v18
	v_addc_co_u32_e64 v21, s[0:1], v21, v19, s[0:1]
	global_load_dword v20, v[20:21], off
	v_mov_b32_e32 v13, s13
	v_add_co_u32_e64 v18, s[0:1], s12, v18
	v_addc_co_u32_e64 v19, s[0:1], v13, v19, s[0:1]
	v_mov_b32_e32 v22, s24
	global_load_dword v18, v[18:19], off
	v_add_u32_e32 v12, 16, v12
	s_waitcnt vmcnt(1)
	v_ashrrev_i32_e32 v21, 31, v20
	v_lshlrev_b64 v[20:21], 3, v[20:21]
	v_add_co_u32_e64 v20, s[0:1], s21, v20
	v_addc_co_u32_e64 v21, s[0:1], v22, v21, s[0:1]
	global_load_dwordx2 v[20:21], v[20:21], off
	s_waitcnt vmcnt(1)
	v_pk_fma_f32 v[18:19], v[2:3], v[18:19], v[0:1] op_sel_hi:[1,0,1]
	v_cmp_ge_i32_e64 s[0:1], v12, v17
	s_or_b64 s[16:17], s[0:1], s[16:17]
	s_waitcnt vmcnt(0)
	v_pk_fma_f32 v[10:11], v[18:19], v[20:21], v[10:11] op_sel_hi:[1,0,1]
	v_pk_fma_f32 v[10:11], v[18:19], v[20:21], v[10:11] op_sel:[1,1,0] op_sel_hi:[0,1,1] neg_lo:[1,0,0]
	s_andn2_b64 exec, exec, s[16:17]
	s_cbranch_execnz .LBB267_15
; %bb.16:                               ;   in Loop: Header=BB267_13 Depth=1
	s_or_b64 exec, exec, s[16:17]
.LBB267_17:                             ;   in Loop: Header=BB267_13 Depth=1
	s_or_b64 exec, exec, s[14:15]
	v_mov_b32_dpp v12, v10 row_shr:1 row_mask:0xf bank_mask:0xf
	v_mov_b32_dpp v13, v11 row_shr:1 row_mask:0xf bank_mask:0xf
	v_pk_add_f32 v[10:11], v[10:11], v[12:13]
	s_nop 1
	v_mov_b32_dpp v12, v10 row_shr:2 row_mask:0xf bank_mask:0xf
	v_mov_b32_dpp v13, v11 row_shr:2 row_mask:0xf bank_mask:0xf
	v_pk_add_f32 v[10:11], v[10:11], v[12:13]
	s_nop 1
	;; [unrolled: 4-line block ×3, first 2 shown]
	v_mov_b32_dpp v12, v10 row_shr:8 row_mask:0xf bank_mask:0xc
	v_mov_b32_dpp v13, v11 row_shr:8 row_mask:0xf bank_mask:0xc
	s_and_saveexec_b64 s[14:15], vcc
	s_cbranch_execz .LBB267_12
; %bb.18:                               ;   in Loop: Header=BB267_13 Depth=1
	v_pk_add_f32 v[10:11], v[10:11], v[12:13]
	v_lshlrev_b64 v[12:13], 3, v[6:7]
	v_mov_b32_e32 v7, s7
	v_add_co_u32_e64 v12, s[0:1], s6, v12
	v_addc_co_u32_e64 v13, s[0:1], v7, v13, s[0:1]
	s_and_saveexec_b64 s[0:1], s[2:3]
	s_cbranch_execz .LBB267_11
; %bb.19:                               ;   in Loop: Header=BB267_13 Depth=1
	global_load_dwordx2 v[18:19], v[12:13], off
	s_waitcnt vmcnt(0)
	v_pk_fma_f32 v[10:11], v[4:5], v[18:19], v[10:11] op_sel_hi:[1,0,1]
	v_pk_fma_f32 v[10:11], v[8:9], v[18:19], v[10:11] op_sel:[0,1,0]
	s_branch .LBB267_11
.LBB267_20:
	s_endpgm
.LBB267_21:
	v_pk_mov_b32 v[4:5], s[16:17], s[16:17] op_sel:[0,1]
	flat_load_dword v3, v[4:5] offset:4
	s_and_b64 vcc, exec, s[0:1]
	v_mov_b32_e32 v4, s2
	s_cbranch_vccnz .LBB267_4
.LBB267_22:
	v_pk_mov_b32 v[4:5], s[2:3], s[2:3] op_sel:[0,1]
	flat_load_dword v4, v[4:5]
	s_and_b64 vcc, exec, s[0:1]
	v_mov_b32_e32 v5, s3
	s_cbranch_vccz .LBB267_5
	s_branch .LBB267_6
	.section	.rodata,"a",@progbits
	.p2align	6, 0x0
	.amdhsa_kernel _ZN9rocsparseL21csrmvn_general_kernelILj256ELj16Eiif21rocsparse_complex_numIfES2_S2_EEvbT2_NS_24const_host_device_scalarIT6_EEPKT1_S9_PKS3_PKT3_PKT4_S6_PT5_21rocsparse_index_base_b
		.amdhsa_group_segment_fixed_size 0
		.amdhsa_private_segment_fixed_size 0
		.amdhsa_kernarg_size 336
		.amdhsa_user_sgpr_count 6
		.amdhsa_user_sgpr_private_segment_buffer 1
		.amdhsa_user_sgpr_dispatch_ptr 0
		.amdhsa_user_sgpr_queue_ptr 0
		.amdhsa_user_sgpr_kernarg_segment_ptr 1
		.amdhsa_user_sgpr_dispatch_id 0
		.amdhsa_user_sgpr_flat_scratch_init 0
		.amdhsa_user_sgpr_kernarg_preload_length 0
		.amdhsa_user_sgpr_kernarg_preload_offset 0
		.amdhsa_user_sgpr_private_segment_size 0
		.amdhsa_uses_dynamic_stack 0
		.amdhsa_system_sgpr_private_segment_wavefront_offset 0
		.amdhsa_system_sgpr_workgroup_id_x 1
		.amdhsa_system_sgpr_workgroup_id_y 0
		.amdhsa_system_sgpr_workgroup_id_z 0
		.amdhsa_system_sgpr_workgroup_info 0
		.amdhsa_system_vgpr_workitem_id 0
		.amdhsa_next_free_vgpr 23
		.amdhsa_next_free_sgpr 25
		.amdhsa_accum_offset 24
		.amdhsa_reserve_vcc 1
		.amdhsa_reserve_flat_scratch 0
		.amdhsa_float_round_mode_32 0
		.amdhsa_float_round_mode_16_64 0
		.amdhsa_float_denorm_mode_32 3
		.amdhsa_float_denorm_mode_16_64 3
		.amdhsa_dx10_clamp 1
		.amdhsa_ieee_mode 1
		.amdhsa_fp16_overflow 0
		.amdhsa_tg_split 0
		.amdhsa_exception_fp_ieee_invalid_op 0
		.amdhsa_exception_fp_denorm_src 0
		.amdhsa_exception_fp_ieee_div_zero 0
		.amdhsa_exception_fp_ieee_overflow 0
		.amdhsa_exception_fp_ieee_underflow 0
		.amdhsa_exception_fp_ieee_inexact 0
		.amdhsa_exception_int_div_zero 0
	.end_amdhsa_kernel
	.section	.text._ZN9rocsparseL21csrmvn_general_kernelILj256ELj16Eiif21rocsparse_complex_numIfES2_S2_EEvbT2_NS_24const_host_device_scalarIT6_EEPKT1_S9_PKS3_PKT3_PKT4_S6_PT5_21rocsparse_index_base_b,"axG",@progbits,_ZN9rocsparseL21csrmvn_general_kernelILj256ELj16Eiif21rocsparse_complex_numIfES2_S2_EEvbT2_NS_24const_host_device_scalarIT6_EEPKT1_S9_PKS3_PKT3_PKT4_S6_PT5_21rocsparse_index_base_b,comdat
.Lfunc_end267:
	.size	_ZN9rocsparseL21csrmvn_general_kernelILj256ELj16Eiif21rocsparse_complex_numIfES2_S2_EEvbT2_NS_24const_host_device_scalarIT6_EEPKT1_S9_PKS3_PKT3_PKT4_S6_PT5_21rocsparse_index_base_b, .Lfunc_end267-_ZN9rocsparseL21csrmvn_general_kernelILj256ELj16Eiif21rocsparse_complex_numIfES2_S2_EEvbT2_NS_24const_host_device_scalarIT6_EEPKT1_S9_PKS3_PKT3_PKT4_S6_PT5_21rocsparse_index_base_b
                                        ; -- End function
	.section	.AMDGPU.csdata,"",@progbits
; Kernel info:
; codeLenInByte = 956
; NumSgprs: 29
; NumVgprs: 23
; NumAgprs: 0
; TotalNumVgprs: 23
; ScratchSize: 0
; MemoryBound: 0
; FloatMode: 240
; IeeeMode: 1
; LDSByteSize: 0 bytes/workgroup (compile time only)
; SGPRBlocks: 3
; VGPRBlocks: 2
; NumSGPRsForWavesPerEU: 29
; NumVGPRsForWavesPerEU: 23
; AccumOffset: 24
; Occupancy: 8
; WaveLimiterHint : 1
; COMPUTE_PGM_RSRC2:SCRATCH_EN: 0
; COMPUTE_PGM_RSRC2:USER_SGPR: 6
; COMPUTE_PGM_RSRC2:TRAP_HANDLER: 0
; COMPUTE_PGM_RSRC2:TGID_X_EN: 1
; COMPUTE_PGM_RSRC2:TGID_Y_EN: 0
; COMPUTE_PGM_RSRC2:TGID_Z_EN: 0
; COMPUTE_PGM_RSRC2:TIDIG_COMP_CNT: 0
; COMPUTE_PGM_RSRC3_GFX90A:ACCUM_OFFSET: 5
; COMPUTE_PGM_RSRC3_GFX90A:TG_SPLIT: 0
	.section	.text._ZN9rocsparseL21csrmvn_general_kernelILj256ELj32Eiif21rocsparse_complex_numIfES2_S2_EEvbT2_NS_24const_host_device_scalarIT6_EEPKT1_S9_PKS3_PKT3_PKT4_S6_PT5_21rocsparse_index_base_b,"axG",@progbits,_ZN9rocsparseL21csrmvn_general_kernelILj256ELj32Eiif21rocsparse_complex_numIfES2_S2_EEvbT2_NS_24const_host_device_scalarIT6_EEPKT1_S9_PKS3_PKT3_PKT4_S6_PT5_21rocsparse_index_base_b,comdat
	.globl	_ZN9rocsparseL21csrmvn_general_kernelILj256ELj32Eiif21rocsparse_complex_numIfES2_S2_EEvbT2_NS_24const_host_device_scalarIT6_EEPKT1_S9_PKS3_PKT3_PKT4_S6_PT5_21rocsparse_index_base_b ; -- Begin function _ZN9rocsparseL21csrmvn_general_kernelILj256ELj32Eiif21rocsparse_complex_numIfES2_S2_EEvbT2_NS_24const_host_device_scalarIT6_EEPKT1_S9_PKS3_PKT3_PKT4_S6_PT5_21rocsparse_index_base_b
	.p2align	8
	.type	_ZN9rocsparseL21csrmvn_general_kernelILj256ELj32Eiif21rocsparse_complex_numIfES2_S2_EEvbT2_NS_24const_host_device_scalarIT6_EEPKT1_S9_PKS3_PKT3_PKT4_S6_PT5_21rocsparse_index_base_b,@function
_ZN9rocsparseL21csrmvn_general_kernelILj256ELj32Eiif21rocsparse_complex_numIfES2_S2_EEvbT2_NS_24const_host_device_scalarIT6_EEPKT1_S9_PKS3_PKT3_PKT4_S6_PT5_21rocsparse_index_base_b: ; @_ZN9rocsparseL21csrmvn_general_kernelILj256ELj32Eiif21rocsparse_complex_numIfES2_S2_EEvbT2_NS_24const_host_device_scalarIT6_EEPKT1_S9_PKS3_PKT3_PKT4_S6_PT5_21rocsparse_index_base_b
; %bb.0:
	s_load_dwordx2 s[20:21], s[4:5], 0x48
	s_load_dwordx4 s[16:19], s[4:5], 0x8
	s_load_dwordx2 s[2:3], s[4:5], 0x38
	s_waitcnt lgkmcnt(0)
	s_bitcmp1_b32 s21, 0
	s_cselect_b64 s[0:1], -1, 0
	s_xor_b64 s[8:9], s[0:1], -1
	s_and_b64 vcc, exec, s[0:1]
	v_mov_b32_e32 v2, s16
	s_cbranch_vccnz .LBB268_2
; %bb.1:
	v_pk_mov_b32 v[2:3], s[16:17], s[16:17] op_sel:[0,1]
	flat_load_dword v2, v[2:3]
.LBB268_2:
	v_cndmask_b32_e64 v1, 0, 1, s[8:9]
	v_cmp_ne_u32_e64 s[0:1], 1, v1
	s_andn2_b64 vcc, exec, s[8:9]
	v_mov_b32_e32 v3, s17
	s_cbranch_vccz .LBB268_21
; %bb.3:
	s_and_b64 vcc, exec, s[0:1]
	v_mov_b32_e32 v4, s2
	s_cbranch_vccz .LBB268_22
.LBB268_4:
	s_and_b64 vcc, exec, s[0:1]
	v_mov_b32_e32 v5, s3
	s_cbranch_vccnz .LBB268_6
.LBB268_5:
	v_pk_mov_b32 v[6:7], s[2:3], s[2:3] op_sel:[0,1]
	flat_load_dword v5, v[6:7] offset:4
.LBB268_6:
	s_waitcnt vmcnt(0) lgkmcnt(0)
	v_or_b32_e32 v1, v2, v3
	v_and_b32_e32 v1, 0x7fffffff, v1
	v_cmp_eq_u32_e32 vcc, 0, v1
	s_mov_b64 s[0:1], -1
	s_and_saveexec_b64 s[2:3], vcc
; %bb.7:
	v_and_b32_e32 v1, 0x7fffffff, v5
	v_cmp_neq_f32_e32 vcc, 1.0, v4
	v_cmp_ne_u32_e64 s[0:1], 0, v1
	s_or_b64 s[0:1], vcc, s[0:1]
	s_orn2_b64 s[0:1], s[0:1], exec
; %bb.8:
	s_or_b64 exec, exec, s[2:3]
	s_and_saveexec_b64 s[2:3], s[0:1]
	s_cbranch_execz .LBB268_20
; %bb.9:
	s_load_dword s22, s[4:5], 0x4
	v_lshl_or_b32 v1, s6, 8, v0
	v_lshrrev_b32_e32 v6, 5, v1
	s_waitcnt lgkmcnt(0)
	v_cmp_gt_i32_e32 vcc, s22, v6
	s_and_b64 exec, exec, vcc
	s_cbranch_execz .LBB268_20
; %bb.10:
	s_load_dword s0, s[4:5], 0x50
	s_load_dwordx2 s[6:7], s[4:5], 0x40
	s_load_dwordx8 s[8:15], s[4:5], 0x18
	s_ashr_i32 s21, s20, 31
	v_and_b32_e32 v7, 31, v0
	s_waitcnt lgkmcnt(0)
	s_lshl_b32 s23, s0, 3
	s_mov_b32 s0, 0
	s_brev_b32 s1, 1
	v_pk_mul_f32 v[8:9], v[2:3], s[0:1]
	s_lshl_b64 s[0:1], s[20:21], 3
	v_subrev_u32_e32 v14, s20, v7
	s_sub_u32 s21, s14, s0
	v_cmp_eq_u32_e32 vcc, 31, v7
	v_and_b32_e32 v7, 0x7fffffff, v4
	s_subb_u32 s24, s15, s1
	v_cmp_ne_u32_e64 s[0:1], 0, v7
	v_cmp_neq_f32_e64 s[2:3], 0, v5
	v_mov_b32_e32 v0, v9
	v_mov_b32_e32 v1, v8
	s_or_b64 s[2:3], s[0:1], s[2:3]
	v_xor_b32_e32 v8, 0x80000000, v5
	v_mov_b32_e32 v9, v4
	s_mov_b64 s[4:5], 0
	v_mov_b32_e32 v15, s19
	v_mov_b32_e32 v16, s9
	s_branch .LBB268_13
.LBB268_11:                             ;   in Loop: Header=BB268_13 Depth=1
	s_or_b64 exec, exec, s[0:1]
	global_store_dwordx2 v[12:13], v[10:11], off
.LBB268_12:                             ;   in Loop: Header=BB268_13 Depth=1
	s_or_b64 exec, exec, s[14:15]
	v_add_u32_e32 v6, s23, v6
	v_cmp_le_i32_e64 s[0:1], s22, v6
	s_or_b64 s[4:5], s[0:1], s[4:5]
	s_andn2_b64 exec, exec, s[4:5]
	s_cbranch_execz .LBB268_20
.LBB268_13:                             ; =>This Loop Header: Depth=1
                                        ;     Child Loop BB268_15 Depth 2
	v_ashrrev_i32_e32 v7, 31, v6
	v_lshlrev_b64 v[10:11], 2, v[6:7]
	v_add_co_u32_e64 v12, s[0:1], s18, v10
	v_addc_co_u32_e64 v13, s[0:1], v15, v11, s[0:1]
	v_add_co_u32_e64 v10, s[0:1], s8, v10
	v_addc_co_u32_e64 v11, s[0:1], v16, v11, s[0:1]
	global_load_dword v17, v[10:11], off
	global_load_dword v18, v[12:13], off
	v_mov_b32_e32 v11, 0
	v_mov_b32_e32 v10, v11
	s_waitcnt vmcnt(1)
	v_subrev_u32_e32 v17, s20, v17
	s_waitcnt vmcnt(0)
	v_add_u32_e32 v12, v18, v14
	v_cmp_lt_i32_e64 s[0:1], v12, v17
	s_and_saveexec_b64 s[14:15], s[0:1]
	s_cbranch_execz .LBB268_17
; %bb.14:                               ;   in Loop: Header=BB268_13 Depth=1
	v_mov_b32_e32 v11, 0
	s_mov_b64 s[16:17], 0
	v_mov_b32_e32 v10, v11
.LBB268_15:                             ;   Parent Loop BB268_13 Depth=1
                                        ; =>  This Inner Loop Header: Depth=2
	v_ashrrev_i32_e32 v13, 31, v12
	v_lshlrev_b64 v[18:19], 2, v[12:13]
	v_mov_b32_e32 v21, s11
	v_add_co_u32_e64 v20, s[0:1], s10, v18
	v_addc_co_u32_e64 v21, s[0:1], v21, v19, s[0:1]
	global_load_dword v20, v[20:21], off
	v_mov_b32_e32 v13, s13
	v_add_co_u32_e64 v18, s[0:1], s12, v18
	v_addc_co_u32_e64 v19, s[0:1], v13, v19, s[0:1]
	v_mov_b32_e32 v22, s24
	global_load_dword v18, v[18:19], off
	v_add_u32_e32 v12, 32, v12
	s_waitcnt vmcnt(1)
	v_ashrrev_i32_e32 v21, 31, v20
	v_lshlrev_b64 v[20:21], 3, v[20:21]
	v_add_co_u32_e64 v20, s[0:1], s21, v20
	v_addc_co_u32_e64 v21, s[0:1], v22, v21, s[0:1]
	global_load_dwordx2 v[20:21], v[20:21], off
	s_waitcnt vmcnt(1)
	v_pk_fma_f32 v[18:19], v[2:3], v[18:19], v[0:1] op_sel_hi:[1,0,1]
	v_cmp_ge_i32_e64 s[0:1], v12, v17
	s_or_b64 s[16:17], s[0:1], s[16:17]
	s_waitcnt vmcnt(0)
	v_pk_fma_f32 v[10:11], v[18:19], v[20:21], v[10:11] op_sel_hi:[1,0,1]
	v_pk_fma_f32 v[10:11], v[18:19], v[20:21], v[10:11] op_sel:[1,1,0] op_sel_hi:[0,1,1] neg_lo:[1,0,0]
	s_andn2_b64 exec, exec, s[16:17]
	s_cbranch_execnz .LBB268_15
; %bb.16:                               ;   in Loop: Header=BB268_13 Depth=1
	s_or_b64 exec, exec, s[16:17]
.LBB268_17:                             ;   in Loop: Header=BB268_13 Depth=1
	s_or_b64 exec, exec, s[14:15]
	v_mov_b32_dpp v12, v10 row_shr:1 row_mask:0xf bank_mask:0xf
	v_mov_b32_dpp v13, v11 row_shr:1 row_mask:0xf bank_mask:0xf
	v_pk_add_f32 v[10:11], v[10:11], v[12:13]
	s_nop 1
	v_mov_b32_dpp v12, v10 row_shr:2 row_mask:0xf bank_mask:0xf
	v_mov_b32_dpp v13, v11 row_shr:2 row_mask:0xf bank_mask:0xf
	v_pk_add_f32 v[10:11], v[10:11], v[12:13]
	s_nop 1
	;; [unrolled: 4-line block ×4, first 2 shown]
	v_mov_b32_dpp v12, v10 row_bcast:15 row_mask:0xa bank_mask:0xf
	v_mov_b32_dpp v13, v11 row_bcast:15 row_mask:0xa bank_mask:0xf
	s_and_saveexec_b64 s[14:15], vcc
	s_cbranch_execz .LBB268_12
; %bb.18:                               ;   in Loop: Header=BB268_13 Depth=1
	v_pk_add_f32 v[10:11], v[10:11], v[12:13]
	v_lshlrev_b64 v[12:13], 3, v[6:7]
	v_mov_b32_e32 v7, s7
	v_add_co_u32_e64 v12, s[0:1], s6, v12
	v_addc_co_u32_e64 v13, s[0:1], v7, v13, s[0:1]
	s_and_saveexec_b64 s[0:1], s[2:3]
	s_cbranch_execz .LBB268_11
; %bb.19:                               ;   in Loop: Header=BB268_13 Depth=1
	global_load_dwordx2 v[18:19], v[12:13], off
	s_waitcnt vmcnt(0)
	v_pk_fma_f32 v[10:11], v[4:5], v[18:19], v[10:11] op_sel_hi:[1,0,1]
	v_pk_fma_f32 v[10:11], v[8:9], v[18:19], v[10:11] op_sel:[0,1,0]
	s_branch .LBB268_11
.LBB268_20:
	s_endpgm
.LBB268_21:
	v_pk_mov_b32 v[4:5], s[16:17], s[16:17] op_sel:[0,1]
	flat_load_dword v3, v[4:5] offset:4
	s_and_b64 vcc, exec, s[0:1]
	v_mov_b32_e32 v4, s2
	s_cbranch_vccnz .LBB268_4
.LBB268_22:
	v_pk_mov_b32 v[4:5], s[2:3], s[2:3] op_sel:[0,1]
	flat_load_dword v4, v[4:5]
	s_and_b64 vcc, exec, s[0:1]
	v_mov_b32_e32 v5, s3
	s_cbranch_vccz .LBB268_5
	s_branch .LBB268_6
	.section	.rodata,"a",@progbits
	.p2align	6, 0x0
	.amdhsa_kernel _ZN9rocsparseL21csrmvn_general_kernelILj256ELj32Eiif21rocsparse_complex_numIfES2_S2_EEvbT2_NS_24const_host_device_scalarIT6_EEPKT1_S9_PKS3_PKT3_PKT4_S6_PT5_21rocsparse_index_base_b
		.amdhsa_group_segment_fixed_size 0
		.amdhsa_private_segment_fixed_size 0
		.amdhsa_kernarg_size 336
		.amdhsa_user_sgpr_count 6
		.amdhsa_user_sgpr_private_segment_buffer 1
		.amdhsa_user_sgpr_dispatch_ptr 0
		.amdhsa_user_sgpr_queue_ptr 0
		.amdhsa_user_sgpr_kernarg_segment_ptr 1
		.amdhsa_user_sgpr_dispatch_id 0
		.amdhsa_user_sgpr_flat_scratch_init 0
		.amdhsa_user_sgpr_kernarg_preload_length 0
		.amdhsa_user_sgpr_kernarg_preload_offset 0
		.amdhsa_user_sgpr_private_segment_size 0
		.amdhsa_uses_dynamic_stack 0
		.amdhsa_system_sgpr_private_segment_wavefront_offset 0
		.amdhsa_system_sgpr_workgroup_id_x 1
		.amdhsa_system_sgpr_workgroup_id_y 0
		.amdhsa_system_sgpr_workgroup_id_z 0
		.amdhsa_system_sgpr_workgroup_info 0
		.amdhsa_system_vgpr_workitem_id 0
		.amdhsa_next_free_vgpr 23
		.amdhsa_next_free_sgpr 25
		.amdhsa_accum_offset 24
		.amdhsa_reserve_vcc 1
		.amdhsa_reserve_flat_scratch 0
		.amdhsa_float_round_mode_32 0
		.amdhsa_float_round_mode_16_64 0
		.amdhsa_float_denorm_mode_32 3
		.amdhsa_float_denorm_mode_16_64 3
		.amdhsa_dx10_clamp 1
		.amdhsa_ieee_mode 1
		.amdhsa_fp16_overflow 0
		.amdhsa_tg_split 0
		.amdhsa_exception_fp_ieee_invalid_op 0
		.amdhsa_exception_fp_denorm_src 0
		.amdhsa_exception_fp_ieee_div_zero 0
		.amdhsa_exception_fp_ieee_overflow 0
		.amdhsa_exception_fp_ieee_underflow 0
		.amdhsa_exception_fp_ieee_inexact 0
		.amdhsa_exception_int_div_zero 0
	.end_amdhsa_kernel
	.section	.text._ZN9rocsparseL21csrmvn_general_kernelILj256ELj32Eiif21rocsparse_complex_numIfES2_S2_EEvbT2_NS_24const_host_device_scalarIT6_EEPKT1_S9_PKS3_PKT3_PKT4_S6_PT5_21rocsparse_index_base_b,"axG",@progbits,_ZN9rocsparseL21csrmvn_general_kernelILj256ELj32Eiif21rocsparse_complex_numIfES2_S2_EEvbT2_NS_24const_host_device_scalarIT6_EEPKT1_S9_PKS3_PKT3_PKT4_S6_PT5_21rocsparse_index_base_b,comdat
.Lfunc_end268:
	.size	_ZN9rocsparseL21csrmvn_general_kernelILj256ELj32Eiif21rocsparse_complex_numIfES2_S2_EEvbT2_NS_24const_host_device_scalarIT6_EEPKT1_S9_PKS3_PKT3_PKT4_S6_PT5_21rocsparse_index_base_b, .Lfunc_end268-_ZN9rocsparseL21csrmvn_general_kernelILj256ELj32Eiif21rocsparse_complex_numIfES2_S2_EEvbT2_NS_24const_host_device_scalarIT6_EEPKT1_S9_PKS3_PKT3_PKT4_S6_PT5_21rocsparse_index_base_b
                                        ; -- End function
	.section	.AMDGPU.csdata,"",@progbits
; Kernel info:
; codeLenInByte = 984
; NumSgprs: 29
; NumVgprs: 23
; NumAgprs: 0
; TotalNumVgprs: 23
; ScratchSize: 0
; MemoryBound: 0
; FloatMode: 240
; IeeeMode: 1
; LDSByteSize: 0 bytes/workgroup (compile time only)
; SGPRBlocks: 3
; VGPRBlocks: 2
; NumSGPRsForWavesPerEU: 29
; NumVGPRsForWavesPerEU: 23
; AccumOffset: 24
; Occupancy: 8
; WaveLimiterHint : 1
; COMPUTE_PGM_RSRC2:SCRATCH_EN: 0
; COMPUTE_PGM_RSRC2:USER_SGPR: 6
; COMPUTE_PGM_RSRC2:TRAP_HANDLER: 0
; COMPUTE_PGM_RSRC2:TGID_X_EN: 1
; COMPUTE_PGM_RSRC2:TGID_Y_EN: 0
; COMPUTE_PGM_RSRC2:TGID_Z_EN: 0
; COMPUTE_PGM_RSRC2:TIDIG_COMP_CNT: 0
; COMPUTE_PGM_RSRC3_GFX90A:ACCUM_OFFSET: 5
; COMPUTE_PGM_RSRC3_GFX90A:TG_SPLIT: 0
	.section	.text._ZN9rocsparseL21csrmvn_general_kernelILj256ELj64Eiif21rocsparse_complex_numIfES2_S2_EEvbT2_NS_24const_host_device_scalarIT6_EEPKT1_S9_PKS3_PKT3_PKT4_S6_PT5_21rocsparse_index_base_b,"axG",@progbits,_ZN9rocsparseL21csrmvn_general_kernelILj256ELj64Eiif21rocsparse_complex_numIfES2_S2_EEvbT2_NS_24const_host_device_scalarIT6_EEPKT1_S9_PKS3_PKT3_PKT4_S6_PT5_21rocsparse_index_base_b,comdat
	.globl	_ZN9rocsparseL21csrmvn_general_kernelILj256ELj64Eiif21rocsparse_complex_numIfES2_S2_EEvbT2_NS_24const_host_device_scalarIT6_EEPKT1_S9_PKS3_PKT3_PKT4_S6_PT5_21rocsparse_index_base_b ; -- Begin function _ZN9rocsparseL21csrmvn_general_kernelILj256ELj64Eiif21rocsparse_complex_numIfES2_S2_EEvbT2_NS_24const_host_device_scalarIT6_EEPKT1_S9_PKS3_PKT3_PKT4_S6_PT5_21rocsparse_index_base_b
	.p2align	8
	.type	_ZN9rocsparseL21csrmvn_general_kernelILj256ELj64Eiif21rocsparse_complex_numIfES2_S2_EEvbT2_NS_24const_host_device_scalarIT6_EEPKT1_S9_PKS3_PKT3_PKT4_S6_PT5_21rocsparse_index_base_b,@function
_ZN9rocsparseL21csrmvn_general_kernelILj256ELj64Eiif21rocsparse_complex_numIfES2_S2_EEvbT2_NS_24const_host_device_scalarIT6_EEPKT1_S9_PKS3_PKT3_PKT4_S6_PT5_21rocsparse_index_base_b: ; @_ZN9rocsparseL21csrmvn_general_kernelILj256ELj64Eiif21rocsparse_complex_numIfES2_S2_EEvbT2_NS_24const_host_device_scalarIT6_EEPKT1_S9_PKS3_PKT3_PKT4_S6_PT5_21rocsparse_index_base_b
; %bb.0:
	s_load_dwordx2 s[20:21], s[4:5], 0x48
	s_load_dwordx4 s[16:19], s[4:5], 0x8
	s_load_dwordx2 s[2:3], s[4:5], 0x38
	s_waitcnt lgkmcnt(0)
	s_bitcmp1_b32 s21, 0
	s_cselect_b64 s[0:1], -1, 0
	s_xor_b64 s[8:9], s[0:1], -1
	s_and_b64 vcc, exec, s[0:1]
	v_mov_b32_e32 v2, s16
	s_cbranch_vccnz .LBB269_2
; %bb.1:
	v_pk_mov_b32 v[2:3], s[16:17], s[16:17] op_sel:[0,1]
	flat_load_dword v2, v[2:3]
.LBB269_2:
	v_cndmask_b32_e64 v1, 0, 1, s[8:9]
	v_cmp_ne_u32_e64 s[0:1], 1, v1
	s_andn2_b64 vcc, exec, s[8:9]
	v_mov_b32_e32 v3, s17
	s_cbranch_vccz .LBB269_21
; %bb.3:
	s_and_b64 vcc, exec, s[0:1]
	v_mov_b32_e32 v4, s2
	s_cbranch_vccz .LBB269_22
.LBB269_4:
	s_and_b64 vcc, exec, s[0:1]
	v_mov_b32_e32 v5, s3
	s_cbranch_vccnz .LBB269_6
.LBB269_5:
	v_pk_mov_b32 v[6:7], s[2:3], s[2:3] op_sel:[0,1]
	flat_load_dword v5, v[6:7] offset:4
.LBB269_6:
	s_waitcnt vmcnt(0) lgkmcnt(0)
	v_or_b32_e32 v1, v2, v3
	v_and_b32_e32 v1, 0x7fffffff, v1
	v_cmp_eq_u32_e32 vcc, 0, v1
	s_mov_b64 s[0:1], -1
	s_and_saveexec_b64 s[2:3], vcc
; %bb.7:
	v_and_b32_e32 v1, 0x7fffffff, v5
	v_cmp_neq_f32_e32 vcc, 1.0, v4
	v_cmp_ne_u32_e64 s[0:1], 0, v1
	s_or_b64 s[0:1], vcc, s[0:1]
	s_orn2_b64 s[0:1], s[0:1], exec
; %bb.8:
	s_or_b64 exec, exec, s[2:3]
	s_and_saveexec_b64 s[2:3], s[0:1]
	s_cbranch_execz .LBB269_20
; %bb.9:
	s_load_dword s22, s[4:5], 0x4
	v_lshl_or_b32 v1, s6, 8, v0
	v_lshrrev_b32_e32 v6, 6, v1
	s_waitcnt lgkmcnt(0)
	v_cmp_gt_i32_e32 vcc, s22, v6
	s_and_b64 exec, exec, vcc
	s_cbranch_execz .LBB269_20
; %bb.10:
	s_load_dword s0, s[4:5], 0x50
	s_load_dwordx2 s[6:7], s[4:5], 0x40
	s_load_dwordx8 s[8:15], s[4:5], 0x18
	s_ashr_i32 s21, s20, 31
	v_and_b32_e32 v7, 63, v0
	s_waitcnt lgkmcnt(0)
	s_lshl_b32 s23, s0, 2
	s_mov_b32 s0, 0
	s_brev_b32 s1, 1
	v_pk_mul_f32 v[8:9], v[2:3], s[0:1]
	s_lshl_b64 s[0:1], s[20:21], 3
	v_subrev_u32_e32 v14, s20, v7
	s_sub_u32 s21, s14, s0
	v_cmp_eq_u32_e32 vcc, 63, v7
	v_and_b32_e32 v7, 0x7fffffff, v4
	s_subb_u32 s24, s15, s1
	v_cmp_ne_u32_e64 s[0:1], 0, v7
	v_cmp_neq_f32_e64 s[2:3], 0, v5
	v_mov_b32_e32 v0, v9
	v_mov_b32_e32 v1, v8
	s_or_b64 s[2:3], s[0:1], s[2:3]
	v_xor_b32_e32 v8, 0x80000000, v5
	v_mov_b32_e32 v9, v4
	s_mov_b64 s[4:5], 0
	v_mov_b32_e32 v15, s19
	v_mov_b32_e32 v16, s9
	s_branch .LBB269_13
.LBB269_11:                             ;   in Loop: Header=BB269_13 Depth=1
	s_or_b64 exec, exec, s[0:1]
	global_store_dwordx2 v[12:13], v[10:11], off
.LBB269_12:                             ;   in Loop: Header=BB269_13 Depth=1
	s_or_b64 exec, exec, s[14:15]
	v_add_u32_e32 v6, s23, v6
	v_cmp_le_i32_e64 s[0:1], s22, v6
	s_or_b64 s[4:5], s[0:1], s[4:5]
	s_andn2_b64 exec, exec, s[4:5]
	s_cbranch_execz .LBB269_20
.LBB269_13:                             ; =>This Loop Header: Depth=1
                                        ;     Child Loop BB269_15 Depth 2
	v_ashrrev_i32_e32 v7, 31, v6
	v_lshlrev_b64 v[10:11], 2, v[6:7]
	v_add_co_u32_e64 v12, s[0:1], s18, v10
	v_addc_co_u32_e64 v13, s[0:1], v15, v11, s[0:1]
	v_add_co_u32_e64 v10, s[0:1], s8, v10
	v_addc_co_u32_e64 v11, s[0:1], v16, v11, s[0:1]
	global_load_dword v17, v[10:11], off
	global_load_dword v18, v[12:13], off
	v_mov_b32_e32 v11, 0
	v_mov_b32_e32 v10, v11
	s_waitcnt vmcnt(1)
	v_subrev_u32_e32 v17, s20, v17
	s_waitcnt vmcnt(0)
	v_add_u32_e32 v12, v18, v14
	v_cmp_lt_i32_e64 s[0:1], v12, v17
	s_and_saveexec_b64 s[14:15], s[0:1]
	s_cbranch_execz .LBB269_17
; %bb.14:                               ;   in Loop: Header=BB269_13 Depth=1
	v_mov_b32_e32 v10, 0
	s_mov_b64 s[16:17], 0
	v_mov_b32_e32 v11, v10
.LBB269_15:                             ;   Parent Loop BB269_13 Depth=1
                                        ; =>  This Inner Loop Header: Depth=2
	v_ashrrev_i32_e32 v13, 31, v12
	v_lshlrev_b64 v[18:19], 2, v[12:13]
	v_mov_b32_e32 v21, s11
	v_add_co_u32_e64 v20, s[0:1], s10, v18
	v_addc_co_u32_e64 v21, s[0:1], v21, v19, s[0:1]
	global_load_dword v20, v[20:21], off
	v_mov_b32_e32 v13, s13
	v_add_co_u32_e64 v18, s[0:1], s12, v18
	v_addc_co_u32_e64 v19, s[0:1], v13, v19, s[0:1]
	v_mov_b32_e32 v22, s24
	global_load_dword v18, v[18:19], off
	v_add_u32_e32 v12, 64, v12
	s_waitcnt vmcnt(1)
	v_ashrrev_i32_e32 v21, 31, v20
	v_lshlrev_b64 v[20:21], 3, v[20:21]
	v_add_co_u32_e64 v20, s[0:1], s21, v20
	v_addc_co_u32_e64 v21, s[0:1], v22, v21, s[0:1]
	global_load_dwordx2 v[20:21], v[20:21], off
	s_waitcnt vmcnt(1)
	v_pk_fma_f32 v[18:19], v[2:3], v[18:19], v[0:1] op_sel_hi:[1,0,1]
	v_cmp_ge_i32_e64 s[0:1], v12, v17
	s_or_b64 s[16:17], s[0:1], s[16:17]
	s_waitcnt vmcnt(0)
	v_pk_fma_f32 v[10:11], v[18:19], v[20:21], v[10:11] op_sel_hi:[1,0,1]
	v_pk_fma_f32 v[10:11], v[18:19], v[20:21], v[10:11] op_sel:[1,1,0] op_sel_hi:[0,1,1] neg_lo:[1,0,0]
	s_andn2_b64 exec, exec, s[16:17]
	s_cbranch_execnz .LBB269_15
; %bb.16:                               ;   in Loop: Header=BB269_13 Depth=1
	s_or_b64 exec, exec, s[16:17]
.LBB269_17:                             ;   in Loop: Header=BB269_13 Depth=1
	s_or_b64 exec, exec, s[14:15]
	v_mov_b32_dpp v12, v10 row_shr:1 row_mask:0xf bank_mask:0xf
	v_mov_b32_dpp v13, v11 row_shr:1 row_mask:0xf bank_mask:0xf
	v_pk_add_f32 v[10:11], v[10:11], v[12:13]
	s_nop 1
	v_mov_b32_dpp v12, v10 row_shr:2 row_mask:0xf bank_mask:0xf
	v_mov_b32_dpp v13, v11 row_shr:2 row_mask:0xf bank_mask:0xf
	v_pk_add_f32 v[10:11], v[10:11], v[12:13]
	s_nop 1
	v_mov_b32_dpp v12, v10 row_shr:4 row_mask:0xf bank_mask:0xe
	v_mov_b32_dpp v13, v11 row_shr:4 row_mask:0xf bank_mask:0xe
	v_pk_add_f32 v[10:11], v[10:11], v[12:13]
	s_nop 1
	v_mov_b32_dpp v12, v10 row_shr:8 row_mask:0xf bank_mask:0xc
	v_mov_b32_dpp v13, v11 row_shr:8 row_mask:0xf bank_mask:0xc
	v_pk_add_f32 v[10:11], v[10:11], v[12:13]
	s_nop 1
	v_mov_b32_dpp v12, v10 row_bcast:15 row_mask:0xa bank_mask:0xf
	v_mov_b32_dpp v13, v11 row_bcast:15 row_mask:0xa bank_mask:0xf
	v_pk_add_f32 v[10:11], v[10:11], v[12:13]
	s_nop 1
	v_mov_b32_dpp v12, v10 row_bcast:31 row_mask:0xc bank_mask:0xf
	v_mov_b32_dpp v13, v11 row_bcast:31 row_mask:0xc bank_mask:0xf
	s_and_saveexec_b64 s[14:15], vcc
	s_cbranch_execz .LBB269_12
; %bb.18:                               ;   in Loop: Header=BB269_13 Depth=1
	v_pk_add_f32 v[10:11], v[10:11], v[12:13]
	v_lshlrev_b64 v[12:13], 3, v[6:7]
	v_mov_b32_e32 v7, s7
	v_add_co_u32_e64 v12, s[0:1], s6, v12
	v_addc_co_u32_e64 v13, s[0:1], v7, v13, s[0:1]
	s_and_saveexec_b64 s[0:1], s[2:3]
	s_cbranch_execz .LBB269_11
; %bb.19:                               ;   in Loop: Header=BB269_13 Depth=1
	global_load_dwordx2 v[18:19], v[12:13], off
	s_waitcnt vmcnt(0)
	v_pk_fma_f32 v[10:11], v[4:5], v[18:19], v[10:11] op_sel_hi:[1,0,1]
	v_pk_fma_f32 v[10:11], v[8:9], v[18:19], v[10:11] op_sel:[0,1,0]
	s_branch .LBB269_11
.LBB269_20:
	s_endpgm
.LBB269_21:
	v_pk_mov_b32 v[4:5], s[16:17], s[16:17] op_sel:[0,1]
	flat_load_dword v3, v[4:5] offset:4
	s_and_b64 vcc, exec, s[0:1]
	v_mov_b32_e32 v4, s2
	s_cbranch_vccnz .LBB269_4
.LBB269_22:
	v_pk_mov_b32 v[4:5], s[2:3], s[2:3] op_sel:[0,1]
	flat_load_dword v4, v[4:5]
	s_and_b64 vcc, exec, s[0:1]
	v_mov_b32_e32 v5, s3
	s_cbranch_vccz .LBB269_5
	s_branch .LBB269_6
	.section	.rodata,"a",@progbits
	.p2align	6, 0x0
	.amdhsa_kernel _ZN9rocsparseL21csrmvn_general_kernelILj256ELj64Eiif21rocsparse_complex_numIfES2_S2_EEvbT2_NS_24const_host_device_scalarIT6_EEPKT1_S9_PKS3_PKT3_PKT4_S6_PT5_21rocsparse_index_base_b
		.amdhsa_group_segment_fixed_size 0
		.amdhsa_private_segment_fixed_size 0
		.amdhsa_kernarg_size 336
		.amdhsa_user_sgpr_count 6
		.amdhsa_user_sgpr_private_segment_buffer 1
		.amdhsa_user_sgpr_dispatch_ptr 0
		.amdhsa_user_sgpr_queue_ptr 0
		.amdhsa_user_sgpr_kernarg_segment_ptr 1
		.amdhsa_user_sgpr_dispatch_id 0
		.amdhsa_user_sgpr_flat_scratch_init 0
		.amdhsa_user_sgpr_kernarg_preload_length 0
		.amdhsa_user_sgpr_kernarg_preload_offset 0
		.amdhsa_user_sgpr_private_segment_size 0
		.amdhsa_uses_dynamic_stack 0
		.amdhsa_system_sgpr_private_segment_wavefront_offset 0
		.amdhsa_system_sgpr_workgroup_id_x 1
		.amdhsa_system_sgpr_workgroup_id_y 0
		.amdhsa_system_sgpr_workgroup_id_z 0
		.amdhsa_system_sgpr_workgroup_info 0
		.amdhsa_system_vgpr_workitem_id 0
		.amdhsa_next_free_vgpr 23
		.amdhsa_next_free_sgpr 25
		.amdhsa_accum_offset 24
		.amdhsa_reserve_vcc 1
		.amdhsa_reserve_flat_scratch 0
		.amdhsa_float_round_mode_32 0
		.amdhsa_float_round_mode_16_64 0
		.amdhsa_float_denorm_mode_32 3
		.amdhsa_float_denorm_mode_16_64 3
		.amdhsa_dx10_clamp 1
		.amdhsa_ieee_mode 1
		.amdhsa_fp16_overflow 0
		.amdhsa_tg_split 0
		.amdhsa_exception_fp_ieee_invalid_op 0
		.amdhsa_exception_fp_denorm_src 0
		.amdhsa_exception_fp_ieee_div_zero 0
		.amdhsa_exception_fp_ieee_overflow 0
		.amdhsa_exception_fp_ieee_underflow 0
		.amdhsa_exception_fp_ieee_inexact 0
		.amdhsa_exception_int_div_zero 0
	.end_amdhsa_kernel
	.section	.text._ZN9rocsparseL21csrmvn_general_kernelILj256ELj64Eiif21rocsparse_complex_numIfES2_S2_EEvbT2_NS_24const_host_device_scalarIT6_EEPKT1_S9_PKS3_PKT3_PKT4_S6_PT5_21rocsparse_index_base_b,"axG",@progbits,_ZN9rocsparseL21csrmvn_general_kernelILj256ELj64Eiif21rocsparse_complex_numIfES2_S2_EEvbT2_NS_24const_host_device_scalarIT6_EEPKT1_S9_PKS3_PKT3_PKT4_S6_PT5_21rocsparse_index_base_b,comdat
.Lfunc_end269:
	.size	_ZN9rocsparseL21csrmvn_general_kernelILj256ELj64Eiif21rocsparse_complex_numIfES2_S2_EEvbT2_NS_24const_host_device_scalarIT6_EEPKT1_S9_PKS3_PKT3_PKT4_S6_PT5_21rocsparse_index_base_b, .Lfunc_end269-_ZN9rocsparseL21csrmvn_general_kernelILj256ELj64Eiif21rocsparse_complex_numIfES2_S2_EEvbT2_NS_24const_host_device_scalarIT6_EEPKT1_S9_PKS3_PKT3_PKT4_S6_PT5_21rocsparse_index_base_b
                                        ; -- End function
	.section	.AMDGPU.csdata,"",@progbits
; Kernel info:
; codeLenInByte = 1012
; NumSgprs: 29
; NumVgprs: 23
; NumAgprs: 0
; TotalNumVgprs: 23
; ScratchSize: 0
; MemoryBound: 0
; FloatMode: 240
; IeeeMode: 1
; LDSByteSize: 0 bytes/workgroup (compile time only)
; SGPRBlocks: 3
; VGPRBlocks: 2
; NumSGPRsForWavesPerEU: 29
; NumVGPRsForWavesPerEU: 23
; AccumOffset: 24
; Occupancy: 8
; WaveLimiterHint : 1
; COMPUTE_PGM_RSRC2:SCRATCH_EN: 0
; COMPUTE_PGM_RSRC2:USER_SGPR: 6
; COMPUTE_PGM_RSRC2:TRAP_HANDLER: 0
; COMPUTE_PGM_RSRC2:TGID_X_EN: 1
; COMPUTE_PGM_RSRC2:TGID_Y_EN: 0
; COMPUTE_PGM_RSRC2:TGID_Z_EN: 0
; COMPUTE_PGM_RSRC2:TIDIG_COMP_CNT: 0
; COMPUTE_PGM_RSRC3_GFX90A:ACCUM_OFFSET: 5
; COMPUTE_PGM_RSRC3_GFX90A:TG_SPLIT: 0
	.section	.text._ZN9rocsparseL21csrmvt_general_kernelILj256ELj4Eiif21rocsparse_complex_numIfES2_S2_EEvbbT2_NS_24const_host_device_scalarIT6_EEPKT1_S9_PKS3_PKT3_PKT4_PT5_21rocsparse_index_base_b,"axG",@progbits,_ZN9rocsparseL21csrmvt_general_kernelILj256ELj4Eiif21rocsparse_complex_numIfES2_S2_EEvbbT2_NS_24const_host_device_scalarIT6_EEPKT1_S9_PKS3_PKT3_PKT4_PT5_21rocsparse_index_base_b,comdat
	.globl	_ZN9rocsparseL21csrmvt_general_kernelILj256ELj4Eiif21rocsparse_complex_numIfES2_S2_EEvbbT2_NS_24const_host_device_scalarIT6_EEPKT1_S9_PKS3_PKT3_PKT4_PT5_21rocsparse_index_base_b ; -- Begin function _ZN9rocsparseL21csrmvt_general_kernelILj256ELj4Eiif21rocsparse_complex_numIfES2_S2_EEvbbT2_NS_24const_host_device_scalarIT6_EEPKT1_S9_PKS3_PKT3_PKT4_PT5_21rocsparse_index_base_b
	.p2align	8
	.type	_ZN9rocsparseL21csrmvt_general_kernelILj256ELj4Eiif21rocsparse_complex_numIfES2_S2_EEvbbT2_NS_24const_host_device_scalarIT6_EEPKT1_S9_PKS3_PKT3_PKT4_PT5_21rocsparse_index_base_b,@function
_ZN9rocsparseL21csrmvt_general_kernelILj256ELj4Eiif21rocsparse_complex_numIfES2_S2_EEvbbT2_NS_24const_host_device_scalarIT6_EEPKT1_S9_PKS3_PKT3_PKT4_PT5_21rocsparse_index_base_b: ; @_ZN9rocsparseL21csrmvt_general_kernelILj256ELj4Eiif21rocsparse_complex_numIfES2_S2_EEvbbT2_NS_24const_host_device_scalarIT6_EEPKT1_S9_PKS3_PKT3_PKT4_PT5_21rocsparse_index_base_b
; %bb.0:
	s_load_dwordx2 s[20:21], s[4:5], 0x40
	s_load_dwordx4 s[16:19], s[4:5], 0x0
	s_load_dwordx4 s[0:3], s[4:5], 0x8
	s_waitcnt lgkmcnt(0)
	s_bitcmp1_b32 s21, 0
	s_cselect_b64 s[10:11], -1, 0
	s_xor_b64 s[8:9], s[10:11], -1
	s_and_b64 vcc, exec, s[10:11]
	v_mov_b32_e32 v10, s18
	s_cbranch_vccnz .LBB270_2
; %bb.1:
	v_pk_mov_b32 v[2:3], s[0:1], s[0:1] op_sel:[0,1]
	flat_load_dword v10, v[2:3]
.LBB270_2:
	s_andn2_b64 vcc, exec, s[8:9]
	v_mov_b32_e32 v11, s19
	s_cbranch_vccnz .LBB270_4
; %bb.3:
	v_pk_mov_b32 v[2:3], s[0:1], s[0:1] op_sel:[0,1]
	flat_load_dword v11, v[2:3] offset:4
.LBB270_4:
	s_waitcnt vmcnt(0) lgkmcnt(0)
	v_cmp_neq_f32_e32 vcc, 0, v10
	v_cmp_neq_f32_e64 s[0:1], 0, v11
	s_or_b64 s[0:1], vcc, s[0:1]
	s_and_saveexec_b64 s[8:9], s[0:1]
	s_cbranch_execz .LBB270_29
; %bb.5:
	s_load_dword s0, s[4:5], 0x48
	s_load_dwordx2 s[18:19], s[4:5], 0x38
	s_load_dwordx8 s[8:15], s[4:5], 0x18
	v_and_b32_e32 v1, 3, v0
	v_lshl_or_b32 v0, s6, 8, v0
	s_and_b32 s1, s16, 1
	s_waitcnt lgkmcnt(0)
	s_lshl_b32 s16, s0, 6
	v_lshrrev_b32_e32 v0, 2, v0
	s_cmp_eq_u32 s1, 0
	v_cmp_gt_i32_e64 s[0:1], s17, v0
	s_mov_b64 s[4:5], -1
	s_cbranch_scc0 .LBB270_17
; %bb.6:
	s_and_saveexec_b64 s[4:5], s[0:1]
	s_cbranch_execz .LBB270_16
; %bb.7:
	v_subrev_u32_e32 v12, s20, v1
	s_mov_b64 s[6:7], 0
	v_mov_b32_e32 v13, s3
	v_mov_b32_e32 v14, s9
	;; [unrolled: 1-line block ×3, first 2 shown]
	s_branch .LBB270_9
.LBB270_8:                              ;   in Loop: Header=BB270_9 Depth=1
	s_or_b64 exec, exec, s[22:23]
	v_add_u32_e32 v2, s16, v2
	v_cmp_le_i32_e32 vcc, s17, v2
	s_or_b64 s[6:7], vcc, s[6:7]
	s_andn2_b64 exec, exec, s[6:7]
	s_cbranch_execz .LBB270_16
.LBB270_9:                              ; =>This Loop Header: Depth=1
                                        ;     Child Loop BB270_11 Depth 2
                                        ;       Child Loop BB270_12 Depth 3
                                        ;       Child Loop BB270_14 Depth 3
	v_ashrrev_i32_e32 v3, 31, v2
	v_lshlrev_b64 v[4:5], 2, v[2:3]
	v_add_co_u32_e32 v6, vcc, s2, v4
	v_addc_co_u32_e32 v7, vcc, v13, v5, vcc
	v_add_co_u32_e32 v4, vcc, s8, v4
	v_addc_co_u32_e32 v5, vcc, v14, v5, vcc
	global_load_dword v8, v[4:5], off
	global_load_dword v9, v[6:7], off
	s_waitcnt vmcnt(1)
	v_subrev_u32_e32 v15, s20, v8
	s_waitcnt vmcnt(0)
	v_add_u32_e32 v4, v9, v12
	v_cmp_lt_i32_e32 vcc, v4, v15
	s_and_saveexec_b64 s[22:23], vcc
	s_cbranch_execz .LBB270_8
; %bb.10:                               ;   in Loop: Header=BB270_9 Depth=1
	v_lshlrev_b64 v[6:7], 3, v[2:3]
	v_mov_b32_e32 v3, s15
	v_add_co_u32_e32 v6, vcc, s14, v6
	v_addc_co_u32_e32 v7, vcc, v3, v7, vcc
	global_load_dwordx2 v[6:7], v[6:7], off
	s_mov_b64 s[24:25], 0
	s_waitcnt vmcnt(0)
	v_mul_f32_e64 v3, v7, -v11
	v_mul_f32_e32 v16, v10, v7
	v_fmac_f32_e32 v3, v10, v6
	v_fmac_f32_e32 v16, v11, v6
	v_mul_f32_e32 v17, 0x80000000, v16
	v_mul_f32_e32 v18, 0, v3
.LBB270_11:                             ;   Parent Loop BB270_9 Depth=1
                                        ; =>  This Loop Header: Depth=2
                                        ;       Child Loop BB270_12 Depth 3
                                        ;       Child Loop BB270_14 Depth 3
	v_ashrrev_i32_e32 v5, 31, v4
	v_lshlrev_b64 v[6:7], 2, v[4:5]
	v_mov_b32_e32 v5, s11
	v_add_co_u32_e32 v8, vcc, s10, v6
	v_addc_co_u32_e32 v9, vcc, v5, v7, vcc
	global_load_dword v8, v[8:9], off
	v_mov_b32_e32 v5, s13
	v_add_co_u32_e32 v6, vcc, s12, v6
	v_addc_co_u32_e32 v7, vcc, v5, v7, vcc
	global_load_dword v5, v[6:7], off
	v_mov_b32_e32 v9, s19
	s_mov_b64 s[26:27], 0
	s_waitcnt vmcnt(1)
	v_subrev_u32_e32 v6, s20, v8
	v_ashrrev_i32_e32 v7, 31, v6
	v_lshlrev_b64 v[6:7], 3, v[6:7]
	v_add_co_u32_e32 v6, vcc, s18, v6
	v_addc_co_u32_e32 v7, vcc, v9, v7, vcc
	global_load_dword v9, v[6:7], off
	s_waitcnt vmcnt(1)
	v_fma_f32 v19, v3, v5, v17
.LBB270_12:                             ;   Parent Loop BB270_9 Depth=1
                                        ;     Parent Loop BB270_11 Depth=2
                                        ; =>    This Inner Loop Header: Depth=3
	s_waitcnt vmcnt(0)
	v_add_f32_e32 v8, v9, v19
	global_atomic_cmpswap v8, v[6:7], v[8:9], off glc
	s_waitcnt vmcnt(0)
	v_cmp_eq_u32_e32 vcc, v8, v9
	s_or_b64 s[26:27], vcc, s[26:27]
	v_mov_b32_e32 v9, v8
	s_andn2_b64 exec, exec, s[26:27]
	s_cbranch_execnz .LBB270_12
; %bb.13:                               ;   in Loop: Header=BB270_11 Depth=2
	s_or_b64 exec, exec, s[26:27]
	global_load_dword v9, v[6:7], off offset:4
	v_fma_f32 v5, v16, v5, v18
	s_mov_b64 s[26:27], 0
.LBB270_14:                             ;   Parent Loop BB270_9 Depth=1
                                        ;     Parent Loop BB270_11 Depth=2
                                        ; =>    This Inner Loop Header: Depth=3
	s_waitcnt vmcnt(0)
	v_add_f32_e32 v8, v9, v5
	global_atomic_cmpswap v8, v[6:7], v[8:9], off offset:4 glc
	s_waitcnt vmcnt(0)
	v_cmp_eq_u32_e32 vcc, v8, v9
	s_or_b64 s[26:27], vcc, s[26:27]
	v_mov_b32_e32 v9, v8
	s_andn2_b64 exec, exec, s[26:27]
	s_cbranch_execnz .LBB270_14
; %bb.15:                               ;   in Loop: Header=BB270_11 Depth=2
	s_or_b64 exec, exec, s[26:27]
	v_add_u32_e32 v4, 4, v4
	v_cmp_ge_i32_e32 vcc, v4, v15
	s_or_b64 s[24:25], vcc, s[24:25]
	s_andn2_b64 exec, exec, s[24:25]
	s_cbranch_execnz .LBB270_11
	s_branch .LBB270_8
.LBB270_16:
	s_or_b64 exec, exec, s[4:5]
	s_mov_b64 s[4:5], 0
.LBB270_17:
	s_andn2_b64 vcc, exec, s[4:5]
	s_cbranch_vccnz .LBB270_29
; %bb.18:
	s_and_b64 exec, exec, s[0:1]
	s_cbranch_execz .LBB270_29
; %bb.19:
	v_subrev_u32_e32 v8, s20, v1
	s_mov_b64 s[0:1], 0
	v_mov_b32_e32 v9, s3
	v_mov_b32_e32 v12, s9
	s_branch .LBB270_21
.LBB270_20:                             ;   in Loop: Header=BB270_21 Depth=1
	s_or_b64 exec, exec, s[4:5]
	v_add_u32_e32 v0, s16, v0
	v_cmp_le_i32_e32 vcc, s17, v0
	s_or_b64 s[0:1], vcc, s[0:1]
	s_andn2_b64 exec, exec, s[0:1]
	s_cbranch_execz .LBB270_29
.LBB270_21:                             ; =>This Loop Header: Depth=1
                                        ;     Child Loop BB270_24 Depth 2
                                        ;       Child Loop BB270_26 Depth 3
                                        ;       Child Loop BB270_28 Depth 3
	v_ashrrev_i32_e32 v1, 31, v0
	v_lshlrev_b64 v[2:3], 2, v[0:1]
	v_add_co_u32_e32 v4, vcc, s2, v2
	v_addc_co_u32_e32 v5, vcc, v9, v3, vcc
	v_add_co_u32_e32 v2, vcc, s8, v2
	v_addc_co_u32_e32 v3, vcc, v12, v3, vcc
	global_load_dword v6, v[2:3], off
	global_load_dword v7, v[4:5], off
	s_waitcnt vmcnt(1)
	v_subrev_u32_e32 v13, s20, v6
	s_waitcnt vmcnt(0)
	v_add_u32_e32 v2, v7, v8
	v_cmp_lt_i32_e32 vcc, v2, v13
	s_and_saveexec_b64 s[4:5], vcc
	s_cbranch_execz .LBB270_20
; %bb.22:                               ;   in Loop: Header=BB270_21 Depth=1
	v_lshlrev_b64 v[4:5], 3, v[0:1]
	v_mov_b32_e32 v1, s15
	v_add_co_u32_e32 v4, vcc, s14, v4
	v_addc_co_u32_e32 v5, vcc, v1, v5, vcc
	global_load_dwordx2 v[4:5], v[4:5], off
	s_mov_b64 s[6:7], 0
	s_waitcnt vmcnt(0)
	v_mul_f32_e64 v1, v5, -v11
	v_mul_f32_e32 v14, v10, v5
	v_fmac_f32_e32 v1, v10, v4
	v_fmac_f32_e32 v14, v11, v4
	v_mul_f32_e32 v15, 0x80000000, v14
	v_mul_f32_e32 v16, 0, v1
	s_branch .LBB270_24
.LBB270_23:                             ;   in Loop: Header=BB270_24 Depth=2
	s_or_b64 exec, exec, s[22:23]
	v_add_u32_e32 v2, 4, v2
	v_cmp_ge_i32_e32 vcc, v2, v13
	s_or_b64 s[6:7], vcc, s[6:7]
	s_andn2_b64 exec, exec, s[6:7]
	s_cbranch_execz .LBB270_20
.LBB270_24:                             ;   Parent Loop BB270_21 Depth=1
                                        ; =>  This Loop Header: Depth=2
                                        ;       Child Loop BB270_26 Depth 3
                                        ;       Child Loop BB270_28 Depth 3
	v_ashrrev_i32_e32 v3, 31, v2
	v_lshlrev_b64 v[4:5], 2, v[2:3]
	v_mov_b32_e32 v3, s11
	v_add_co_u32_e32 v6, vcc, s10, v4
	v_addc_co_u32_e32 v7, vcc, v3, v5, vcc
	global_load_dword v3, v[6:7], off
	s_waitcnt vmcnt(0)
	v_subrev_u32_e32 v6, s20, v3
	v_cmp_ne_u32_e32 vcc, v6, v0
	s_and_saveexec_b64 s[22:23], vcc
	s_cbranch_execz .LBB270_23
; %bb.25:                               ;   in Loop: Header=BB270_24 Depth=2
	v_mov_b32_e32 v3, s13
	v_add_co_u32_e32 v4, vcc, s12, v4
	v_addc_co_u32_e32 v5, vcc, v3, v5, vcc
	v_ashrrev_i32_e32 v7, 31, v6
	global_load_dword v3, v[4:5], off
	v_lshlrev_b64 v[4:5], 3, v[6:7]
	v_mov_b32_e32 v6, s19
	v_add_co_u32_e32 v4, vcc, s18, v4
	v_addc_co_u32_e32 v5, vcc, v6, v5, vcc
	global_load_dword v7, v[4:5], off
	s_mov_b64 s[24:25], 0
	s_waitcnt vmcnt(1)
	v_fma_f32 v17, v1, v3, v15
.LBB270_26:                             ;   Parent Loop BB270_21 Depth=1
                                        ;     Parent Loop BB270_24 Depth=2
                                        ; =>    This Inner Loop Header: Depth=3
	s_waitcnt vmcnt(0)
	v_add_f32_e32 v6, v7, v17
	global_atomic_cmpswap v6, v[4:5], v[6:7], off glc
	s_waitcnt vmcnt(0)
	v_cmp_eq_u32_e32 vcc, v6, v7
	s_or_b64 s[24:25], vcc, s[24:25]
	v_mov_b32_e32 v7, v6
	s_andn2_b64 exec, exec, s[24:25]
	s_cbranch_execnz .LBB270_26
; %bb.27:                               ;   in Loop: Header=BB270_24 Depth=2
	s_or_b64 exec, exec, s[24:25]
	global_load_dword v7, v[4:5], off offset:4
	v_fma_f32 v3, v14, v3, v16
	s_mov_b64 s[24:25], 0
.LBB270_28:                             ;   Parent Loop BB270_21 Depth=1
                                        ;     Parent Loop BB270_24 Depth=2
                                        ; =>    This Inner Loop Header: Depth=3
	s_waitcnt vmcnt(0)
	v_add_f32_e32 v6, v7, v3
	global_atomic_cmpswap v6, v[4:5], v[6:7], off offset:4 glc
	s_waitcnt vmcnt(0)
	v_cmp_eq_u32_e32 vcc, v6, v7
	s_or_b64 s[24:25], vcc, s[24:25]
	v_mov_b32_e32 v7, v6
	s_andn2_b64 exec, exec, s[24:25]
	s_cbranch_execnz .LBB270_28
	s_branch .LBB270_23
.LBB270_29:
	s_endpgm
	.section	.rodata,"a",@progbits
	.p2align	6, 0x0
	.amdhsa_kernel _ZN9rocsparseL21csrmvt_general_kernelILj256ELj4Eiif21rocsparse_complex_numIfES2_S2_EEvbbT2_NS_24const_host_device_scalarIT6_EEPKT1_S9_PKS3_PKT3_PKT4_PT5_21rocsparse_index_base_b
		.amdhsa_group_segment_fixed_size 0
		.amdhsa_private_segment_fixed_size 0
		.amdhsa_kernarg_size 328
		.amdhsa_user_sgpr_count 6
		.amdhsa_user_sgpr_private_segment_buffer 1
		.amdhsa_user_sgpr_dispatch_ptr 0
		.amdhsa_user_sgpr_queue_ptr 0
		.amdhsa_user_sgpr_kernarg_segment_ptr 1
		.amdhsa_user_sgpr_dispatch_id 0
		.amdhsa_user_sgpr_flat_scratch_init 0
		.amdhsa_user_sgpr_kernarg_preload_length 0
		.amdhsa_user_sgpr_kernarg_preload_offset 0
		.amdhsa_user_sgpr_private_segment_size 0
		.amdhsa_uses_dynamic_stack 0
		.amdhsa_system_sgpr_private_segment_wavefront_offset 0
		.amdhsa_system_sgpr_workgroup_id_x 1
		.amdhsa_system_sgpr_workgroup_id_y 0
		.amdhsa_system_sgpr_workgroup_id_z 0
		.amdhsa_system_sgpr_workgroup_info 0
		.amdhsa_system_vgpr_workitem_id 0
		.amdhsa_next_free_vgpr 20
		.amdhsa_next_free_sgpr 28
		.amdhsa_accum_offset 20
		.amdhsa_reserve_vcc 1
		.amdhsa_reserve_flat_scratch 0
		.amdhsa_float_round_mode_32 0
		.amdhsa_float_round_mode_16_64 0
		.amdhsa_float_denorm_mode_32 3
		.amdhsa_float_denorm_mode_16_64 3
		.amdhsa_dx10_clamp 1
		.amdhsa_ieee_mode 1
		.amdhsa_fp16_overflow 0
		.amdhsa_tg_split 0
		.amdhsa_exception_fp_ieee_invalid_op 0
		.amdhsa_exception_fp_denorm_src 0
		.amdhsa_exception_fp_ieee_div_zero 0
		.amdhsa_exception_fp_ieee_overflow 0
		.amdhsa_exception_fp_ieee_underflow 0
		.amdhsa_exception_fp_ieee_inexact 0
		.amdhsa_exception_int_div_zero 0
	.end_amdhsa_kernel
	.section	.text._ZN9rocsparseL21csrmvt_general_kernelILj256ELj4Eiif21rocsparse_complex_numIfES2_S2_EEvbbT2_NS_24const_host_device_scalarIT6_EEPKT1_S9_PKS3_PKT3_PKT4_PT5_21rocsparse_index_base_b,"axG",@progbits,_ZN9rocsparseL21csrmvt_general_kernelILj256ELj4Eiif21rocsparse_complex_numIfES2_S2_EEvbbT2_NS_24const_host_device_scalarIT6_EEPKT1_S9_PKS3_PKT3_PKT4_PT5_21rocsparse_index_base_b,comdat
.Lfunc_end270:
	.size	_ZN9rocsparseL21csrmvt_general_kernelILj256ELj4Eiif21rocsparse_complex_numIfES2_S2_EEvbbT2_NS_24const_host_device_scalarIT6_EEPKT1_S9_PKS3_PKT3_PKT4_PT5_21rocsparse_index_base_b, .Lfunc_end270-_ZN9rocsparseL21csrmvt_general_kernelILj256ELj4Eiif21rocsparse_complex_numIfES2_S2_EEvbbT2_NS_24const_host_device_scalarIT6_EEPKT1_S9_PKS3_PKT3_PKT4_PT5_21rocsparse_index_base_b
                                        ; -- End function
	.section	.AMDGPU.csdata,"",@progbits
; Kernel info:
; codeLenInByte = 1100
; NumSgprs: 32
; NumVgprs: 20
; NumAgprs: 0
; TotalNumVgprs: 20
; ScratchSize: 0
; MemoryBound: 0
; FloatMode: 240
; IeeeMode: 1
; LDSByteSize: 0 bytes/workgroup (compile time only)
; SGPRBlocks: 3
; VGPRBlocks: 2
; NumSGPRsForWavesPerEU: 32
; NumVGPRsForWavesPerEU: 20
; AccumOffset: 20
; Occupancy: 8
; WaveLimiterHint : 1
; COMPUTE_PGM_RSRC2:SCRATCH_EN: 0
; COMPUTE_PGM_RSRC2:USER_SGPR: 6
; COMPUTE_PGM_RSRC2:TRAP_HANDLER: 0
; COMPUTE_PGM_RSRC2:TGID_X_EN: 1
; COMPUTE_PGM_RSRC2:TGID_Y_EN: 0
; COMPUTE_PGM_RSRC2:TGID_Z_EN: 0
; COMPUTE_PGM_RSRC2:TIDIG_COMP_CNT: 0
; COMPUTE_PGM_RSRC3_GFX90A:ACCUM_OFFSET: 4
; COMPUTE_PGM_RSRC3_GFX90A:TG_SPLIT: 0
	.section	.text._ZN9rocsparseL21csrmvt_general_kernelILj256ELj8Eiif21rocsparse_complex_numIfES2_S2_EEvbbT2_NS_24const_host_device_scalarIT6_EEPKT1_S9_PKS3_PKT3_PKT4_PT5_21rocsparse_index_base_b,"axG",@progbits,_ZN9rocsparseL21csrmvt_general_kernelILj256ELj8Eiif21rocsparse_complex_numIfES2_S2_EEvbbT2_NS_24const_host_device_scalarIT6_EEPKT1_S9_PKS3_PKT3_PKT4_PT5_21rocsparse_index_base_b,comdat
	.globl	_ZN9rocsparseL21csrmvt_general_kernelILj256ELj8Eiif21rocsparse_complex_numIfES2_S2_EEvbbT2_NS_24const_host_device_scalarIT6_EEPKT1_S9_PKS3_PKT3_PKT4_PT5_21rocsparse_index_base_b ; -- Begin function _ZN9rocsparseL21csrmvt_general_kernelILj256ELj8Eiif21rocsparse_complex_numIfES2_S2_EEvbbT2_NS_24const_host_device_scalarIT6_EEPKT1_S9_PKS3_PKT3_PKT4_PT5_21rocsparse_index_base_b
	.p2align	8
	.type	_ZN9rocsparseL21csrmvt_general_kernelILj256ELj8Eiif21rocsparse_complex_numIfES2_S2_EEvbbT2_NS_24const_host_device_scalarIT6_EEPKT1_S9_PKS3_PKT3_PKT4_PT5_21rocsparse_index_base_b,@function
_ZN9rocsparseL21csrmvt_general_kernelILj256ELj8Eiif21rocsparse_complex_numIfES2_S2_EEvbbT2_NS_24const_host_device_scalarIT6_EEPKT1_S9_PKS3_PKT3_PKT4_PT5_21rocsparse_index_base_b: ; @_ZN9rocsparseL21csrmvt_general_kernelILj256ELj8Eiif21rocsparse_complex_numIfES2_S2_EEvbbT2_NS_24const_host_device_scalarIT6_EEPKT1_S9_PKS3_PKT3_PKT4_PT5_21rocsparse_index_base_b
; %bb.0:
	s_load_dwordx2 s[20:21], s[4:5], 0x40
	s_load_dwordx4 s[16:19], s[4:5], 0x0
	s_load_dwordx4 s[0:3], s[4:5], 0x8
	s_waitcnt lgkmcnt(0)
	s_bitcmp1_b32 s21, 0
	s_cselect_b64 s[10:11], -1, 0
	s_xor_b64 s[8:9], s[10:11], -1
	s_and_b64 vcc, exec, s[10:11]
	v_mov_b32_e32 v10, s18
	s_cbranch_vccnz .LBB271_2
; %bb.1:
	v_pk_mov_b32 v[2:3], s[0:1], s[0:1] op_sel:[0,1]
	flat_load_dword v10, v[2:3]
.LBB271_2:
	s_andn2_b64 vcc, exec, s[8:9]
	v_mov_b32_e32 v11, s19
	s_cbranch_vccnz .LBB271_4
; %bb.3:
	v_pk_mov_b32 v[2:3], s[0:1], s[0:1] op_sel:[0,1]
	flat_load_dword v11, v[2:3] offset:4
.LBB271_4:
	s_waitcnt vmcnt(0) lgkmcnt(0)
	v_cmp_neq_f32_e32 vcc, 0, v10
	v_cmp_neq_f32_e64 s[0:1], 0, v11
	s_or_b64 s[0:1], vcc, s[0:1]
	s_and_saveexec_b64 s[8:9], s[0:1]
	s_cbranch_execz .LBB271_29
; %bb.5:
	s_load_dword s0, s[4:5], 0x48
	s_load_dwordx2 s[18:19], s[4:5], 0x38
	s_load_dwordx8 s[8:15], s[4:5], 0x18
	v_and_b32_e32 v1, 7, v0
	v_lshl_or_b32 v0, s6, 8, v0
	s_and_b32 s1, s16, 1
	s_waitcnt lgkmcnt(0)
	s_lshl_b32 s16, s0, 5
	v_lshrrev_b32_e32 v0, 3, v0
	s_cmp_eq_u32 s1, 0
	v_cmp_gt_i32_e64 s[0:1], s17, v0
	s_mov_b64 s[4:5], -1
	s_cbranch_scc0 .LBB271_17
; %bb.6:
	s_and_saveexec_b64 s[4:5], s[0:1]
	s_cbranch_execz .LBB271_16
; %bb.7:
	v_subrev_u32_e32 v12, s20, v1
	s_mov_b64 s[6:7], 0
	v_mov_b32_e32 v13, s3
	v_mov_b32_e32 v14, s9
	v_mov_b32_e32 v2, v0
	s_branch .LBB271_9
.LBB271_8:                              ;   in Loop: Header=BB271_9 Depth=1
	s_or_b64 exec, exec, s[22:23]
	v_add_u32_e32 v2, s16, v2
	v_cmp_le_i32_e32 vcc, s17, v2
	s_or_b64 s[6:7], vcc, s[6:7]
	s_andn2_b64 exec, exec, s[6:7]
	s_cbranch_execz .LBB271_16
.LBB271_9:                              ; =>This Loop Header: Depth=1
                                        ;     Child Loop BB271_11 Depth 2
                                        ;       Child Loop BB271_12 Depth 3
                                        ;       Child Loop BB271_14 Depth 3
	v_ashrrev_i32_e32 v3, 31, v2
	v_lshlrev_b64 v[4:5], 2, v[2:3]
	v_add_co_u32_e32 v6, vcc, s2, v4
	v_addc_co_u32_e32 v7, vcc, v13, v5, vcc
	v_add_co_u32_e32 v4, vcc, s8, v4
	v_addc_co_u32_e32 v5, vcc, v14, v5, vcc
	global_load_dword v8, v[4:5], off
	global_load_dword v9, v[6:7], off
	s_waitcnt vmcnt(1)
	v_subrev_u32_e32 v15, s20, v8
	s_waitcnt vmcnt(0)
	v_add_u32_e32 v4, v9, v12
	v_cmp_lt_i32_e32 vcc, v4, v15
	s_and_saveexec_b64 s[22:23], vcc
	s_cbranch_execz .LBB271_8
; %bb.10:                               ;   in Loop: Header=BB271_9 Depth=1
	v_lshlrev_b64 v[6:7], 3, v[2:3]
	v_mov_b32_e32 v3, s15
	v_add_co_u32_e32 v6, vcc, s14, v6
	v_addc_co_u32_e32 v7, vcc, v3, v7, vcc
	global_load_dwordx2 v[6:7], v[6:7], off
	s_mov_b64 s[24:25], 0
	s_waitcnt vmcnt(0)
	v_mul_f32_e64 v3, v7, -v11
	v_mul_f32_e32 v16, v10, v7
	v_fmac_f32_e32 v3, v10, v6
	v_fmac_f32_e32 v16, v11, v6
	v_mul_f32_e32 v17, 0x80000000, v16
	v_mul_f32_e32 v18, 0, v3
.LBB271_11:                             ;   Parent Loop BB271_9 Depth=1
                                        ; =>  This Loop Header: Depth=2
                                        ;       Child Loop BB271_12 Depth 3
                                        ;       Child Loop BB271_14 Depth 3
	v_ashrrev_i32_e32 v5, 31, v4
	v_lshlrev_b64 v[6:7], 2, v[4:5]
	v_mov_b32_e32 v5, s11
	v_add_co_u32_e32 v8, vcc, s10, v6
	v_addc_co_u32_e32 v9, vcc, v5, v7, vcc
	global_load_dword v8, v[8:9], off
	v_mov_b32_e32 v5, s13
	v_add_co_u32_e32 v6, vcc, s12, v6
	v_addc_co_u32_e32 v7, vcc, v5, v7, vcc
	global_load_dword v5, v[6:7], off
	v_mov_b32_e32 v9, s19
	s_mov_b64 s[26:27], 0
	s_waitcnt vmcnt(1)
	v_subrev_u32_e32 v6, s20, v8
	v_ashrrev_i32_e32 v7, 31, v6
	v_lshlrev_b64 v[6:7], 3, v[6:7]
	v_add_co_u32_e32 v6, vcc, s18, v6
	v_addc_co_u32_e32 v7, vcc, v9, v7, vcc
	global_load_dword v9, v[6:7], off
	s_waitcnt vmcnt(1)
	v_fma_f32 v19, v3, v5, v17
.LBB271_12:                             ;   Parent Loop BB271_9 Depth=1
                                        ;     Parent Loop BB271_11 Depth=2
                                        ; =>    This Inner Loop Header: Depth=3
	s_waitcnt vmcnt(0)
	v_add_f32_e32 v8, v9, v19
	global_atomic_cmpswap v8, v[6:7], v[8:9], off glc
	s_waitcnt vmcnt(0)
	v_cmp_eq_u32_e32 vcc, v8, v9
	s_or_b64 s[26:27], vcc, s[26:27]
	v_mov_b32_e32 v9, v8
	s_andn2_b64 exec, exec, s[26:27]
	s_cbranch_execnz .LBB271_12
; %bb.13:                               ;   in Loop: Header=BB271_11 Depth=2
	s_or_b64 exec, exec, s[26:27]
	global_load_dword v9, v[6:7], off offset:4
	v_fma_f32 v5, v16, v5, v18
	s_mov_b64 s[26:27], 0
.LBB271_14:                             ;   Parent Loop BB271_9 Depth=1
                                        ;     Parent Loop BB271_11 Depth=2
                                        ; =>    This Inner Loop Header: Depth=3
	s_waitcnt vmcnt(0)
	v_add_f32_e32 v8, v9, v5
	global_atomic_cmpswap v8, v[6:7], v[8:9], off offset:4 glc
	s_waitcnt vmcnt(0)
	v_cmp_eq_u32_e32 vcc, v8, v9
	s_or_b64 s[26:27], vcc, s[26:27]
	v_mov_b32_e32 v9, v8
	s_andn2_b64 exec, exec, s[26:27]
	s_cbranch_execnz .LBB271_14
; %bb.15:                               ;   in Loop: Header=BB271_11 Depth=2
	s_or_b64 exec, exec, s[26:27]
	v_add_u32_e32 v4, 8, v4
	v_cmp_ge_i32_e32 vcc, v4, v15
	s_or_b64 s[24:25], vcc, s[24:25]
	s_andn2_b64 exec, exec, s[24:25]
	s_cbranch_execnz .LBB271_11
	s_branch .LBB271_8
.LBB271_16:
	s_or_b64 exec, exec, s[4:5]
	s_mov_b64 s[4:5], 0
.LBB271_17:
	s_andn2_b64 vcc, exec, s[4:5]
	s_cbranch_vccnz .LBB271_29
; %bb.18:
	s_and_b64 exec, exec, s[0:1]
	s_cbranch_execz .LBB271_29
; %bb.19:
	v_subrev_u32_e32 v8, s20, v1
	s_mov_b64 s[0:1], 0
	v_mov_b32_e32 v9, s3
	v_mov_b32_e32 v12, s9
	s_branch .LBB271_21
.LBB271_20:                             ;   in Loop: Header=BB271_21 Depth=1
	s_or_b64 exec, exec, s[4:5]
	v_add_u32_e32 v0, s16, v0
	v_cmp_le_i32_e32 vcc, s17, v0
	s_or_b64 s[0:1], vcc, s[0:1]
	s_andn2_b64 exec, exec, s[0:1]
	s_cbranch_execz .LBB271_29
.LBB271_21:                             ; =>This Loop Header: Depth=1
                                        ;     Child Loop BB271_24 Depth 2
                                        ;       Child Loop BB271_26 Depth 3
                                        ;       Child Loop BB271_28 Depth 3
	v_ashrrev_i32_e32 v1, 31, v0
	v_lshlrev_b64 v[2:3], 2, v[0:1]
	v_add_co_u32_e32 v4, vcc, s2, v2
	v_addc_co_u32_e32 v5, vcc, v9, v3, vcc
	v_add_co_u32_e32 v2, vcc, s8, v2
	v_addc_co_u32_e32 v3, vcc, v12, v3, vcc
	global_load_dword v6, v[2:3], off
	global_load_dword v7, v[4:5], off
	s_waitcnt vmcnt(1)
	v_subrev_u32_e32 v13, s20, v6
	s_waitcnt vmcnt(0)
	v_add_u32_e32 v2, v7, v8
	v_cmp_lt_i32_e32 vcc, v2, v13
	s_and_saveexec_b64 s[4:5], vcc
	s_cbranch_execz .LBB271_20
; %bb.22:                               ;   in Loop: Header=BB271_21 Depth=1
	v_lshlrev_b64 v[4:5], 3, v[0:1]
	v_mov_b32_e32 v1, s15
	v_add_co_u32_e32 v4, vcc, s14, v4
	v_addc_co_u32_e32 v5, vcc, v1, v5, vcc
	global_load_dwordx2 v[4:5], v[4:5], off
	s_mov_b64 s[6:7], 0
	s_waitcnt vmcnt(0)
	v_mul_f32_e64 v1, v5, -v11
	v_mul_f32_e32 v14, v10, v5
	v_fmac_f32_e32 v1, v10, v4
	v_fmac_f32_e32 v14, v11, v4
	v_mul_f32_e32 v15, 0x80000000, v14
	v_mul_f32_e32 v16, 0, v1
	s_branch .LBB271_24
.LBB271_23:                             ;   in Loop: Header=BB271_24 Depth=2
	s_or_b64 exec, exec, s[22:23]
	v_add_u32_e32 v2, 8, v2
	v_cmp_ge_i32_e32 vcc, v2, v13
	s_or_b64 s[6:7], vcc, s[6:7]
	s_andn2_b64 exec, exec, s[6:7]
	s_cbranch_execz .LBB271_20
.LBB271_24:                             ;   Parent Loop BB271_21 Depth=1
                                        ; =>  This Loop Header: Depth=2
                                        ;       Child Loop BB271_26 Depth 3
                                        ;       Child Loop BB271_28 Depth 3
	v_ashrrev_i32_e32 v3, 31, v2
	v_lshlrev_b64 v[4:5], 2, v[2:3]
	v_mov_b32_e32 v3, s11
	v_add_co_u32_e32 v6, vcc, s10, v4
	v_addc_co_u32_e32 v7, vcc, v3, v5, vcc
	global_load_dword v3, v[6:7], off
	s_waitcnt vmcnt(0)
	v_subrev_u32_e32 v6, s20, v3
	v_cmp_ne_u32_e32 vcc, v6, v0
	s_and_saveexec_b64 s[22:23], vcc
	s_cbranch_execz .LBB271_23
; %bb.25:                               ;   in Loop: Header=BB271_24 Depth=2
	v_mov_b32_e32 v3, s13
	v_add_co_u32_e32 v4, vcc, s12, v4
	v_addc_co_u32_e32 v5, vcc, v3, v5, vcc
	v_ashrrev_i32_e32 v7, 31, v6
	global_load_dword v3, v[4:5], off
	v_lshlrev_b64 v[4:5], 3, v[6:7]
	v_mov_b32_e32 v6, s19
	v_add_co_u32_e32 v4, vcc, s18, v4
	v_addc_co_u32_e32 v5, vcc, v6, v5, vcc
	global_load_dword v7, v[4:5], off
	s_mov_b64 s[24:25], 0
	s_waitcnt vmcnt(1)
	v_fma_f32 v17, v1, v3, v15
.LBB271_26:                             ;   Parent Loop BB271_21 Depth=1
                                        ;     Parent Loop BB271_24 Depth=2
                                        ; =>    This Inner Loop Header: Depth=3
	s_waitcnt vmcnt(0)
	v_add_f32_e32 v6, v7, v17
	global_atomic_cmpswap v6, v[4:5], v[6:7], off glc
	s_waitcnt vmcnt(0)
	v_cmp_eq_u32_e32 vcc, v6, v7
	s_or_b64 s[24:25], vcc, s[24:25]
	v_mov_b32_e32 v7, v6
	s_andn2_b64 exec, exec, s[24:25]
	s_cbranch_execnz .LBB271_26
; %bb.27:                               ;   in Loop: Header=BB271_24 Depth=2
	s_or_b64 exec, exec, s[24:25]
	global_load_dword v7, v[4:5], off offset:4
	v_fma_f32 v3, v14, v3, v16
	s_mov_b64 s[24:25], 0
.LBB271_28:                             ;   Parent Loop BB271_21 Depth=1
                                        ;     Parent Loop BB271_24 Depth=2
                                        ; =>    This Inner Loop Header: Depth=3
	s_waitcnt vmcnt(0)
	v_add_f32_e32 v6, v7, v3
	global_atomic_cmpswap v6, v[4:5], v[6:7], off offset:4 glc
	s_waitcnt vmcnt(0)
	v_cmp_eq_u32_e32 vcc, v6, v7
	s_or_b64 s[24:25], vcc, s[24:25]
	v_mov_b32_e32 v7, v6
	s_andn2_b64 exec, exec, s[24:25]
	s_cbranch_execnz .LBB271_28
	s_branch .LBB271_23
.LBB271_29:
	s_endpgm
	.section	.rodata,"a",@progbits
	.p2align	6, 0x0
	.amdhsa_kernel _ZN9rocsparseL21csrmvt_general_kernelILj256ELj8Eiif21rocsparse_complex_numIfES2_S2_EEvbbT2_NS_24const_host_device_scalarIT6_EEPKT1_S9_PKS3_PKT3_PKT4_PT5_21rocsparse_index_base_b
		.amdhsa_group_segment_fixed_size 0
		.amdhsa_private_segment_fixed_size 0
		.amdhsa_kernarg_size 328
		.amdhsa_user_sgpr_count 6
		.amdhsa_user_sgpr_private_segment_buffer 1
		.amdhsa_user_sgpr_dispatch_ptr 0
		.amdhsa_user_sgpr_queue_ptr 0
		.amdhsa_user_sgpr_kernarg_segment_ptr 1
		.amdhsa_user_sgpr_dispatch_id 0
		.amdhsa_user_sgpr_flat_scratch_init 0
		.amdhsa_user_sgpr_kernarg_preload_length 0
		.amdhsa_user_sgpr_kernarg_preload_offset 0
		.amdhsa_user_sgpr_private_segment_size 0
		.amdhsa_uses_dynamic_stack 0
		.amdhsa_system_sgpr_private_segment_wavefront_offset 0
		.amdhsa_system_sgpr_workgroup_id_x 1
		.amdhsa_system_sgpr_workgroup_id_y 0
		.amdhsa_system_sgpr_workgroup_id_z 0
		.amdhsa_system_sgpr_workgroup_info 0
		.amdhsa_system_vgpr_workitem_id 0
		.amdhsa_next_free_vgpr 20
		.amdhsa_next_free_sgpr 28
		.amdhsa_accum_offset 20
		.amdhsa_reserve_vcc 1
		.amdhsa_reserve_flat_scratch 0
		.amdhsa_float_round_mode_32 0
		.amdhsa_float_round_mode_16_64 0
		.amdhsa_float_denorm_mode_32 3
		.amdhsa_float_denorm_mode_16_64 3
		.amdhsa_dx10_clamp 1
		.amdhsa_ieee_mode 1
		.amdhsa_fp16_overflow 0
		.amdhsa_tg_split 0
		.amdhsa_exception_fp_ieee_invalid_op 0
		.amdhsa_exception_fp_denorm_src 0
		.amdhsa_exception_fp_ieee_div_zero 0
		.amdhsa_exception_fp_ieee_overflow 0
		.amdhsa_exception_fp_ieee_underflow 0
		.amdhsa_exception_fp_ieee_inexact 0
		.amdhsa_exception_int_div_zero 0
	.end_amdhsa_kernel
	.section	.text._ZN9rocsparseL21csrmvt_general_kernelILj256ELj8Eiif21rocsparse_complex_numIfES2_S2_EEvbbT2_NS_24const_host_device_scalarIT6_EEPKT1_S9_PKS3_PKT3_PKT4_PT5_21rocsparse_index_base_b,"axG",@progbits,_ZN9rocsparseL21csrmvt_general_kernelILj256ELj8Eiif21rocsparse_complex_numIfES2_S2_EEvbbT2_NS_24const_host_device_scalarIT6_EEPKT1_S9_PKS3_PKT3_PKT4_PT5_21rocsparse_index_base_b,comdat
.Lfunc_end271:
	.size	_ZN9rocsparseL21csrmvt_general_kernelILj256ELj8Eiif21rocsparse_complex_numIfES2_S2_EEvbbT2_NS_24const_host_device_scalarIT6_EEPKT1_S9_PKS3_PKT3_PKT4_PT5_21rocsparse_index_base_b, .Lfunc_end271-_ZN9rocsparseL21csrmvt_general_kernelILj256ELj8Eiif21rocsparse_complex_numIfES2_S2_EEvbbT2_NS_24const_host_device_scalarIT6_EEPKT1_S9_PKS3_PKT3_PKT4_PT5_21rocsparse_index_base_b
                                        ; -- End function
	.section	.AMDGPU.csdata,"",@progbits
; Kernel info:
; codeLenInByte = 1100
; NumSgprs: 32
; NumVgprs: 20
; NumAgprs: 0
; TotalNumVgprs: 20
; ScratchSize: 0
; MemoryBound: 0
; FloatMode: 240
; IeeeMode: 1
; LDSByteSize: 0 bytes/workgroup (compile time only)
; SGPRBlocks: 3
; VGPRBlocks: 2
; NumSGPRsForWavesPerEU: 32
; NumVGPRsForWavesPerEU: 20
; AccumOffset: 20
; Occupancy: 8
; WaveLimiterHint : 1
; COMPUTE_PGM_RSRC2:SCRATCH_EN: 0
; COMPUTE_PGM_RSRC2:USER_SGPR: 6
; COMPUTE_PGM_RSRC2:TRAP_HANDLER: 0
; COMPUTE_PGM_RSRC2:TGID_X_EN: 1
; COMPUTE_PGM_RSRC2:TGID_Y_EN: 0
; COMPUTE_PGM_RSRC2:TGID_Z_EN: 0
; COMPUTE_PGM_RSRC2:TIDIG_COMP_CNT: 0
; COMPUTE_PGM_RSRC3_GFX90A:ACCUM_OFFSET: 4
; COMPUTE_PGM_RSRC3_GFX90A:TG_SPLIT: 0
	.section	.text._ZN9rocsparseL21csrmvt_general_kernelILj256ELj16Eiif21rocsparse_complex_numIfES2_S2_EEvbbT2_NS_24const_host_device_scalarIT6_EEPKT1_S9_PKS3_PKT3_PKT4_PT5_21rocsparse_index_base_b,"axG",@progbits,_ZN9rocsparseL21csrmvt_general_kernelILj256ELj16Eiif21rocsparse_complex_numIfES2_S2_EEvbbT2_NS_24const_host_device_scalarIT6_EEPKT1_S9_PKS3_PKT3_PKT4_PT5_21rocsparse_index_base_b,comdat
	.globl	_ZN9rocsparseL21csrmvt_general_kernelILj256ELj16Eiif21rocsparse_complex_numIfES2_S2_EEvbbT2_NS_24const_host_device_scalarIT6_EEPKT1_S9_PKS3_PKT3_PKT4_PT5_21rocsparse_index_base_b ; -- Begin function _ZN9rocsparseL21csrmvt_general_kernelILj256ELj16Eiif21rocsparse_complex_numIfES2_S2_EEvbbT2_NS_24const_host_device_scalarIT6_EEPKT1_S9_PKS3_PKT3_PKT4_PT5_21rocsparse_index_base_b
	.p2align	8
	.type	_ZN9rocsparseL21csrmvt_general_kernelILj256ELj16Eiif21rocsparse_complex_numIfES2_S2_EEvbbT2_NS_24const_host_device_scalarIT6_EEPKT1_S9_PKS3_PKT3_PKT4_PT5_21rocsparse_index_base_b,@function
_ZN9rocsparseL21csrmvt_general_kernelILj256ELj16Eiif21rocsparse_complex_numIfES2_S2_EEvbbT2_NS_24const_host_device_scalarIT6_EEPKT1_S9_PKS3_PKT3_PKT4_PT5_21rocsparse_index_base_b: ; @_ZN9rocsparseL21csrmvt_general_kernelILj256ELj16Eiif21rocsparse_complex_numIfES2_S2_EEvbbT2_NS_24const_host_device_scalarIT6_EEPKT1_S9_PKS3_PKT3_PKT4_PT5_21rocsparse_index_base_b
; %bb.0:
	s_load_dwordx2 s[20:21], s[4:5], 0x40
	s_load_dwordx4 s[16:19], s[4:5], 0x0
	s_load_dwordx4 s[0:3], s[4:5], 0x8
	s_waitcnt lgkmcnt(0)
	s_bitcmp1_b32 s21, 0
	s_cselect_b64 s[10:11], -1, 0
	s_xor_b64 s[8:9], s[10:11], -1
	s_and_b64 vcc, exec, s[10:11]
	v_mov_b32_e32 v10, s18
	s_cbranch_vccnz .LBB272_2
; %bb.1:
	v_pk_mov_b32 v[2:3], s[0:1], s[0:1] op_sel:[0,1]
	flat_load_dword v10, v[2:3]
.LBB272_2:
	s_andn2_b64 vcc, exec, s[8:9]
	v_mov_b32_e32 v11, s19
	s_cbranch_vccnz .LBB272_4
; %bb.3:
	v_pk_mov_b32 v[2:3], s[0:1], s[0:1] op_sel:[0,1]
	flat_load_dword v11, v[2:3] offset:4
.LBB272_4:
	s_waitcnt vmcnt(0) lgkmcnt(0)
	v_cmp_neq_f32_e32 vcc, 0, v10
	v_cmp_neq_f32_e64 s[0:1], 0, v11
	s_or_b64 s[0:1], vcc, s[0:1]
	s_and_saveexec_b64 s[8:9], s[0:1]
	s_cbranch_execz .LBB272_29
; %bb.5:
	s_load_dword s0, s[4:5], 0x48
	s_load_dwordx2 s[18:19], s[4:5], 0x38
	s_load_dwordx8 s[8:15], s[4:5], 0x18
	v_and_b32_e32 v1, 15, v0
	v_lshl_or_b32 v0, s6, 8, v0
	s_and_b32 s1, s16, 1
	s_waitcnt lgkmcnt(0)
	s_lshl_b32 s16, s0, 4
	v_lshrrev_b32_e32 v0, 4, v0
	s_cmp_eq_u32 s1, 0
	v_cmp_gt_i32_e64 s[0:1], s17, v0
	s_mov_b64 s[4:5], -1
	s_cbranch_scc0 .LBB272_17
; %bb.6:
	s_and_saveexec_b64 s[4:5], s[0:1]
	s_cbranch_execz .LBB272_16
; %bb.7:
	v_subrev_u32_e32 v12, s20, v1
	s_mov_b64 s[6:7], 0
	v_mov_b32_e32 v13, s3
	v_mov_b32_e32 v14, s9
	;; [unrolled: 1-line block ×3, first 2 shown]
	s_branch .LBB272_9
.LBB272_8:                              ;   in Loop: Header=BB272_9 Depth=1
	s_or_b64 exec, exec, s[22:23]
	v_add_u32_e32 v2, s16, v2
	v_cmp_le_i32_e32 vcc, s17, v2
	s_or_b64 s[6:7], vcc, s[6:7]
	s_andn2_b64 exec, exec, s[6:7]
	s_cbranch_execz .LBB272_16
.LBB272_9:                              ; =>This Loop Header: Depth=1
                                        ;     Child Loop BB272_11 Depth 2
                                        ;       Child Loop BB272_12 Depth 3
                                        ;       Child Loop BB272_14 Depth 3
	v_ashrrev_i32_e32 v3, 31, v2
	v_lshlrev_b64 v[4:5], 2, v[2:3]
	v_add_co_u32_e32 v6, vcc, s2, v4
	v_addc_co_u32_e32 v7, vcc, v13, v5, vcc
	v_add_co_u32_e32 v4, vcc, s8, v4
	v_addc_co_u32_e32 v5, vcc, v14, v5, vcc
	global_load_dword v8, v[4:5], off
	global_load_dword v9, v[6:7], off
	s_waitcnt vmcnt(1)
	v_subrev_u32_e32 v15, s20, v8
	s_waitcnt vmcnt(0)
	v_add_u32_e32 v4, v9, v12
	v_cmp_lt_i32_e32 vcc, v4, v15
	s_and_saveexec_b64 s[22:23], vcc
	s_cbranch_execz .LBB272_8
; %bb.10:                               ;   in Loop: Header=BB272_9 Depth=1
	v_lshlrev_b64 v[6:7], 3, v[2:3]
	v_mov_b32_e32 v3, s15
	v_add_co_u32_e32 v6, vcc, s14, v6
	v_addc_co_u32_e32 v7, vcc, v3, v7, vcc
	global_load_dwordx2 v[6:7], v[6:7], off
	s_mov_b64 s[24:25], 0
	s_waitcnt vmcnt(0)
	v_mul_f32_e64 v3, v7, -v11
	v_mul_f32_e32 v16, v10, v7
	v_fmac_f32_e32 v3, v10, v6
	v_fmac_f32_e32 v16, v11, v6
	v_mul_f32_e32 v17, 0x80000000, v16
	v_mul_f32_e32 v18, 0, v3
.LBB272_11:                             ;   Parent Loop BB272_9 Depth=1
                                        ; =>  This Loop Header: Depth=2
                                        ;       Child Loop BB272_12 Depth 3
                                        ;       Child Loop BB272_14 Depth 3
	v_ashrrev_i32_e32 v5, 31, v4
	v_lshlrev_b64 v[6:7], 2, v[4:5]
	v_mov_b32_e32 v5, s11
	v_add_co_u32_e32 v8, vcc, s10, v6
	v_addc_co_u32_e32 v9, vcc, v5, v7, vcc
	global_load_dword v8, v[8:9], off
	v_mov_b32_e32 v5, s13
	v_add_co_u32_e32 v6, vcc, s12, v6
	v_addc_co_u32_e32 v7, vcc, v5, v7, vcc
	global_load_dword v5, v[6:7], off
	v_mov_b32_e32 v9, s19
	s_mov_b64 s[26:27], 0
	s_waitcnt vmcnt(1)
	v_subrev_u32_e32 v6, s20, v8
	v_ashrrev_i32_e32 v7, 31, v6
	v_lshlrev_b64 v[6:7], 3, v[6:7]
	v_add_co_u32_e32 v6, vcc, s18, v6
	v_addc_co_u32_e32 v7, vcc, v9, v7, vcc
	global_load_dword v9, v[6:7], off
	s_waitcnt vmcnt(1)
	v_fma_f32 v19, v3, v5, v17
.LBB272_12:                             ;   Parent Loop BB272_9 Depth=1
                                        ;     Parent Loop BB272_11 Depth=2
                                        ; =>    This Inner Loop Header: Depth=3
	s_waitcnt vmcnt(0)
	v_add_f32_e32 v8, v9, v19
	global_atomic_cmpswap v8, v[6:7], v[8:9], off glc
	s_waitcnt vmcnt(0)
	v_cmp_eq_u32_e32 vcc, v8, v9
	s_or_b64 s[26:27], vcc, s[26:27]
	v_mov_b32_e32 v9, v8
	s_andn2_b64 exec, exec, s[26:27]
	s_cbranch_execnz .LBB272_12
; %bb.13:                               ;   in Loop: Header=BB272_11 Depth=2
	s_or_b64 exec, exec, s[26:27]
	global_load_dword v9, v[6:7], off offset:4
	v_fma_f32 v5, v16, v5, v18
	s_mov_b64 s[26:27], 0
.LBB272_14:                             ;   Parent Loop BB272_9 Depth=1
                                        ;     Parent Loop BB272_11 Depth=2
                                        ; =>    This Inner Loop Header: Depth=3
	s_waitcnt vmcnt(0)
	v_add_f32_e32 v8, v9, v5
	global_atomic_cmpswap v8, v[6:7], v[8:9], off offset:4 glc
	s_waitcnt vmcnt(0)
	v_cmp_eq_u32_e32 vcc, v8, v9
	s_or_b64 s[26:27], vcc, s[26:27]
	v_mov_b32_e32 v9, v8
	s_andn2_b64 exec, exec, s[26:27]
	s_cbranch_execnz .LBB272_14
; %bb.15:                               ;   in Loop: Header=BB272_11 Depth=2
	s_or_b64 exec, exec, s[26:27]
	v_add_u32_e32 v4, 16, v4
	v_cmp_ge_i32_e32 vcc, v4, v15
	s_or_b64 s[24:25], vcc, s[24:25]
	s_andn2_b64 exec, exec, s[24:25]
	s_cbranch_execnz .LBB272_11
	s_branch .LBB272_8
.LBB272_16:
	s_or_b64 exec, exec, s[4:5]
	s_mov_b64 s[4:5], 0
.LBB272_17:
	s_andn2_b64 vcc, exec, s[4:5]
	s_cbranch_vccnz .LBB272_29
; %bb.18:
	s_and_b64 exec, exec, s[0:1]
	s_cbranch_execz .LBB272_29
; %bb.19:
	v_subrev_u32_e32 v8, s20, v1
	s_mov_b64 s[0:1], 0
	v_mov_b32_e32 v9, s3
	v_mov_b32_e32 v12, s9
	s_branch .LBB272_21
.LBB272_20:                             ;   in Loop: Header=BB272_21 Depth=1
	s_or_b64 exec, exec, s[4:5]
	v_add_u32_e32 v0, s16, v0
	v_cmp_le_i32_e32 vcc, s17, v0
	s_or_b64 s[0:1], vcc, s[0:1]
	s_andn2_b64 exec, exec, s[0:1]
	s_cbranch_execz .LBB272_29
.LBB272_21:                             ; =>This Loop Header: Depth=1
                                        ;     Child Loop BB272_24 Depth 2
                                        ;       Child Loop BB272_26 Depth 3
                                        ;       Child Loop BB272_28 Depth 3
	v_ashrrev_i32_e32 v1, 31, v0
	v_lshlrev_b64 v[2:3], 2, v[0:1]
	v_add_co_u32_e32 v4, vcc, s2, v2
	v_addc_co_u32_e32 v5, vcc, v9, v3, vcc
	v_add_co_u32_e32 v2, vcc, s8, v2
	v_addc_co_u32_e32 v3, vcc, v12, v3, vcc
	global_load_dword v6, v[2:3], off
	global_load_dword v7, v[4:5], off
	s_waitcnt vmcnt(1)
	v_subrev_u32_e32 v13, s20, v6
	s_waitcnt vmcnt(0)
	v_add_u32_e32 v2, v7, v8
	v_cmp_lt_i32_e32 vcc, v2, v13
	s_and_saveexec_b64 s[4:5], vcc
	s_cbranch_execz .LBB272_20
; %bb.22:                               ;   in Loop: Header=BB272_21 Depth=1
	v_lshlrev_b64 v[4:5], 3, v[0:1]
	v_mov_b32_e32 v1, s15
	v_add_co_u32_e32 v4, vcc, s14, v4
	v_addc_co_u32_e32 v5, vcc, v1, v5, vcc
	global_load_dwordx2 v[4:5], v[4:5], off
	s_mov_b64 s[6:7], 0
	s_waitcnt vmcnt(0)
	v_mul_f32_e64 v1, v5, -v11
	v_mul_f32_e32 v14, v10, v5
	v_fmac_f32_e32 v1, v10, v4
	v_fmac_f32_e32 v14, v11, v4
	v_mul_f32_e32 v15, 0x80000000, v14
	v_mul_f32_e32 v16, 0, v1
	s_branch .LBB272_24
.LBB272_23:                             ;   in Loop: Header=BB272_24 Depth=2
	s_or_b64 exec, exec, s[22:23]
	v_add_u32_e32 v2, 16, v2
	v_cmp_ge_i32_e32 vcc, v2, v13
	s_or_b64 s[6:7], vcc, s[6:7]
	s_andn2_b64 exec, exec, s[6:7]
	s_cbranch_execz .LBB272_20
.LBB272_24:                             ;   Parent Loop BB272_21 Depth=1
                                        ; =>  This Loop Header: Depth=2
                                        ;       Child Loop BB272_26 Depth 3
                                        ;       Child Loop BB272_28 Depth 3
	v_ashrrev_i32_e32 v3, 31, v2
	v_lshlrev_b64 v[4:5], 2, v[2:3]
	v_mov_b32_e32 v3, s11
	v_add_co_u32_e32 v6, vcc, s10, v4
	v_addc_co_u32_e32 v7, vcc, v3, v5, vcc
	global_load_dword v3, v[6:7], off
	s_waitcnt vmcnt(0)
	v_subrev_u32_e32 v6, s20, v3
	v_cmp_ne_u32_e32 vcc, v6, v0
	s_and_saveexec_b64 s[22:23], vcc
	s_cbranch_execz .LBB272_23
; %bb.25:                               ;   in Loop: Header=BB272_24 Depth=2
	v_mov_b32_e32 v3, s13
	v_add_co_u32_e32 v4, vcc, s12, v4
	v_addc_co_u32_e32 v5, vcc, v3, v5, vcc
	v_ashrrev_i32_e32 v7, 31, v6
	global_load_dword v3, v[4:5], off
	v_lshlrev_b64 v[4:5], 3, v[6:7]
	v_mov_b32_e32 v6, s19
	v_add_co_u32_e32 v4, vcc, s18, v4
	v_addc_co_u32_e32 v5, vcc, v6, v5, vcc
	global_load_dword v7, v[4:5], off
	s_mov_b64 s[24:25], 0
	s_waitcnt vmcnt(1)
	v_fma_f32 v17, v1, v3, v15
.LBB272_26:                             ;   Parent Loop BB272_21 Depth=1
                                        ;     Parent Loop BB272_24 Depth=2
                                        ; =>    This Inner Loop Header: Depth=3
	s_waitcnt vmcnt(0)
	v_add_f32_e32 v6, v7, v17
	global_atomic_cmpswap v6, v[4:5], v[6:7], off glc
	s_waitcnt vmcnt(0)
	v_cmp_eq_u32_e32 vcc, v6, v7
	s_or_b64 s[24:25], vcc, s[24:25]
	v_mov_b32_e32 v7, v6
	s_andn2_b64 exec, exec, s[24:25]
	s_cbranch_execnz .LBB272_26
; %bb.27:                               ;   in Loop: Header=BB272_24 Depth=2
	s_or_b64 exec, exec, s[24:25]
	global_load_dword v7, v[4:5], off offset:4
	v_fma_f32 v3, v14, v3, v16
	s_mov_b64 s[24:25], 0
.LBB272_28:                             ;   Parent Loop BB272_21 Depth=1
                                        ;     Parent Loop BB272_24 Depth=2
                                        ; =>    This Inner Loop Header: Depth=3
	s_waitcnt vmcnt(0)
	v_add_f32_e32 v6, v7, v3
	global_atomic_cmpswap v6, v[4:5], v[6:7], off offset:4 glc
	s_waitcnt vmcnt(0)
	v_cmp_eq_u32_e32 vcc, v6, v7
	s_or_b64 s[24:25], vcc, s[24:25]
	v_mov_b32_e32 v7, v6
	s_andn2_b64 exec, exec, s[24:25]
	s_cbranch_execnz .LBB272_28
	s_branch .LBB272_23
.LBB272_29:
	s_endpgm
	.section	.rodata,"a",@progbits
	.p2align	6, 0x0
	.amdhsa_kernel _ZN9rocsparseL21csrmvt_general_kernelILj256ELj16Eiif21rocsparse_complex_numIfES2_S2_EEvbbT2_NS_24const_host_device_scalarIT6_EEPKT1_S9_PKS3_PKT3_PKT4_PT5_21rocsparse_index_base_b
		.amdhsa_group_segment_fixed_size 0
		.amdhsa_private_segment_fixed_size 0
		.amdhsa_kernarg_size 328
		.amdhsa_user_sgpr_count 6
		.amdhsa_user_sgpr_private_segment_buffer 1
		.amdhsa_user_sgpr_dispatch_ptr 0
		.amdhsa_user_sgpr_queue_ptr 0
		.amdhsa_user_sgpr_kernarg_segment_ptr 1
		.amdhsa_user_sgpr_dispatch_id 0
		.amdhsa_user_sgpr_flat_scratch_init 0
		.amdhsa_user_sgpr_kernarg_preload_length 0
		.amdhsa_user_sgpr_kernarg_preload_offset 0
		.amdhsa_user_sgpr_private_segment_size 0
		.amdhsa_uses_dynamic_stack 0
		.amdhsa_system_sgpr_private_segment_wavefront_offset 0
		.amdhsa_system_sgpr_workgroup_id_x 1
		.amdhsa_system_sgpr_workgroup_id_y 0
		.amdhsa_system_sgpr_workgroup_id_z 0
		.amdhsa_system_sgpr_workgroup_info 0
		.amdhsa_system_vgpr_workitem_id 0
		.amdhsa_next_free_vgpr 20
		.amdhsa_next_free_sgpr 28
		.amdhsa_accum_offset 20
		.amdhsa_reserve_vcc 1
		.amdhsa_reserve_flat_scratch 0
		.amdhsa_float_round_mode_32 0
		.amdhsa_float_round_mode_16_64 0
		.amdhsa_float_denorm_mode_32 3
		.amdhsa_float_denorm_mode_16_64 3
		.amdhsa_dx10_clamp 1
		.amdhsa_ieee_mode 1
		.amdhsa_fp16_overflow 0
		.amdhsa_tg_split 0
		.amdhsa_exception_fp_ieee_invalid_op 0
		.amdhsa_exception_fp_denorm_src 0
		.amdhsa_exception_fp_ieee_div_zero 0
		.amdhsa_exception_fp_ieee_overflow 0
		.amdhsa_exception_fp_ieee_underflow 0
		.amdhsa_exception_fp_ieee_inexact 0
		.amdhsa_exception_int_div_zero 0
	.end_amdhsa_kernel
	.section	.text._ZN9rocsparseL21csrmvt_general_kernelILj256ELj16Eiif21rocsparse_complex_numIfES2_S2_EEvbbT2_NS_24const_host_device_scalarIT6_EEPKT1_S9_PKS3_PKT3_PKT4_PT5_21rocsparse_index_base_b,"axG",@progbits,_ZN9rocsparseL21csrmvt_general_kernelILj256ELj16Eiif21rocsparse_complex_numIfES2_S2_EEvbbT2_NS_24const_host_device_scalarIT6_EEPKT1_S9_PKS3_PKT3_PKT4_PT5_21rocsparse_index_base_b,comdat
.Lfunc_end272:
	.size	_ZN9rocsparseL21csrmvt_general_kernelILj256ELj16Eiif21rocsparse_complex_numIfES2_S2_EEvbbT2_NS_24const_host_device_scalarIT6_EEPKT1_S9_PKS3_PKT3_PKT4_PT5_21rocsparse_index_base_b, .Lfunc_end272-_ZN9rocsparseL21csrmvt_general_kernelILj256ELj16Eiif21rocsparse_complex_numIfES2_S2_EEvbbT2_NS_24const_host_device_scalarIT6_EEPKT1_S9_PKS3_PKT3_PKT4_PT5_21rocsparse_index_base_b
                                        ; -- End function
	.section	.AMDGPU.csdata,"",@progbits
; Kernel info:
; codeLenInByte = 1100
; NumSgprs: 32
; NumVgprs: 20
; NumAgprs: 0
; TotalNumVgprs: 20
; ScratchSize: 0
; MemoryBound: 0
; FloatMode: 240
; IeeeMode: 1
; LDSByteSize: 0 bytes/workgroup (compile time only)
; SGPRBlocks: 3
; VGPRBlocks: 2
; NumSGPRsForWavesPerEU: 32
; NumVGPRsForWavesPerEU: 20
; AccumOffset: 20
; Occupancy: 8
; WaveLimiterHint : 1
; COMPUTE_PGM_RSRC2:SCRATCH_EN: 0
; COMPUTE_PGM_RSRC2:USER_SGPR: 6
; COMPUTE_PGM_RSRC2:TRAP_HANDLER: 0
; COMPUTE_PGM_RSRC2:TGID_X_EN: 1
; COMPUTE_PGM_RSRC2:TGID_Y_EN: 0
; COMPUTE_PGM_RSRC2:TGID_Z_EN: 0
; COMPUTE_PGM_RSRC2:TIDIG_COMP_CNT: 0
; COMPUTE_PGM_RSRC3_GFX90A:ACCUM_OFFSET: 4
; COMPUTE_PGM_RSRC3_GFX90A:TG_SPLIT: 0
	.section	.text._ZN9rocsparseL21csrmvt_general_kernelILj256ELj32Eiif21rocsparse_complex_numIfES2_S2_EEvbbT2_NS_24const_host_device_scalarIT6_EEPKT1_S9_PKS3_PKT3_PKT4_PT5_21rocsparse_index_base_b,"axG",@progbits,_ZN9rocsparseL21csrmvt_general_kernelILj256ELj32Eiif21rocsparse_complex_numIfES2_S2_EEvbbT2_NS_24const_host_device_scalarIT6_EEPKT1_S9_PKS3_PKT3_PKT4_PT5_21rocsparse_index_base_b,comdat
	.globl	_ZN9rocsparseL21csrmvt_general_kernelILj256ELj32Eiif21rocsparse_complex_numIfES2_S2_EEvbbT2_NS_24const_host_device_scalarIT6_EEPKT1_S9_PKS3_PKT3_PKT4_PT5_21rocsparse_index_base_b ; -- Begin function _ZN9rocsparseL21csrmvt_general_kernelILj256ELj32Eiif21rocsparse_complex_numIfES2_S2_EEvbbT2_NS_24const_host_device_scalarIT6_EEPKT1_S9_PKS3_PKT3_PKT4_PT5_21rocsparse_index_base_b
	.p2align	8
	.type	_ZN9rocsparseL21csrmvt_general_kernelILj256ELj32Eiif21rocsparse_complex_numIfES2_S2_EEvbbT2_NS_24const_host_device_scalarIT6_EEPKT1_S9_PKS3_PKT3_PKT4_PT5_21rocsparse_index_base_b,@function
_ZN9rocsparseL21csrmvt_general_kernelILj256ELj32Eiif21rocsparse_complex_numIfES2_S2_EEvbbT2_NS_24const_host_device_scalarIT6_EEPKT1_S9_PKS3_PKT3_PKT4_PT5_21rocsparse_index_base_b: ; @_ZN9rocsparseL21csrmvt_general_kernelILj256ELj32Eiif21rocsparse_complex_numIfES2_S2_EEvbbT2_NS_24const_host_device_scalarIT6_EEPKT1_S9_PKS3_PKT3_PKT4_PT5_21rocsparse_index_base_b
; %bb.0:
	s_load_dwordx2 s[20:21], s[4:5], 0x40
	s_load_dwordx4 s[16:19], s[4:5], 0x0
	s_load_dwordx4 s[0:3], s[4:5], 0x8
	s_waitcnt lgkmcnt(0)
	s_bitcmp1_b32 s21, 0
	s_cselect_b64 s[10:11], -1, 0
	s_xor_b64 s[8:9], s[10:11], -1
	s_and_b64 vcc, exec, s[10:11]
	v_mov_b32_e32 v10, s18
	s_cbranch_vccnz .LBB273_2
; %bb.1:
	v_pk_mov_b32 v[2:3], s[0:1], s[0:1] op_sel:[0,1]
	flat_load_dword v10, v[2:3]
.LBB273_2:
	s_andn2_b64 vcc, exec, s[8:9]
	v_mov_b32_e32 v11, s19
	s_cbranch_vccnz .LBB273_4
; %bb.3:
	v_pk_mov_b32 v[2:3], s[0:1], s[0:1] op_sel:[0,1]
	flat_load_dword v11, v[2:3] offset:4
.LBB273_4:
	s_waitcnt vmcnt(0) lgkmcnt(0)
	v_cmp_neq_f32_e32 vcc, 0, v10
	v_cmp_neq_f32_e64 s[0:1], 0, v11
	s_or_b64 s[0:1], vcc, s[0:1]
	s_and_saveexec_b64 s[8:9], s[0:1]
	s_cbranch_execz .LBB273_29
; %bb.5:
	s_load_dword s0, s[4:5], 0x48
	s_load_dwordx2 s[18:19], s[4:5], 0x38
	s_load_dwordx8 s[8:15], s[4:5], 0x18
	v_and_b32_e32 v1, 31, v0
	v_lshl_or_b32 v0, s6, 8, v0
	s_and_b32 s1, s16, 1
	s_waitcnt lgkmcnt(0)
	s_lshl_b32 s16, s0, 3
	v_lshrrev_b32_e32 v0, 5, v0
	s_cmp_eq_u32 s1, 0
	v_cmp_gt_i32_e64 s[0:1], s17, v0
	s_mov_b64 s[4:5], -1
	s_cbranch_scc0 .LBB273_17
; %bb.6:
	s_and_saveexec_b64 s[4:5], s[0:1]
	s_cbranch_execz .LBB273_16
; %bb.7:
	v_subrev_u32_e32 v12, s20, v1
	s_mov_b64 s[6:7], 0
	v_mov_b32_e32 v13, s3
	v_mov_b32_e32 v14, s9
	;; [unrolled: 1-line block ×3, first 2 shown]
	s_branch .LBB273_9
.LBB273_8:                              ;   in Loop: Header=BB273_9 Depth=1
	s_or_b64 exec, exec, s[22:23]
	v_add_u32_e32 v2, s16, v2
	v_cmp_le_i32_e32 vcc, s17, v2
	s_or_b64 s[6:7], vcc, s[6:7]
	s_andn2_b64 exec, exec, s[6:7]
	s_cbranch_execz .LBB273_16
.LBB273_9:                              ; =>This Loop Header: Depth=1
                                        ;     Child Loop BB273_11 Depth 2
                                        ;       Child Loop BB273_12 Depth 3
                                        ;       Child Loop BB273_14 Depth 3
	v_ashrrev_i32_e32 v3, 31, v2
	v_lshlrev_b64 v[4:5], 2, v[2:3]
	v_add_co_u32_e32 v6, vcc, s2, v4
	v_addc_co_u32_e32 v7, vcc, v13, v5, vcc
	v_add_co_u32_e32 v4, vcc, s8, v4
	v_addc_co_u32_e32 v5, vcc, v14, v5, vcc
	global_load_dword v8, v[4:5], off
	global_load_dword v9, v[6:7], off
	s_waitcnt vmcnt(1)
	v_subrev_u32_e32 v15, s20, v8
	s_waitcnt vmcnt(0)
	v_add_u32_e32 v4, v9, v12
	v_cmp_lt_i32_e32 vcc, v4, v15
	s_and_saveexec_b64 s[22:23], vcc
	s_cbranch_execz .LBB273_8
; %bb.10:                               ;   in Loop: Header=BB273_9 Depth=1
	v_lshlrev_b64 v[6:7], 3, v[2:3]
	v_mov_b32_e32 v3, s15
	v_add_co_u32_e32 v6, vcc, s14, v6
	v_addc_co_u32_e32 v7, vcc, v3, v7, vcc
	global_load_dwordx2 v[6:7], v[6:7], off
	s_mov_b64 s[24:25], 0
	s_waitcnt vmcnt(0)
	v_mul_f32_e64 v3, v7, -v11
	v_mul_f32_e32 v16, v10, v7
	v_fmac_f32_e32 v3, v10, v6
	v_fmac_f32_e32 v16, v11, v6
	v_mul_f32_e32 v17, 0x80000000, v16
	v_mul_f32_e32 v18, 0, v3
.LBB273_11:                             ;   Parent Loop BB273_9 Depth=1
                                        ; =>  This Loop Header: Depth=2
                                        ;       Child Loop BB273_12 Depth 3
                                        ;       Child Loop BB273_14 Depth 3
	v_ashrrev_i32_e32 v5, 31, v4
	v_lshlrev_b64 v[6:7], 2, v[4:5]
	v_mov_b32_e32 v5, s11
	v_add_co_u32_e32 v8, vcc, s10, v6
	v_addc_co_u32_e32 v9, vcc, v5, v7, vcc
	global_load_dword v8, v[8:9], off
	v_mov_b32_e32 v5, s13
	v_add_co_u32_e32 v6, vcc, s12, v6
	v_addc_co_u32_e32 v7, vcc, v5, v7, vcc
	global_load_dword v5, v[6:7], off
	v_mov_b32_e32 v9, s19
	s_mov_b64 s[26:27], 0
	s_waitcnt vmcnt(1)
	v_subrev_u32_e32 v6, s20, v8
	v_ashrrev_i32_e32 v7, 31, v6
	v_lshlrev_b64 v[6:7], 3, v[6:7]
	v_add_co_u32_e32 v6, vcc, s18, v6
	v_addc_co_u32_e32 v7, vcc, v9, v7, vcc
	global_load_dword v9, v[6:7], off
	s_waitcnt vmcnt(1)
	v_fma_f32 v19, v3, v5, v17
.LBB273_12:                             ;   Parent Loop BB273_9 Depth=1
                                        ;     Parent Loop BB273_11 Depth=2
                                        ; =>    This Inner Loop Header: Depth=3
	s_waitcnt vmcnt(0)
	v_add_f32_e32 v8, v9, v19
	global_atomic_cmpswap v8, v[6:7], v[8:9], off glc
	s_waitcnt vmcnt(0)
	v_cmp_eq_u32_e32 vcc, v8, v9
	s_or_b64 s[26:27], vcc, s[26:27]
	v_mov_b32_e32 v9, v8
	s_andn2_b64 exec, exec, s[26:27]
	s_cbranch_execnz .LBB273_12
; %bb.13:                               ;   in Loop: Header=BB273_11 Depth=2
	s_or_b64 exec, exec, s[26:27]
	global_load_dword v9, v[6:7], off offset:4
	v_fma_f32 v5, v16, v5, v18
	s_mov_b64 s[26:27], 0
.LBB273_14:                             ;   Parent Loop BB273_9 Depth=1
                                        ;     Parent Loop BB273_11 Depth=2
                                        ; =>    This Inner Loop Header: Depth=3
	s_waitcnt vmcnt(0)
	v_add_f32_e32 v8, v9, v5
	global_atomic_cmpswap v8, v[6:7], v[8:9], off offset:4 glc
	s_waitcnt vmcnt(0)
	v_cmp_eq_u32_e32 vcc, v8, v9
	s_or_b64 s[26:27], vcc, s[26:27]
	v_mov_b32_e32 v9, v8
	s_andn2_b64 exec, exec, s[26:27]
	s_cbranch_execnz .LBB273_14
; %bb.15:                               ;   in Loop: Header=BB273_11 Depth=2
	s_or_b64 exec, exec, s[26:27]
	v_add_u32_e32 v4, 32, v4
	v_cmp_ge_i32_e32 vcc, v4, v15
	s_or_b64 s[24:25], vcc, s[24:25]
	s_andn2_b64 exec, exec, s[24:25]
	s_cbranch_execnz .LBB273_11
	s_branch .LBB273_8
.LBB273_16:
	s_or_b64 exec, exec, s[4:5]
	s_mov_b64 s[4:5], 0
.LBB273_17:
	s_andn2_b64 vcc, exec, s[4:5]
	s_cbranch_vccnz .LBB273_29
; %bb.18:
	s_and_b64 exec, exec, s[0:1]
	s_cbranch_execz .LBB273_29
; %bb.19:
	v_subrev_u32_e32 v8, s20, v1
	s_mov_b64 s[0:1], 0
	v_mov_b32_e32 v9, s3
	v_mov_b32_e32 v12, s9
	s_branch .LBB273_21
.LBB273_20:                             ;   in Loop: Header=BB273_21 Depth=1
	s_or_b64 exec, exec, s[4:5]
	v_add_u32_e32 v0, s16, v0
	v_cmp_le_i32_e32 vcc, s17, v0
	s_or_b64 s[0:1], vcc, s[0:1]
	s_andn2_b64 exec, exec, s[0:1]
	s_cbranch_execz .LBB273_29
.LBB273_21:                             ; =>This Loop Header: Depth=1
                                        ;     Child Loop BB273_24 Depth 2
                                        ;       Child Loop BB273_26 Depth 3
                                        ;       Child Loop BB273_28 Depth 3
	v_ashrrev_i32_e32 v1, 31, v0
	v_lshlrev_b64 v[2:3], 2, v[0:1]
	v_add_co_u32_e32 v4, vcc, s2, v2
	v_addc_co_u32_e32 v5, vcc, v9, v3, vcc
	v_add_co_u32_e32 v2, vcc, s8, v2
	v_addc_co_u32_e32 v3, vcc, v12, v3, vcc
	global_load_dword v6, v[2:3], off
	global_load_dword v7, v[4:5], off
	s_waitcnt vmcnt(1)
	v_subrev_u32_e32 v13, s20, v6
	s_waitcnt vmcnt(0)
	v_add_u32_e32 v2, v7, v8
	v_cmp_lt_i32_e32 vcc, v2, v13
	s_and_saveexec_b64 s[4:5], vcc
	s_cbranch_execz .LBB273_20
; %bb.22:                               ;   in Loop: Header=BB273_21 Depth=1
	v_lshlrev_b64 v[4:5], 3, v[0:1]
	v_mov_b32_e32 v1, s15
	v_add_co_u32_e32 v4, vcc, s14, v4
	v_addc_co_u32_e32 v5, vcc, v1, v5, vcc
	global_load_dwordx2 v[4:5], v[4:5], off
	s_mov_b64 s[6:7], 0
	s_waitcnt vmcnt(0)
	v_mul_f32_e64 v1, v5, -v11
	v_mul_f32_e32 v14, v10, v5
	v_fmac_f32_e32 v1, v10, v4
	v_fmac_f32_e32 v14, v11, v4
	v_mul_f32_e32 v15, 0x80000000, v14
	v_mul_f32_e32 v16, 0, v1
	s_branch .LBB273_24
.LBB273_23:                             ;   in Loop: Header=BB273_24 Depth=2
	s_or_b64 exec, exec, s[22:23]
	v_add_u32_e32 v2, 32, v2
	v_cmp_ge_i32_e32 vcc, v2, v13
	s_or_b64 s[6:7], vcc, s[6:7]
	s_andn2_b64 exec, exec, s[6:7]
	s_cbranch_execz .LBB273_20
.LBB273_24:                             ;   Parent Loop BB273_21 Depth=1
                                        ; =>  This Loop Header: Depth=2
                                        ;       Child Loop BB273_26 Depth 3
                                        ;       Child Loop BB273_28 Depth 3
	v_ashrrev_i32_e32 v3, 31, v2
	v_lshlrev_b64 v[4:5], 2, v[2:3]
	v_mov_b32_e32 v3, s11
	v_add_co_u32_e32 v6, vcc, s10, v4
	v_addc_co_u32_e32 v7, vcc, v3, v5, vcc
	global_load_dword v3, v[6:7], off
	s_waitcnt vmcnt(0)
	v_subrev_u32_e32 v6, s20, v3
	v_cmp_ne_u32_e32 vcc, v6, v0
	s_and_saveexec_b64 s[22:23], vcc
	s_cbranch_execz .LBB273_23
; %bb.25:                               ;   in Loop: Header=BB273_24 Depth=2
	v_mov_b32_e32 v3, s13
	v_add_co_u32_e32 v4, vcc, s12, v4
	v_addc_co_u32_e32 v5, vcc, v3, v5, vcc
	v_ashrrev_i32_e32 v7, 31, v6
	global_load_dword v3, v[4:5], off
	v_lshlrev_b64 v[4:5], 3, v[6:7]
	v_mov_b32_e32 v6, s19
	v_add_co_u32_e32 v4, vcc, s18, v4
	v_addc_co_u32_e32 v5, vcc, v6, v5, vcc
	global_load_dword v7, v[4:5], off
	s_mov_b64 s[24:25], 0
	s_waitcnt vmcnt(1)
	v_fma_f32 v17, v1, v3, v15
.LBB273_26:                             ;   Parent Loop BB273_21 Depth=1
                                        ;     Parent Loop BB273_24 Depth=2
                                        ; =>    This Inner Loop Header: Depth=3
	s_waitcnt vmcnt(0)
	v_add_f32_e32 v6, v7, v17
	global_atomic_cmpswap v6, v[4:5], v[6:7], off glc
	s_waitcnt vmcnt(0)
	v_cmp_eq_u32_e32 vcc, v6, v7
	s_or_b64 s[24:25], vcc, s[24:25]
	v_mov_b32_e32 v7, v6
	s_andn2_b64 exec, exec, s[24:25]
	s_cbranch_execnz .LBB273_26
; %bb.27:                               ;   in Loop: Header=BB273_24 Depth=2
	s_or_b64 exec, exec, s[24:25]
	global_load_dword v7, v[4:5], off offset:4
	v_fma_f32 v3, v14, v3, v16
	s_mov_b64 s[24:25], 0
.LBB273_28:                             ;   Parent Loop BB273_21 Depth=1
                                        ;     Parent Loop BB273_24 Depth=2
                                        ; =>    This Inner Loop Header: Depth=3
	s_waitcnt vmcnt(0)
	v_add_f32_e32 v6, v7, v3
	global_atomic_cmpswap v6, v[4:5], v[6:7], off offset:4 glc
	s_waitcnt vmcnt(0)
	v_cmp_eq_u32_e32 vcc, v6, v7
	s_or_b64 s[24:25], vcc, s[24:25]
	v_mov_b32_e32 v7, v6
	s_andn2_b64 exec, exec, s[24:25]
	s_cbranch_execnz .LBB273_28
	s_branch .LBB273_23
.LBB273_29:
	s_endpgm
	.section	.rodata,"a",@progbits
	.p2align	6, 0x0
	.amdhsa_kernel _ZN9rocsparseL21csrmvt_general_kernelILj256ELj32Eiif21rocsparse_complex_numIfES2_S2_EEvbbT2_NS_24const_host_device_scalarIT6_EEPKT1_S9_PKS3_PKT3_PKT4_PT5_21rocsparse_index_base_b
		.amdhsa_group_segment_fixed_size 0
		.amdhsa_private_segment_fixed_size 0
		.amdhsa_kernarg_size 328
		.amdhsa_user_sgpr_count 6
		.amdhsa_user_sgpr_private_segment_buffer 1
		.amdhsa_user_sgpr_dispatch_ptr 0
		.amdhsa_user_sgpr_queue_ptr 0
		.amdhsa_user_sgpr_kernarg_segment_ptr 1
		.amdhsa_user_sgpr_dispatch_id 0
		.amdhsa_user_sgpr_flat_scratch_init 0
		.amdhsa_user_sgpr_kernarg_preload_length 0
		.amdhsa_user_sgpr_kernarg_preload_offset 0
		.amdhsa_user_sgpr_private_segment_size 0
		.amdhsa_uses_dynamic_stack 0
		.amdhsa_system_sgpr_private_segment_wavefront_offset 0
		.amdhsa_system_sgpr_workgroup_id_x 1
		.amdhsa_system_sgpr_workgroup_id_y 0
		.amdhsa_system_sgpr_workgroup_id_z 0
		.amdhsa_system_sgpr_workgroup_info 0
		.amdhsa_system_vgpr_workitem_id 0
		.amdhsa_next_free_vgpr 20
		.amdhsa_next_free_sgpr 28
		.amdhsa_accum_offset 20
		.amdhsa_reserve_vcc 1
		.amdhsa_reserve_flat_scratch 0
		.amdhsa_float_round_mode_32 0
		.amdhsa_float_round_mode_16_64 0
		.amdhsa_float_denorm_mode_32 3
		.amdhsa_float_denorm_mode_16_64 3
		.amdhsa_dx10_clamp 1
		.amdhsa_ieee_mode 1
		.amdhsa_fp16_overflow 0
		.amdhsa_tg_split 0
		.amdhsa_exception_fp_ieee_invalid_op 0
		.amdhsa_exception_fp_denorm_src 0
		.amdhsa_exception_fp_ieee_div_zero 0
		.amdhsa_exception_fp_ieee_overflow 0
		.amdhsa_exception_fp_ieee_underflow 0
		.amdhsa_exception_fp_ieee_inexact 0
		.amdhsa_exception_int_div_zero 0
	.end_amdhsa_kernel
	.section	.text._ZN9rocsparseL21csrmvt_general_kernelILj256ELj32Eiif21rocsparse_complex_numIfES2_S2_EEvbbT2_NS_24const_host_device_scalarIT6_EEPKT1_S9_PKS3_PKT3_PKT4_PT5_21rocsparse_index_base_b,"axG",@progbits,_ZN9rocsparseL21csrmvt_general_kernelILj256ELj32Eiif21rocsparse_complex_numIfES2_S2_EEvbbT2_NS_24const_host_device_scalarIT6_EEPKT1_S9_PKS3_PKT3_PKT4_PT5_21rocsparse_index_base_b,comdat
.Lfunc_end273:
	.size	_ZN9rocsparseL21csrmvt_general_kernelILj256ELj32Eiif21rocsparse_complex_numIfES2_S2_EEvbbT2_NS_24const_host_device_scalarIT6_EEPKT1_S9_PKS3_PKT3_PKT4_PT5_21rocsparse_index_base_b, .Lfunc_end273-_ZN9rocsparseL21csrmvt_general_kernelILj256ELj32Eiif21rocsparse_complex_numIfES2_S2_EEvbbT2_NS_24const_host_device_scalarIT6_EEPKT1_S9_PKS3_PKT3_PKT4_PT5_21rocsparse_index_base_b
                                        ; -- End function
	.section	.AMDGPU.csdata,"",@progbits
; Kernel info:
; codeLenInByte = 1100
; NumSgprs: 32
; NumVgprs: 20
; NumAgprs: 0
; TotalNumVgprs: 20
; ScratchSize: 0
; MemoryBound: 0
; FloatMode: 240
; IeeeMode: 1
; LDSByteSize: 0 bytes/workgroup (compile time only)
; SGPRBlocks: 3
; VGPRBlocks: 2
; NumSGPRsForWavesPerEU: 32
; NumVGPRsForWavesPerEU: 20
; AccumOffset: 20
; Occupancy: 8
; WaveLimiterHint : 1
; COMPUTE_PGM_RSRC2:SCRATCH_EN: 0
; COMPUTE_PGM_RSRC2:USER_SGPR: 6
; COMPUTE_PGM_RSRC2:TRAP_HANDLER: 0
; COMPUTE_PGM_RSRC2:TGID_X_EN: 1
; COMPUTE_PGM_RSRC2:TGID_Y_EN: 0
; COMPUTE_PGM_RSRC2:TGID_Z_EN: 0
; COMPUTE_PGM_RSRC2:TIDIG_COMP_CNT: 0
; COMPUTE_PGM_RSRC3_GFX90A:ACCUM_OFFSET: 4
; COMPUTE_PGM_RSRC3_GFX90A:TG_SPLIT: 0
	.section	.text._ZN9rocsparseL21csrmvt_general_kernelILj256ELj64Eiif21rocsparse_complex_numIfES2_S2_EEvbbT2_NS_24const_host_device_scalarIT6_EEPKT1_S9_PKS3_PKT3_PKT4_PT5_21rocsparse_index_base_b,"axG",@progbits,_ZN9rocsparseL21csrmvt_general_kernelILj256ELj64Eiif21rocsparse_complex_numIfES2_S2_EEvbbT2_NS_24const_host_device_scalarIT6_EEPKT1_S9_PKS3_PKT3_PKT4_PT5_21rocsparse_index_base_b,comdat
	.globl	_ZN9rocsparseL21csrmvt_general_kernelILj256ELj64Eiif21rocsparse_complex_numIfES2_S2_EEvbbT2_NS_24const_host_device_scalarIT6_EEPKT1_S9_PKS3_PKT3_PKT4_PT5_21rocsparse_index_base_b ; -- Begin function _ZN9rocsparseL21csrmvt_general_kernelILj256ELj64Eiif21rocsparse_complex_numIfES2_S2_EEvbbT2_NS_24const_host_device_scalarIT6_EEPKT1_S9_PKS3_PKT3_PKT4_PT5_21rocsparse_index_base_b
	.p2align	8
	.type	_ZN9rocsparseL21csrmvt_general_kernelILj256ELj64Eiif21rocsparse_complex_numIfES2_S2_EEvbbT2_NS_24const_host_device_scalarIT6_EEPKT1_S9_PKS3_PKT3_PKT4_PT5_21rocsparse_index_base_b,@function
_ZN9rocsparseL21csrmvt_general_kernelILj256ELj64Eiif21rocsparse_complex_numIfES2_S2_EEvbbT2_NS_24const_host_device_scalarIT6_EEPKT1_S9_PKS3_PKT3_PKT4_PT5_21rocsparse_index_base_b: ; @_ZN9rocsparseL21csrmvt_general_kernelILj256ELj64Eiif21rocsparse_complex_numIfES2_S2_EEvbbT2_NS_24const_host_device_scalarIT6_EEPKT1_S9_PKS3_PKT3_PKT4_PT5_21rocsparse_index_base_b
; %bb.0:
	s_load_dwordx2 s[20:21], s[4:5], 0x40
	s_load_dwordx4 s[16:19], s[4:5], 0x0
	s_load_dwordx4 s[0:3], s[4:5], 0x8
	s_waitcnt lgkmcnt(0)
	s_bitcmp1_b32 s21, 0
	s_cselect_b64 s[10:11], -1, 0
	s_xor_b64 s[8:9], s[10:11], -1
	s_and_b64 vcc, exec, s[10:11]
	v_mov_b32_e32 v10, s18
	s_cbranch_vccnz .LBB274_2
; %bb.1:
	v_pk_mov_b32 v[2:3], s[0:1], s[0:1] op_sel:[0,1]
	flat_load_dword v10, v[2:3]
.LBB274_2:
	s_andn2_b64 vcc, exec, s[8:9]
	v_mov_b32_e32 v11, s19
	s_cbranch_vccnz .LBB274_4
; %bb.3:
	v_pk_mov_b32 v[2:3], s[0:1], s[0:1] op_sel:[0,1]
	flat_load_dword v11, v[2:3] offset:4
.LBB274_4:
	s_waitcnt vmcnt(0) lgkmcnt(0)
	v_cmp_neq_f32_e32 vcc, 0, v10
	v_cmp_neq_f32_e64 s[0:1], 0, v11
	s_or_b64 s[0:1], vcc, s[0:1]
	s_and_saveexec_b64 s[8:9], s[0:1]
	s_cbranch_execz .LBB274_29
; %bb.5:
	s_load_dword s0, s[4:5], 0x48
	s_load_dwordx2 s[18:19], s[4:5], 0x38
	s_load_dwordx8 s[8:15], s[4:5], 0x18
	v_and_b32_e32 v1, 63, v0
	v_lshl_or_b32 v0, s6, 8, v0
	s_and_b32 s1, s16, 1
	s_waitcnt lgkmcnt(0)
	s_lshl_b32 s16, s0, 2
	v_lshrrev_b32_e32 v0, 6, v0
	s_cmp_eq_u32 s1, 0
	v_cmp_gt_i32_e64 s[0:1], s17, v0
	s_mov_b64 s[4:5], -1
	s_cbranch_scc0 .LBB274_17
; %bb.6:
	s_and_saveexec_b64 s[4:5], s[0:1]
	s_cbranch_execz .LBB274_16
; %bb.7:
	v_subrev_u32_e32 v12, s20, v1
	s_mov_b64 s[6:7], 0
	v_mov_b32_e32 v13, s3
	v_mov_b32_e32 v14, s9
	;; [unrolled: 1-line block ×3, first 2 shown]
	s_branch .LBB274_9
.LBB274_8:                              ;   in Loop: Header=BB274_9 Depth=1
	s_or_b64 exec, exec, s[22:23]
	v_add_u32_e32 v2, s16, v2
	v_cmp_le_i32_e32 vcc, s17, v2
	s_or_b64 s[6:7], vcc, s[6:7]
	s_andn2_b64 exec, exec, s[6:7]
	s_cbranch_execz .LBB274_16
.LBB274_9:                              ; =>This Loop Header: Depth=1
                                        ;     Child Loop BB274_11 Depth 2
                                        ;       Child Loop BB274_12 Depth 3
                                        ;       Child Loop BB274_14 Depth 3
	v_ashrrev_i32_e32 v3, 31, v2
	v_lshlrev_b64 v[4:5], 2, v[2:3]
	v_add_co_u32_e32 v6, vcc, s2, v4
	v_addc_co_u32_e32 v7, vcc, v13, v5, vcc
	v_add_co_u32_e32 v4, vcc, s8, v4
	v_addc_co_u32_e32 v5, vcc, v14, v5, vcc
	global_load_dword v8, v[4:5], off
	global_load_dword v9, v[6:7], off
	s_waitcnt vmcnt(1)
	v_subrev_u32_e32 v15, s20, v8
	s_waitcnt vmcnt(0)
	v_add_u32_e32 v4, v9, v12
	v_cmp_lt_i32_e32 vcc, v4, v15
	s_and_saveexec_b64 s[22:23], vcc
	s_cbranch_execz .LBB274_8
; %bb.10:                               ;   in Loop: Header=BB274_9 Depth=1
	v_lshlrev_b64 v[6:7], 3, v[2:3]
	v_mov_b32_e32 v3, s15
	v_add_co_u32_e32 v6, vcc, s14, v6
	v_addc_co_u32_e32 v7, vcc, v3, v7, vcc
	global_load_dwordx2 v[6:7], v[6:7], off
	s_mov_b64 s[24:25], 0
	s_waitcnt vmcnt(0)
	v_mul_f32_e64 v3, v7, -v11
	v_mul_f32_e32 v16, v10, v7
	v_fmac_f32_e32 v3, v10, v6
	v_fmac_f32_e32 v16, v11, v6
	v_mul_f32_e32 v17, 0x80000000, v16
	v_mul_f32_e32 v18, 0, v3
.LBB274_11:                             ;   Parent Loop BB274_9 Depth=1
                                        ; =>  This Loop Header: Depth=2
                                        ;       Child Loop BB274_12 Depth 3
                                        ;       Child Loop BB274_14 Depth 3
	v_ashrrev_i32_e32 v5, 31, v4
	v_lshlrev_b64 v[6:7], 2, v[4:5]
	v_mov_b32_e32 v5, s11
	v_add_co_u32_e32 v8, vcc, s10, v6
	v_addc_co_u32_e32 v9, vcc, v5, v7, vcc
	global_load_dword v8, v[8:9], off
	v_mov_b32_e32 v5, s13
	v_add_co_u32_e32 v6, vcc, s12, v6
	v_addc_co_u32_e32 v7, vcc, v5, v7, vcc
	global_load_dword v5, v[6:7], off
	v_mov_b32_e32 v9, s19
	s_mov_b64 s[26:27], 0
	s_waitcnt vmcnt(1)
	v_subrev_u32_e32 v6, s20, v8
	v_ashrrev_i32_e32 v7, 31, v6
	v_lshlrev_b64 v[6:7], 3, v[6:7]
	v_add_co_u32_e32 v6, vcc, s18, v6
	v_addc_co_u32_e32 v7, vcc, v9, v7, vcc
	global_load_dword v9, v[6:7], off
	s_waitcnt vmcnt(1)
	v_fma_f32 v19, v3, v5, v17
.LBB274_12:                             ;   Parent Loop BB274_9 Depth=1
                                        ;     Parent Loop BB274_11 Depth=2
                                        ; =>    This Inner Loop Header: Depth=3
	s_waitcnt vmcnt(0)
	v_add_f32_e32 v8, v9, v19
	global_atomic_cmpswap v8, v[6:7], v[8:9], off glc
	s_waitcnt vmcnt(0)
	v_cmp_eq_u32_e32 vcc, v8, v9
	s_or_b64 s[26:27], vcc, s[26:27]
	v_mov_b32_e32 v9, v8
	s_andn2_b64 exec, exec, s[26:27]
	s_cbranch_execnz .LBB274_12
; %bb.13:                               ;   in Loop: Header=BB274_11 Depth=2
	s_or_b64 exec, exec, s[26:27]
	global_load_dword v9, v[6:7], off offset:4
	v_fma_f32 v5, v16, v5, v18
	s_mov_b64 s[26:27], 0
.LBB274_14:                             ;   Parent Loop BB274_9 Depth=1
                                        ;     Parent Loop BB274_11 Depth=2
                                        ; =>    This Inner Loop Header: Depth=3
	s_waitcnt vmcnt(0)
	v_add_f32_e32 v8, v9, v5
	global_atomic_cmpswap v8, v[6:7], v[8:9], off offset:4 glc
	s_waitcnt vmcnt(0)
	v_cmp_eq_u32_e32 vcc, v8, v9
	s_or_b64 s[26:27], vcc, s[26:27]
	v_mov_b32_e32 v9, v8
	s_andn2_b64 exec, exec, s[26:27]
	s_cbranch_execnz .LBB274_14
; %bb.15:                               ;   in Loop: Header=BB274_11 Depth=2
	s_or_b64 exec, exec, s[26:27]
	v_add_u32_e32 v4, 64, v4
	v_cmp_ge_i32_e32 vcc, v4, v15
	s_or_b64 s[24:25], vcc, s[24:25]
	s_andn2_b64 exec, exec, s[24:25]
	s_cbranch_execnz .LBB274_11
	s_branch .LBB274_8
.LBB274_16:
	s_or_b64 exec, exec, s[4:5]
	s_mov_b64 s[4:5], 0
.LBB274_17:
	s_andn2_b64 vcc, exec, s[4:5]
	s_cbranch_vccnz .LBB274_29
; %bb.18:
	s_and_b64 exec, exec, s[0:1]
	s_cbranch_execz .LBB274_29
; %bb.19:
	v_subrev_u32_e32 v8, s20, v1
	s_mov_b64 s[0:1], 0
	v_mov_b32_e32 v9, s3
	v_mov_b32_e32 v12, s9
	s_branch .LBB274_21
.LBB274_20:                             ;   in Loop: Header=BB274_21 Depth=1
	s_or_b64 exec, exec, s[4:5]
	v_add_u32_e32 v0, s16, v0
	v_cmp_le_i32_e32 vcc, s17, v0
	s_or_b64 s[0:1], vcc, s[0:1]
	s_andn2_b64 exec, exec, s[0:1]
	s_cbranch_execz .LBB274_29
.LBB274_21:                             ; =>This Loop Header: Depth=1
                                        ;     Child Loop BB274_24 Depth 2
                                        ;       Child Loop BB274_26 Depth 3
                                        ;       Child Loop BB274_28 Depth 3
	v_ashrrev_i32_e32 v1, 31, v0
	v_lshlrev_b64 v[2:3], 2, v[0:1]
	v_add_co_u32_e32 v4, vcc, s2, v2
	v_addc_co_u32_e32 v5, vcc, v9, v3, vcc
	v_add_co_u32_e32 v2, vcc, s8, v2
	v_addc_co_u32_e32 v3, vcc, v12, v3, vcc
	global_load_dword v6, v[2:3], off
	global_load_dword v7, v[4:5], off
	s_waitcnt vmcnt(1)
	v_subrev_u32_e32 v13, s20, v6
	s_waitcnt vmcnt(0)
	v_add_u32_e32 v2, v7, v8
	v_cmp_lt_i32_e32 vcc, v2, v13
	s_and_saveexec_b64 s[4:5], vcc
	s_cbranch_execz .LBB274_20
; %bb.22:                               ;   in Loop: Header=BB274_21 Depth=1
	v_lshlrev_b64 v[4:5], 3, v[0:1]
	v_mov_b32_e32 v1, s15
	v_add_co_u32_e32 v4, vcc, s14, v4
	v_addc_co_u32_e32 v5, vcc, v1, v5, vcc
	global_load_dwordx2 v[4:5], v[4:5], off
	s_mov_b64 s[6:7], 0
	s_waitcnt vmcnt(0)
	v_mul_f32_e64 v1, v5, -v11
	v_mul_f32_e32 v14, v10, v5
	v_fmac_f32_e32 v1, v10, v4
	v_fmac_f32_e32 v14, v11, v4
	v_mul_f32_e32 v15, 0x80000000, v14
	v_mul_f32_e32 v16, 0, v1
	s_branch .LBB274_24
.LBB274_23:                             ;   in Loop: Header=BB274_24 Depth=2
	s_or_b64 exec, exec, s[22:23]
	v_add_u32_e32 v2, 64, v2
	v_cmp_ge_i32_e32 vcc, v2, v13
	s_or_b64 s[6:7], vcc, s[6:7]
	s_andn2_b64 exec, exec, s[6:7]
	s_cbranch_execz .LBB274_20
.LBB274_24:                             ;   Parent Loop BB274_21 Depth=1
                                        ; =>  This Loop Header: Depth=2
                                        ;       Child Loop BB274_26 Depth 3
                                        ;       Child Loop BB274_28 Depth 3
	v_ashrrev_i32_e32 v3, 31, v2
	v_lshlrev_b64 v[4:5], 2, v[2:3]
	v_mov_b32_e32 v3, s11
	v_add_co_u32_e32 v6, vcc, s10, v4
	v_addc_co_u32_e32 v7, vcc, v3, v5, vcc
	global_load_dword v3, v[6:7], off
	s_waitcnt vmcnt(0)
	v_subrev_u32_e32 v6, s20, v3
	v_cmp_ne_u32_e32 vcc, v6, v0
	s_and_saveexec_b64 s[22:23], vcc
	s_cbranch_execz .LBB274_23
; %bb.25:                               ;   in Loop: Header=BB274_24 Depth=2
	v_mov_b32_e32 v3, s13
	v_add_co_u32_e32 v4, vcc, s12, v4
	v_addc_co_u32_e32 v5, vcc, v3, v5, vcc
	v_ashrrev_i32_e32 v7, 31, v6
	global_load_dword v3, v[4:5], off
	v_lshlrev_b64 v[4:5], 3, v[6:7]
	v_mov_b32_e32 v6, s19
	v_add_co_u32_e32 v4, vcc, s18, v4
	v_addc_co_u32_e32 v5, vcc, v6, v5, vcc
	global_load_dword v7, v[4:5], off
	s_mov_b64 s[24:25], 0
	s_waitcnt vmcnt(1)
	v_fma_f32 v17, v1, v3, v15
.LBB274_26:                             ;   Parent Loop BB274_21 Depth=1
                                        ;     Parent Loop BB274_24 Depth=2
                                        ; =>    This Inner Loop Header: Depth=3
	s_waitcnt vmcnt(0)
	v_add_f32_e32 v6, v7, v17
	global_atomic_cmpswap v6, v[4:5], v[6:7], off glc
	s_waitcnt vmcnt(0)
	v_cmp_eq_u32_e32 vcc, v6, v7
	s_or_b64 s[24:25], vcc, s[24:25]
	v_mov_b32_e32 v7, v6
	s_andn2_b64 exec, exec, s[24:25]
	s_cbranch_execnz .LBB274_26
; %bb.27:                               ;   in Loop: Header=BB274_24 Depth=2
	s_or_b64 exec, exec, s[24:25]
	global_load_dword v7, v[4:5], off offset:4
	v_fma_f32 v3, v14, v3, v16
	s_mov_b64 s[24:25], 0
.LBB274_28:                             ;   Parent Loop BB274_21 Depth=1
                                        ;     Parent Loop BB274_24 Depth=2
                                        ; =>    This Inner Loop Header: Depth=3
	s_waitcnt vmcnt(0)
	v_add_f32_e32 v6, v7, v3
	global_atomic_cmpswap v6, v[4:5], v[6:7], off offset:4 glc
	s_waitcnt vmcnt(0)
	v_cmp_eq_u32_e32 vcc, v6, v7
	s_or_b64 s[24:25], vcc, s[24:25]
	v_mov_b32_e32 v7, v6
	s_andn2_b64 exec, exec, s[24:25]
	s_cbranch_execnz .LBB274_28
	s_branch .LBB274_23
.LBB274_29:
	s_endpgm
	.section	.rodata,"a",@progbits
	.p2align	6, 0x0
	.amdhsa_kernel _ZN9rocsparseL21csrmvt_general_kernelILj256ELj64Eiif21rocsparse_complex_numIfES2_S2_EEvbbT2_NS_24const_host_device_scalarIT6_EEPKT1_S9_PKS3_PKT3_PKT4_PT5_21rocsparse_index_base_b
		.amdhsa_group_segment_fixed_size 0
		.amdhsa_private_segment_fixed_size 0
		.amdhsa_kernarg_size 328
		.amdhsa_user_sgpr_count 6
		.amdhsa_user_sgpr_private_segment_buffer 1
		.amdhsa_user_sgpr_dispatch_ptr 0
		.amdhsa_user_sgpr_queue_ptr 0
		.amdhsa_user_sgpr_kernarg_segment_ptr 1
		.amdhsa_user_sgpr_dispatch_id 0
		.amdhsa_user_sgpr_flat_scratch_init 0
		.amdhsa_user_sgpr_kernarg_preload_length 0
		.amdhsa_user_sgpr_kernarg_preload_offset 0
		.amdhsa_user_sgpr_private_segment_size 0
		.amdhsa_uses_dynamic_stack 0
		.amdhsa_system_sgpr_private_segment_wavefront_offset 0
		.amdhsa_system_sgpr_workgroup_id_x 1
		.amdhsa_system_sgpr_workgroup_id_y 0
		.amdhsa_system_sgpr_workgroup_id_z 0
		.amdhsa_system_sgpr_workgroup_info 0
		.amdhsa_system_vgpr_workitem_id 0
		.amdhsa_next_free_vgpr 20
		.amdhsa_next_free_sgpr 28
		.amdhsa_accum_offset 20
		.amdhsa_reserve_vcc 1
		.amdhsa_reserve_flat_scratch 0
		.amdhsa_float_round_mode_32 0
		.amdhsa_float_round_mode_16_64 0
		.amdhsa_float_denorm_mode_32 3
		.amdhsa_float_denorm_mode_16_64 3
		.amdhsa_dx10_clamp 1
		.amdhsa_ieee_mode 1
		.amdhsa_fp16_overflow 0
		.amdhsa_tg_split 0
		.amdhsa_exception_fp_ieee_invalid_op 0
		.amdhsa_exception_fp_denorm_src 0
		.amdhsa_exception_fp_ieee_div_zero 0
		.amdhsa_exception_fp_ieee_overflow 0
		.amdhsa_exception_fp_ieee_underflow 0
		.amdhsa_exception_fp_ieee_inexact 0
		.amdhsa_exception_int_div_zero 0
	.end_amdhsa_kernel
	.section	.text._ZN9rocsparseL21csrmvt_general_kernelILj256ELj64Eiif21rocsparse_complex_numIfES2_S2_EEvbbT2_NS_24const_host_device_scalarIT6_EEPKT1_S9_PKS3_PKT3_PKT4_PT5_21rocsparse_index_base_b,"axG",@progbits,_ZN9rocsparseL21csrmvt_general_kernelILj256ELj64Eiif21rocsparse_complex_numIfES2_S2_EEvbbT2_NS_24const_host_device_scalarIT6_EEPKT1_S9_PKS3_PKT3_PKT4_PT5_21rocsparse_index_base_b,comdat
.Lfunc_end274:
	.size	_ZN9rocsparseL21csrmvt_general_kernelILj256ELj64Eiif21rocsparse_complex_numIfES2_S2_EEvbbT2_NS_24const_host_device_scalarIT6_EEPKT1_S9_PKS3_PKT3_PKT4_PT5_21rocsparse_index_base_b, .Lfunc_end274-_ZN9rocsparseL21csrmvt_general_kernelILj256ELj64Eiif21rocsparse_complex_numIfES2_S2_EEvbbT2_NS_24const_host_device_scalarIT6_EEPKT1_S9_PKS3_PKT3_PKT4_PT5_21rocsparse_index_base_b
                                        ; -- End function
	.section	.AMDGPU.csdata,"",@progbits
; Kernel info:
; codeLenInByte = 1100
; NumSgprs: 32
; NumVgprs: 20
; NumAgprs: 0
; TotalNumVgprs: 20
; ScratchSize: 0
; MemoryBound: 0
; FloatMode: 240
; IeeeMode: 1
; LDSByteSize: 0 bytes/workgroup (compile time only)
; SGPRBlocks: 3
; VGPRBlocks: 2
; NumSGPRsForWavesPerEU: 32
; NumVGPRsForWavesPerEU: 20
; AccumOffset: 20
; Occupancy: 8
; WaveLimiterHint : 1
; COMPUTE_PGM_RSRC2:SCRATCH_EN: 0
; COMPUTE_PGM_RSRC2:USER_SGPR: 6
; COMPUTE_PGM_RSRC2:TRAP_HANDLER: 0
; COMPUTE_PGM_RSRC2:TGID_X_EN: 1
; COMPUTE_PGM_RSRC2:TGID_Y_EN: 0
; COMPUTE_PGM_RSRC2:TGID_Z_EN: 0
; COMPUTE_PGM_RSRC2:TIDIG_COMP_CNT: 0
; COMPUTE_PGM_RSRC3_GFX90A:ACCUM_OFFSET: 4
; COMPUTE_PGM_RSRC3_GFX90A:TG_SPLIT: 0
	.section	.text._ZN9rocsparseL21csrmvn_general_kernelILj256ELj2Elif21rocsparse_complex_numIfES2_S2_EEvbT2_NS_24const_host_device_scalarIT6_EEPKT1_S9_PKS3_PKT3_PKT4_S6_PT5_21rocsparse_index_base_b,"axG",@progbits,_ZN9rocsparseL21csrmvn_general_kernelILj256ELj2Elif21rocsparse_complex_numIfES2_S2_EEvbT2_NS_24const_host_device_scalarIT6_EEPKT1_S9_PKS3_PKT3_PKT4_S6_PT5_21rocsparse_index_base_b,comdat
	.globl	_ZN9rocsparseL21csrmvn_general_kernelILj256ELj2Elif21rocsparse_complex_numIfES2_S2_EEvbT2_NS_24const_host_device_scalarIT6_EEPKT1_S9_PKS3_PKT3_PKT4_S6_PT5_21rocsparse_index_base_b ; -- Begin function _ZN9rocsparseL21csrmvn_general_kernelILj256ELj2Elif21rocsparse_complex_numIfES2_S2_EEvbT2_NS_24const_host_device_scalarIT6_EEPKT1_S9_PKS3_PKT3_PKT4_S6_PT5_21rocsparse_index_base_b
	.p2align	8
	.type	_ZN9rocsparseL21csrmvn_general_kernelILj256ELj2Elif21rocsparse_complex_numIfES2_S2_EEvbT2_NS_24const_host_device_scalarIT6_EEPKT1_S9_PKS3_PKT3_PKT4_S6_PT5_21rocsparse_index_base_b,@function
_ZN9rocsparseL21csrmvn_general_kernelILj256ELj2Elif21rocsparse_complex_numIfES2_S2_EEvbT2_NS_24const_host_device_scalarIT6_EEPKT1_S9_PKS3_PKT3_PKT4_S6_PT5_21rocsparse_index_base_b: ; @_ZN9rocsparseL21csrmvn_general_kernelILj256ELj2Elif21rocsparse_complex_numIfES2_S2_EEvbT2_NS_24const_host_device_scalarIT6_EEPKT1_S9_PKS3_PKT3_PKT4_S6_PT5_21rocsparse_index_base_b
; %bb.0:
	s_load_dwordx2 s[20:21], s[4:5], 0x48
	s_load_dwordx4 s[16:19], s[4:5], 0x8
	s_load_dwordx2 s[2:3], s[4:5], 0x38
	s_waitcnt lgkmcnt(0)
	s_bitcmp1_b32 s21, 0
	s_cselect_b64 s[0:1], -1, 0
	s_xor_b64 s[8:9], s[0:1], -1
	s_and_b64 vcc, exec, s[0:1]
	v_mov_b32_e32 v2, s16
	s_cbranch_vccnz .LBB275_2
; %bb.1:
	v_pk_mov_b32 v[2:3], s[16:17], s[16:17] op_sel:[0,1]
	flat_load_dword v2, v[2:3]
.LBB275_2:
	v_cndmask_b32_e64 v1, 0, 1, s[8:9]
	v_cmp_ne_u32_e64 s[0:1], 1, v1
	s_andn2_b64 vcc, exec, s[8:9]
	v_mov_b32_e32 v3, s17
	s_cbranch_vccz .LBB275_21
; %bb.3:
	s_and_b64 vcc, exec, s[0:1]
	v_mov_b32_e32 v4, s2
	s_cbranch_vccz .LBB275_22
.LBB275_4:
	s_and_b64 vcc, exec, s[0:1]
	v_mov_b32_e32 v5, s3
	s_cbranch_vccnz .LBB275_6
.LBB275_5:
	v_pk_mov_b32 v[6:7], s[2:3], s[2:3] op_sel:[0,1]
	flat_load_dword v5, v[6:7] offset:4
.LBB275_6:
	s_waitcnt vmcnt(0) lgkmcnt(0)
	v_or_b32_e32 v1, v2, v3
	v_and_b32_e32 v1, 0x7fffffff, v1
	v_cmp_eq_u32_e32 vcc, 0, v1
	s_mov_b64 s[0:1], -1
	s_and_saveexec_b64 s[2:3], vcc
; %bb.7:
	v_and_b32_e32 v1, 0x7fffffff, v5
	v_cmp_neq_f32_e32 vcc, 1.0, v4
	v_cmp_ne_u32_e64 s[0:1], 0, v1
	s_or_b64 s[0:1], vcc, s[0:1]
	s_orn2_b64 s[0:1], s[0:1], exec
; %bb.8:
	s_or_b64 exec, exec, s[2:3]
	s_and_saveexec_b64 s[2:3], s[0:1]
	s_cbranch_execz .LBB275_20
; %bb.9:
	s_load_dword s21, s[4:5], 0x4
	v_lshl_or_b32 v1, s6, 8, v0
	v_lshrrev_b32_e32 v6, 1, v1
	s_waitcnt lgkmcnt(0)
	v_cmp_gt_i32_e32 vcc, s21, v6
	s_and_b64 exec, exec, vcc
	s_cbranch_execz .LBB275_20
; %bb.10:
	s_load_dword s0, s[4:5], 0x50
	s_load_dwordx2 s[6:7], s[4:5], 0x40
	s_load_dwordx8 s[8:15], s[4:5], 0x18
	v_and_b32_e32 v7, 1, v0
	v_subrev_co_u32_e32 v22, vcc, s20, v7
	s_mov_b32 s16, 0
	s_waitcnt lgkmcnt(0)
	s_lshl_b32 s22, s0, 7
	v_subb_co_u32_e64 v23, s[0:1], 0, 0, vcc
	s_brev_b32 s1, 1
	s_mov_b32 s0, s16
	v_pk_mul_f32 v[8:9], v[2:3], s[0:1]
	s_ashr_i32 s1, s20, 31
	s_mov_b32 s0, s20
	s_lshl_b64 s[0:1], s[0:1], 3
	s_sub_u32 s23, s14, s0
	v_cmp_eq_u32_e32 vcc, 1, v7
	v_and_b32_e32 v7, 0x7fffffff, v4
	s_subb_u32 s14, s15, s1
	v_cmp_ne_u32_e64 s[0:1], 0, v7
	v_cmp_neq_f32_e64 s[2:3], 0, v5
	v_mov_b32_e32 v0, v9
	v_mov_b32_e32 v1, v8
	s_or_b64 s[2:3], s[0:1], s[2:3]
	v_xor_b32_e32 v8, 0x80000000, v5
	v_mov_b32_e32 v9, v4
	s_mov_b64 s[4:5], 0
	v_mov_b32_e32 v24, s19
	v_mov_b32_e32 v25, s9
	v_mov_b32_e32 v26, s16
	v_mov_b32_e32 v27, s14
	s_branch .LBB275_13
.LBB275_11:                             ;   in Loop: Header=BB275_13 Depth=1
	s_or_b64 exec, exec, s[0:1]
	global_store_dwordx2 v[10:11], v[12:13], off
.LBB275_12:                             ;   in Loop: Header=BB275_13 Depth=1
	s_or_b64 exec, exec, s[14:15]
	v_add_u32_e32 v6, s22, v6
	v_cmp_le_i32_e64 s[0:1], s21, v6
	s_or_b64 s[4:5], s[0:1], s[4:5]
	s_andn2_b64 exec, exec, s[4:5]
	s_cbranch_execz .LBB275_20
.LBB275_13:                             ; =>This Loop Header: Depth=1
                                        ;     Child Loop BB275_15 Depth 2
	v_ashrrev_i32_e32 v7, 31, v6
	v_lshlrev_b64 v[10:11], 3, v[6:7]
	v_add_co_u32_e64 v12, s[0:1], s8, v10
	v_addc_co_u32_e64 v13, s[0:1], v25, v11, s[0:1]
	global_load_dwordx2 v[14:15], v[12:13], off
	v_add_co_u32_e64 v12, s[0:1], s18, v10
	v_addc_co_u32_e64 v13, s[0:1], v24, v11, s[0:1]
	global_load_dwordx2 v[16:17], v[12:13], off
	v_mov_b32_e32 v13, 0
	v_mov_b32_e32 v12, v13
	s_waitcnt vmcnt(1)
	v_subrev_co_u32_e64 v14, s[0:1], s20, v14
	v_subb_co_u32_e64 v15, s[0:1], v15, v26, s[0:1]
	s_waitcnt vmcnt(0)
	v_add_co_u32_e64 v16, s[0:1], v16, v22
	v_addc_co_u32_e64 v17, s[0:1], v17, v23, s[0:1]
	v_cmp_lt_i64_e64 s[0:1], v[16:17], v[14:15]
	s_and_saveexec_b64 s[14:15], s[0:1]
	s_cbranch_execz .LBB275_17
; %bb.14:                               ;   in Loop: Header=BB275_13 Depth=1
	v_lshlrev_b64 v[12:13], 2, v[16:17]
	v_mov_b32_e32 v7, s13
	v_add_co_u32_e64 v18, s[0:1], s12, v12
	v_addc_co_u32_e64 v19, s[0:1], v7, v13, s[0:1]
	v_mov_b32_e32 v7, s11
	v_add_co_u32_e64 v20, s[0:1], s10, v12
	v_mov_b32_e32 v12, 0
	v_addc_co_u32_e64 v21, s[0:1], v7, v13, s[0:1]
	s_mov_b64 s[16:17], 0
	v_mov_b32_e32 v13, v12
.LBB275_15:                             ;   Parent Loop BB275_13 Depth=1
                                        ; =>  This Inner Loop Header: Depth=2
	global_load_dword v28, v[20:21], off
	global_load_dword v30, v[18:19], off
	s_waitcnt vmcnt(1)
	v_ashrrev_i32_e32 v29, 31, v28
	v_lshlrev_b64 v[28:29], 3, v[28:29]
	v_add_co_u32_e64 v28, s[0:1], s23, v28
	v_addc_co_u32_e64 v29, s[0:1], v27, v29, s[0:1]
	global_load_dwordx2 v[28:29], v[28:29], off
	v_add_co_u32_e64 v16, s[0:1], 2, v16
	v_addc_co_u32_e64 v17, s[0:1], 0, v17, s[0:1]
	v_add_co_u32_e64 v18, s[0:1], 8, v18
	v_addc_co_u32_e64 v19, s[0:1], 0, v19, s[0:1]
	;; [unrolled: 2-line block ×3, first 2 shown]
	s_waitcnt vmcnt(1)
	v_pk_fma_f32 v[30:31], v[2:3], v[30:31], v[0:1] op_sel_hi:[1,0,1]
	v_cmp_ge_i64_e64 s[0:1], v[16:17], v[14:15]
	s_or_b64 s[16:17], s[0:1], s[16:17]
	s_waitcnt vmcnt(0)
	v_pk_fma_f32 v[12:13], v[30:31], v[28:29], v[12:13] op_sel_hi:[1,0,1]
	v_pk_fma_f32 v[12:13], v[30:31], v[28:29], v[12:13] op_sel:[1,1,0] op_sel_hi:[0,1,1] neg_lo:[1,0,0]
	s_andn2_b64 exec, exec, s[16:17]
	s_cbranch_execnz .LBB275_15
; %bb.16:                               ;   in Loop: Header=BB275_13 Depth=1
	s_or_b64 exec, exec, s[16:17]
.LBB275_17:                             ;   in Loop: Header=BB275_13 Depth=1
	s_or_b64 exec, exec, s[14:15]
	v_mov_b32_dpp v14, v12 row_shr:1 row_mask:0xf bank_mask:0xf
	v_mov_b32_dpp v15, v13 row_shr:1 row_mask:0xf bank_mask:0xf
	s_and_saveexec_b64 s[14:15], vcc
	s_cbranch_execz .LBB275_12
; %bb.18:                               ;   in Loop: Header=BB275_13 Depth=1
	v_mov_b32_e32 v7, s7
	v_add_co_u32_e64 v10, s[0:1], s6, v10
	v_pk_add_f32 v[12:13], v[12:13], v[14:15]
	v_addc_co_u32_e64 v11, s[0:1], v7, v11, s[0:1]
	s_and_saveexec_b64 s[0:1], s[2:3]
	s_cbranch_execz .LBB275_11
; %bb.19:                               ;   in Loop: Header=BB275_13 Depth=1
	global_load_dwordx2 v[14:15], v[10:11], off
	s_waitcnt vmcnt(0)
	v_pk_fma_f32 v[12:13], v[4:5], v[14:15], v[12:13] op_sel_hi:[1,0,1]
	v_pk_fma_f32 v[12:13], v[8:9], v[14:15], v[12:13] op_sel:[0,1,0]
	s_branch .LBB275_11
.LBB275_20:
	s_endpgm
.LBB275_21:
	v_pk_mov_b32 v[4:5], s[16:17], s[16:17] op_sel:[0,1]
	flat_load_dword v3, v[4:5] offset:4
	s_and_b64 vcc, exec, s[0:1]
	v_mov_b32_e32 v4, s2
	s_cbranch_vccnz .LBB275_4
.LBB275_22:
	v_pk_mov_b32 v[4:5], s[2:3], s[2:3] op_sel:[0,1]
	flat_load_dword v4, v[4:5]
	s_and_b64 vcc, exec, s[0:1]
	v_mov_b32_e32 v5, s3
	s_cbranch_vccz .LBB275_5
	s_branch .LBB275_6
	.section	.rodata,"a",@progbits
	.p2align	6, 0x0
	.amdhsa_kernel _ZN9rocsparseL21csrmvn_general_kernelILj256ELj2Elif21rocsparse_complex_numIfES2_S2_EEvbT2_NS_24const_host_device_scalarIT6_EEPKT1_S9_PKS3_PKT3_PKT4_S6_PT5_21rocsparse_index_base_b
		.amdhsa_group_segment_fixed_size 0
		.amdhsa_private_segment_fixed_size 0
		.amdhsa_kernarg_size 336
		.amdhsa_user_sgpr_count 6
		.amdhsa_user_sgpr_private_segment_buffer 1
		.amdhsa_user_sgpr_dispatch_ptr 0
		.amdhsa_user_sgpr_queue_ptr 0
		.amdhsa_user_sgpr_kernarg_segment_ptr 1
		.amdhsa_user_sgpr_dispatch_id 0
		.amdhsa_user_sgpr_flat_scratch_init 0
		.amdhsa_user_sgpr_kernarg_preload_length 0
		.amdhsa_user_sgpr_kernarg_preload_offset 0
		.amdhsa_user_sgpr_private_segment_size 0
		.amdhsa_uses_dynamic_stack 0
		.amdhsa_system_sgpr_private_segment_wavefront_offset 0
		.amdhsa_system_sgpr_workgroup_id_x 1
		.amdhsa_system_sgpr_workgroup_id_y 0
		.amdhsa_system_sgpr_workgroup_id_z 0
		.amdhsa_system_sgpr_workgroup_info 0
		.amdhsa_system_vgpr_workitem_id 0
		.amdhsa_next_free_vgpr 32
		.amdhsa_next_free_sgpr 24
		.amdhsa_accum_offset 32
		.amdhsa_reserve_vcc 1
		.amdhsa_reserve_flat_scratch 0
		.amdhsa_float_round_mode_32 0
		.amdhsa_float_round_mode_16_64 0
		.amdhsa_float_denorm_mode_32 3
		.amdhsa_float_denorm_mode_16_64 3
		.amdhsa_dx10_clamp 1
		.amdhsa_ieee_mode 1
		.amdhsa_fp16_overflow 0
		.amdhsa_tg_split 0
		.amdhsa_exception_fp_ieee_invalid_op 0
		.amdhsa_exception_fp_denorm_src 0
		.amdhsa_exception_fp_ieee_div_zero 0
		.amdhsa_exception_fp_ieee_overflow 0
		.amdhsa_exception_fp_ieee_underflow 0
		.amdhsa_exception_fp_ieee_inexact 0
		.amdhsa_exception_int_div_zero 0
	.end_amdhsa_kernel
	.section	.text._ZN9rocsparseL21csrmvn_general_kernelILj256ELj2Elif21rocsparse_complex_numIfES2_S2_EEvbT2_NS_24const_host_device_scalarIT6_EEPKT1_S9_PKS3_PKT3_PKT4_S6_PT5_21rocsparse_index_base_b,"axG",@progbits,_ZN9rocsparseL21csrmvn_general_kernelILj256ELj2Elif21rocsparse_complex_numIfES2_S2_EEvbT2_NS_24const_host_device_scalarIT6_EEPKT1_S9_PKS3_PKT3_PKT4_S6_PT5_21rocsparse_index_base_b,comdat
.Lfunc_end275:
	.size	_ZN9rocsparseL21csrmvn_general_kernelILj256ELj2Elif21rocsparse_complex_numIfES2_S2_EEvbT2_NS_24const_host_device_scalarIT6_EEPKT1_S9_PKS3_PKT3_PKT4_S6_PT5_21rocsparse_index_base_b, .Lfunc_end275-_ZN9rocsparseL21csrmvn_general_kernelILj256ELj2Elif21rocsparse_complex_numIfES2_S2_EEvbT2_NS_24const_host_device_scalarIT6_EEPKT1_S9_PKS3_PKT3_PKT4_S6_PT5_21rocsparse_index_base_b
                                        ; -- End function
	.section	.AMDGPU.csdata,"",@progbits
; Kernel info:
; codeLenInByte = 948
; NumSgprs: 28
; NumVgprs: 32
; NumAgprs: 0
; TotalNumVgprs: 32
; ScratchSize: 0
; MemoryBound: 0
; FloatMode: 240
; IeeeMode: 1
; LDSByteSize: 0 bytes/workgroup (compile time only)
; SGPRBlocks: 3
; VGPRBlocks: 3
; NumSGPRsForWavesPerEU: 28
; NumVGPRsForWavesPerEU: 32
; AccumOffset: 32
; Occupancy: 8
; WaveLimiterHint : 1
; COMPUTE_PGM_RSRC2:SCRATCH_EN: 0
; COMPUTE_PGM_RSRC2:USER_SGPR: 6
; COMPUTE_PGM_RSRC2:TRAP_HANDLER: 0
; COMPUTE_PGM_RSRC2:TGID_X_EN: 1
; COMPUTE_PGM_RSRC2:TGID_Y_EN: 0
; COMPUTE_PGM_RSRC2:TGID_Z_EN: 0
; COMPUTE_PGM_RSRC2:TIDIG_COMP_CNT: 0
; COMPUTE_PGM_RSRC3_GFX90A:ACCUM_OFFSET: 7
; COMPUTE_PGM_RSRC3_GFX90A:TG_SPLIT: 0
	.section	.text._ZN9rocsparseL21csrmvn_general_kernelILj256ELj4Elif21rocsparse_complex_numIfES2_S2_EEvbT2_NS_24const_host_device_scalarIT6_EEPKT1_S9_PKS3_PKT3_PKT4_S6_PT5_21rocsparse_index_base_b,"axG",@progbits,_ZN9rocsparseL21csrmvn_general_kernelILj256ELj4Elif21rocsparse_complex_numIfES2_S2_EEvbT2_NS_24const_host_device_scalarIT6_EEPKT1_S9_PKS3_PKT3_PKT4_S6_PT5_21rocsparse_index_base_b,comdat
	.globl	_ZN9rocsparseL21csrmvn_general_kernelILj256ELj4Elif21rocsparse_complex_numIfES2_S2_EEvbT2_NS_24const_host_device_scalarIT6_EEPKT1_S9_PKS3_PKT3_PKT4_S6_PT5_21rocsparse_index_base_b ; -- Begin function _ZN9rocsparseL21csrmvn_general_kernelILj256ELj4Elif21rocsparse_complex_numIfES2_S2_EEvbT2_NS_24const_host_device_scalarIT6_EEPKT1_S9_PKS3_PKT3_PKT4_S6_PT5_21rocsparse_index_base_b
	.p2align	8
	.type	_ZN9rocsparseL21csrmvn_general_kernelILj256ELj4Elif21rocsparse_complex_numIfES2_S2_EEvbT2_NS_24const_host_device_scalarIT6_EEPKT1_S9_PKS3_PKT3_PKT4_S6_PT5_21rocsparse_index_base_b,@function
_ZN9rocsparseL21csrmvn_general_kernelILj256ELj4Elif21rocsparse_complex_numIfES2_S2_EEvbT2_NS_24const_host_device_scalarIT6_EEPKT1_S9_PKS3_PKT3_PKT4_S6_PT5_21rocsparse_index_base_b: ; @_ZN9rocsparseL21csrmvn_general_kernelILj256ELj4Elif21rocsparse_complex_numIfES2_S2_EEvbT2_NS_24const_host_device_scalarIT6_EEPKT1_S9_PKS3_PKT3_PKT4_S6_PT5_21rocsparse_index_base_b
; %bb.0:
	s_load_dwordx2 s[20:21], s[4:5], 0x48
	s_load_dwordx4 s[16:19], s[4:5], 0x8
	s_load_dwordx2 s[2:3], s[4:5], 0x38
	s_waitcnt lgkmcnt(0)
	s_bitcmp1_b32 s21, 0
	s_cselect_b64 s[0:1], -1, 0
	s_xor_b64 s[8:9], s[0:1], -1
	s_and_b64 vcc, exec, s[0:1]
	v_mov_b32_e32 v2, s16
	s_cbranch_vccnz .LBB276_2
; %bb.1:
	v_pk_mov_b32 v[2:3], s[16:17], s[16:17] op_sel:[0,1]
	flat_load_dword v2, v[2:3]
.LBB276_2:
	v_cndmask_b32_e64 v1, 0, 1, s[8:9]
	v_cmp_ne_u32_e64 s[0:1], 1, v1
	s_andn2_b64 vcc, exec, s[8:9]
	v_mov_b32_e32 v3, s17
	s_cbranch_vccz .LBB276_21
; %bb.3:
	s_and_b64 vcc, exec, s[0:1]
	v_mov_b32_e32 v4, s2
	s_cbranch_vccz .LBB276_22
.LBB276_4:
	s_and_b64 vcc, exec, s[0:1]
	v_mov_b32_e32 v5, s3
	s_cbranch_vccnz .LBB276_6
.LBB276_5:
	v_pk_mov_b32 v[6:7], s[2:3], s[2:3] op_sel:[0,1]
	flat_load_dword v5, v[6:7] offset:4
.LBB276_6:
	s_waitcnt vmcnt(0) lgkmcnt(0)
	v_or_b32_e32 v1, v2, v3
	v_and_b32_e32 v1, 0x7fffffff, v1
	v_cmp_eq_u32_e32 vcc, 0, v1
	s_mov_b64 s[0:1], -1
	s_and_saveexec_b64 s[2:3], vcc
; %bb.7:
	v_and_b32_e32 v1, 0x7fffffff, v5
	v_cmp_neq_f32_e32 vcc, 1.0, v4
	v_cmp_ne_u32_e64 s[0:1], 0, v1
	s_or_b64 s[0:1], vcc, s[0:1]
	s_orn2_b64 s[0:1], s[0:1], exec
; %bb.8:
	s_or_b64 exec, exec, s[2:3]
	s_and_saveexec_b64 s[2:3], s[0:1]
	s_cbranch_execz .LBB276_20
; %bb.9:
	s_load_dword s21, s[4:5], 0x4
	v_lshl_or_b32 v1, s6, 8, v0
	v_lshrrev_b32_e32 v6, 2, v1
	s_waitcnt lgkmcnt(0)
	v_cmp_gt_i32_e32 vcc, s21, v6
	s_and_b64 exec, exec, vcc
	s_cbranch_execz .LBB276_20
; %bb.10:
	s_load_dword s0, s[4:5], 0x50
	s_load_dwordx2 s[6:7], s[4:5], 0x40
	s_load_dwordx8 s[8:15], s[4:5], 0x18
	v_and_b32_e32 v7, 3, v0
	v_subrev_co_u32_e32 v22, vcc, s20, v7
	s_mov_b32 s16, 0
	s_waitcnt lgkmcnt(0)
	s_lshl_b32 s22, s0, 6
	v_subb_co_u32_e64 v23, s[0:1], 0, 0, vcc
	s_brev_b32 s1, 1
	s_mov_b32 s0, s16
	v_pk_mul_f32 v[8:9], v[2:3], s[0:1]
	s_ashr_i32 s1, s20, 31
	s_mov_b32 s0, s20
	s_lshl_b64 s[0:1], s[0:1], 3
	s_sub_u32 s23, s14, s0
	v_cmp_eq_u32_e32 vcc, 3, v7
	v_and_b32_e32 v7, 0x7fffffff, v4
	s_subb_u32 s14, s15, s1
	v_cmp_ne_u32_e64 s[0:1], 0, v7
	v_cmp_neq_f32_e64 s[2:3], 0, v5
	v_mov_b32_e32 v0, v9
	v_mov_b32_e32 v1, v8
	s_or_b64 s[2:3], s[0:1], s[2:3]
	v_xor_b32_e32 v8, 0x80000000, v5
	v_mov_b32_e32 v9, v4
	s_mov_b64 s[4:5], 0
	v_mov_b32_e32 v24, s19
	v_mov_b32_e32 v25, s9
	;; [unrolled: 1-line block ×4, first 2 shown]
	s_branch .LBB276_13
.LBB276_11:                             ;   in Loop: Header=BB276_13 Depth=1
	s_or_b64 exec, exec, s[0:1]
	global_store_dwordx2 v[10:11], v[12:13], off
.LBB276_12:                             ;   in Loop: Header=BB276_13 Depth=1
	s_or_b64 exec, exec, s[14:15]
	v_add_u32_e32 v6, s22, v6
	v_cmp_le_i32_e64 s[0:1], s21, v6
	s_or_b64 s[4:5], s[0:1], s[4:5]
	s_andn2_b64 exec, exec, s[4:5]
	s_cbranch_execz .LBB276_20
.LBB276_13:                             ; =>This Loop Header: Depth=1
                                        ;     Child Loop BB276_15 Depth 2
	v_ashrrev_i32_e32 v7, 31, v6
	v_lshlrev_b64 v[10:11], 3, v[6:7]
	v_add_co_u32_e64 v12, s[0:1], s8, v10
	v_addc_co_u32_e64 v13, s[0:1], v25, v11, s[0:1]
	global_load_dwordx2 v[14:15], v[12:13], off
	v_add_co_u32_e64 v12, s[0:1], s18, v10
	v_addc_co_u32_e64 v13, s[0:1], v24, v11, s[0:1]
	global_load_dwordx2 v[16:17], v[12:13], off
	v_mov_b32_e32 v13, 0
	v_mov_b32_e32 v12, v13
	s_waitcnt vmcnt(1)
	v_subrev_co_u32_e64 v14, s[0:1], s20, v14
	v_subb_co_u32_e64 v15, s[0:1], v15, v26, s[0:1]
	s_waitcnt vmcnt(0)
	v_add_co_u32_e64 v16, s[0:1], v16, v22
	v_addc_co_u32_e64 v17, s[0:1], v17, v23, s[0:1]
	v_cmp_lt_i64_e64 s[0:1], v[16:17], v[14:15]
	s_and_saveexec_b64 s[14:15], s[0:1]
	s_cbranch_execz .LBB276_17
; %bb.14:                               ;   in Loop: Header=BB276_13 Depth=1
	v_lshlrev_b64 v[12:13], 2, v[16:17]
	v_mov_b32_e32 v7, s13
	v_add_co_u32_e64 v18, s[0:1], s12, v12
	v_addc_co_u32_e64 v19, s[0:1], v7, v13, s[0:1]
	v_mov_b32_e32 v7, s11
	v_add_co_u32_e64 v20, s[0:1], s10, v12
	v_mov_b32_e32 v12, 0
	v_addc_co_u32_e64 v21, s[0:1], v7, v13, s[0:1]
	s_mov_b64 s[16:17], 0
	v_mov_b32_e32 v13, v12
.LBB276_15:                             ;   Parent Loop BB276_13 Depth=1
                                        ; =>  This Inner Loop Header: Depth=2
	global_load_dword v28, v[20:21], off
	global_load_dword v30, v[18:19], off
	s_waitcnt vmcnt(1)
	v_ashrrev_i32_e32 v29, 31, v28
	v_lshlrev_b64 v[28:29], 3, v[28:29]
	v_add_co_u32_e64 v28, s[0:1], s23, v28
	v_addc_co_u32_e64 v29, s[0:1], v27, v29, s[0:1]
	global_load_dwordx2 v[28:29], v[28:29], off
	v_add_co_u32_e64 v16, s[0:1], 4, v16
	v_addc_co_u32_e64 v17, s[0:1], 0, v17, s[0:1]
	v_add_co_u32_e64 v18, s[0:1], 16, v18
	v_addc_co_u32_e64 v19, s[0:1], 0, v19, s[0:1]
	;; [unrolled: 2-line block ×3, first 2 shown]
	s_waitcnt vmcnt(1)
	v_pk_fma_f32 v[30:31], v[2:3], v[30:31], v[0:1] op_sel_hi:[1,0,1]
	v_cmp_ge_i64_e64 s[0:1], v[16:17], v[14:15]
	s_or_b64 s[16:17], s[0:1], s[16:17]
	s_waitcnt vmcnt(0)
	v_pk_fma_f32 v[12:13], v[30:31], v[28:29], v[12:13] op_sel_hi:[1,0,1]
	v_pk_fma_f32 v[12:13], v[30:31], v[28:29], v[12:13] op_sel:[1,1,0] op_sel_hi:[0,1,1] neg_lo:[1,0,0]
	s_andn2_b64 exec, exec, s[16:17]
	s_cbranch_execnz .LBB276_15
; %bb.16:                               ;   in Loop: Header=BB276_13 Depth=1
	s_or_b64 exec, exec, s[16:17]
.LBB276_17:                             ;   in Loop: Header=BB276_13 Depth=1
	s_or_b64 exec, exec, s[14:15]
	v_mov_b32_dpp v14, v12 row_shr:1 row_mask:0xf bank_mask:0xf
	v_mov_b32_dpp v15, v13 row_shr:1 row_mask:0xf bank_mask:0xf
	v_pk_add_f32 v[12:13], v[12:13], v[14:15]
	s_nop 1
	v_mov_b32_dpp v14, v12 row_shr:2 row_mask:0xf bank_mask:0xf
	v_mov_b32_dpp v15, v13 row_shr:2 row_mask:0xf bank_mask:0xf
	s_and_saveexec_b64 s[14:15], vcc
	s_cbranch_execz .LBB276_12
; %bb.18:                               ;   in Loop: Header=BB276_13 Depth=1
	v_mov_b32_e32 v7, s7
	v_add_co_u32_e64 v10, s[0:1], s6, v10
	v_pk_add_f32 v[12:13], v[12:13], v[14:15]
	v_addc_co_u32_e64 v11, s[0:1], v7, v11, s[0:1]
	s_and_saveexec_b64 s[0:1], s[2:3]
	s_cbranch_execz .LBB276_11
; %bb.19:                               ;   in Loop: Header=BB276_13 Depth=1
	global_load_dwordx2 v[14:15], v[10:11], off
	s_waitcnt vmcnt(0)
	v_pk_fma_f32 v[12:13], v[4:5], v[14:15], v[12:13] op_sel_hi:[1,0,1]
	v_pk_fma_f32 v[12:13], v[8:9], v[14:15], v[12:13] op_sel:[0,1,0]
	s_branch .LBB276_11
.LBB276_20:
	s_endpgm
.LBB276_21:
	v_pk_mov_b32 v[4:5], s[16:17], s[16:17] op_sel:[0,1]
	flat_load_dword v3, v[4:5] offset:4
	s_and_b64 vcc, exec, s[0:1]
	v_mov_b32_e32 v4, s2
	s_cbranch_vccnz .LBB276_4
.LBB276_22:
	v_pk_mov_b32 v[4:5], s[2:3], s[2:3] op_sel:[0,1]
	flat_load_dword v4, v[4:5]
	s_and_b64 vcc, exec, s[0:1]
	v_mov_b32_e32 v5, s3
	s_cbranch_vccz .LBB276_5
	s_branch .LBB276_6
	.section	.rodata,"a",@progbits
	.p2align	6, 0x0
	.amdhsa_kernel _ZN9rocsparseL21csrmvn_general_kernelILj256ELj4Elif21rocsparse_complex_numIfES2_S2_EEvbT2_NS_24const_host_device_scalarIT6_EEPKT1_S9_PKS3_PKT3_PKT4_S6_PT5_21rocsparse_index_base_b
		.amdhsa_group_segment_fixed_size 0
		.amdhsa_private_segment_fixed_size 0
		.amdhsa_kernarg_size 336
		.amdhsa_user_sgpr_count 6
		.amdhsa_user_sgpr_private_segment_buffer 1
		.amdhsa_user_sgpr_dispatch_ptr 0
		.amdhsa_user_sgpr_queue_ptr 0
		.amdhsa_user_sgpr_kernarg_segment_ptr 1
		.amdhsa_user_sgpr_dispatch_id 0
		.amdhsa_user_sgpr_flat_scratch_init 0
		.amdhsa_user_sgpr_kernarg_preload_length 0
		.amdhsa_user_sgpr_kernarg_preload_offset 0
		.amdhsa_user_sgpr_private_segment_size 0
		.amdhsa_uses_dynamic_stack 0
		.amdhsa_system_sgpr_private_segment_wavefront_offset 0
		.amdhsa_system_sgpr_workgroup_id_x 1
		.amdhsa_system_sgpr_workgroup_id_y 0
		.amdhsa_system_sgpr_workgroup_id_z 0
		.amdhsa_system_sgpr_workgroup_info 0
		.amdhsa_system_vgpr_workitem_id 0
		.amdhsa_next_free_vgpr 32
		.amdhsa_next_free_sgpr 24
		.amdhsa_accum_offset 32
		.amdhsa_reserve_vcc 1
		.amdhsa_reserve_flat_scratch 0
		.amdhsa_float_round_mode_32 0
		.amdhsa_float_round_mode_16_64 0
		.amdhsa_float_denorm_mode_32 3
		.amdhsa_float_denorm_mode_16_64 3
		.amdhsa_dx10_clamp 1
		.amdhsa_ieee_mode 1
		.amdhsa_fp16_overflow 0
		.amdhsa_tg_split 0
		.amdhsa_exception_fp_ieee_invalid_op 0
		.amdhsa_exception_fp_denorm_src 0
		.amdhsa_exception_fp_ieee_div_zero 0
		.amdhsa_exception_fp_ieee_overflow 0
		.amdhsa_exception_fp_ieee_underflow 0
		.amdhsa_exception_fp_ieee_inexact 0
		.amdhsa_exception_int_div_zero 0
	.end_amdhsa_kernel
	.section	.text._ZN9rocsparseL21csrmvn_general_kernelILj256ELj4Elif21rocsparse_complex_numIfES2_S2_EEvbT2_NS_24const_host_device_scalarIT6_EEPKT1_S9_PKS3_PKT3_PKT4_S6_PT5_21rocsparse_index_base_b,"axG",@progbits,_ZN9rocsparseL21csrmvn_general_kernelILj256ELj4Elif21rocsparse_complex_numIfES2_S2_EEvbT2_NS_24const_host_device_scalarIT6_EEPKT1_S9_PKS3_PKT3_PKT4_S6_PT5_21rocsparse_index_base_b,comdat
.Lfunc_end276:
	.size	_ZN9rocsparseL21csrmvn_general_kernelILj256ELj4Elif21rocsparse_complex_numIfES2_S2_EEvbT2_NS_24const_host_device_scalarIT6_EEPKT1_S9_PKS3_PKT3_PKT4_S6_PT5_21rocsparse_index_base_b, .Lfunc_end276-_ZN9rocsparseL21csrmvn_general_kernelILj256ELj4Elif21rocsparse_complex_numIfES2_S2_EEvbT2_NS_24const_host_device_scalarIT6_EEPKT1_S9_PKS3_PKT3_PKT4_S6_PT5_21rocsparse_index_base_b
                                        ; -- End function
	.section	.AMDGPU.csdata,"",@progbits
; Kernel info:
; codeLenInByte = 976
; NumSgprs: 28
; NumVgprs: 32
; NumAgprs: 0
; TotalNumVgprs: 32
; ScratchSize: 0
; MemoryBound: 0
; FloatMode: 240
; IeeeMode: 1
; LDSByteSize: 0 bytes/workgroup (compile time only)
; SGPRBlocks: 3
; VGPRBlocks: 3
; NumSGPRsForWavesPerEU: 28
; NumVGPRsForWavesPerEU: 32
; AccumOffset: 32
; Occupancy: 8
; WaveLimiterHint : 1
; COMPUTE_PGM_RSRC2:SCRATCH_EN: 0
; COMPUTE_PGM_RSRC2:USER_SGPR: 6
; COMPUTE_PGM_RSRC2:TRAP_HANDLER: 0
; COMPUTE_PGM_RSRC2:TGID_X_EN: 1
; COMPUTE_PGM_RSRC2:TGID_Y_EN: 0
; COMPUTE_PGM_RSRC2:TGID_Z_EN: 0
; COMPUTE_PGM_RSRC2:TIDIG_COMP_CNT: 0
; COMPUTE_PGM_RSRC3_GFX90A:ACCUM_OFFSET: 7
; COMPUTE_PGM_RSRC3_GFX90A:TG_SPLIT: 0
	.section	.text._ZN9rocsparseL21csrmvn_general_kernelILj256ELj8Elif21rocsparse_complex_numIfES2_S2_EEvbT2_NS_24const_host_device_scalarIT6_EEPKT1_S9_PKS3_PKT3_PKT4_S6_PT5_21rocsparse_index_base_b,"axG",@progbits,_ZN9rocsparseL21csrmvn_general_kernelILj256ELj8Elif21rocsparse_complex_numIfES2_S2_EEvbT2_NS_24const_host_device_scalarIT6_EEPKT1_S9_PKS3_PKT3_PKT4_S6_PT5_21rocsparse_index_base_b,comdat
	.globl	_ZN9rocsparseL21csrmvn_general_kernelILj256ELj8Elif21rocsparse_complex_numIfES2_S2_EEvbT2_NS_24const_host_device_scalarIT6_EEPKT1_S9_PKS3_PKT3_PKT4_S6_PT5_21rocsparse_index_base_b ; -- Begin function _ZN9rocsparseL21csrmvn_general_kernelILj256ELj8Elif21rocsparse_complex_numIfES2_S2_EEvbT2_NS_24const_host_device_scalarIT6_EEPKT1_S9_PKS3_PKT3_PKT4_S6_PT5_21rocsparse_index_base_b
	.p2align	8
	.type	_ZN9rocsparseL21csrmvn_general_kernelILj256ELj8Elif21rocsparse_complex_numIfES2_S2_EEvbT2_NS_24const_host_device_scalarIT6_EEPKT1_S9_PKS3_PKT3_PKT4_S6_PT5_21rocsparse_index_base_b,@function
_ZN9rocsparseL21csrmvn_general_kernelILj256ELj8Elif21rocsparse_complex_numIfES2_S2_EEvbT2_NS_24const_host_device_scalarIT6_EEPKT1_S9_PKS3_PKT3_PKT4_S6_PT5_21rocsparse_index_base_b: ; @_ZN9rocsparseL21csrmvn_general_kernelILj256ELj8Elif21rocsparse_complex_numIfES2_S2_EEvbT2_NS_24const_host_device_scalarIT6_EEPKT1_S9_PKS3_PKT3_PKT4_S6_PT5_21rocsparse_index_base_b
; %bb.0:
	s_load_dwordx2 s[20:21], s[4:5], 0x48
	s_load_dwordx4 s[16:19], s[4:5], 0x8
	s_load_dwordx2 s[2:3], s[4:5], 0x38
	s_waitcnt lgkmcnt(0)
	s_bitcmp1_b32 s21, 0
	s_cselect_b64 s[0:1], -1, 0
	s_xor_b64 s[8:9], s[0:1], -1
	s_and_b64 vcc, exec, s[0:1]
	v_mov_b32_e32 v2, s16
	s_cbranch_vccnz .LBB277_2
; %bb.1:
	v_pk_mov_b32 v[2:3], s[16:17], s[16:17] op_sel:[0,1]
	flat_load_dword v2, v[2:3]
.LBB277_2:
	v_cndmask_b32_e64 v1, 0, 1, s[8:9]
	v_cmp_ne_u32_e64 s[0:1], 1, v1
	s_andn2_b64 vcc, exec, s[8:9]
	v_mov_b32_e32 v3, s17
	s_cbranch_vccz .LBB277_21
; %bb.3:
	s_and_b64 vcc, exec, s[0:1]
	v_mov_b32_e32 v4, s2
	s_cbranch_vccz .LBB277_22
.LBB277_4:
	s_and_b64 vcc, exec, s[0:1]
	v_mov_b32_e32 v5, s3
	s_cbranch_vccnz .LBB277_6
.LBB277_5:
	v_pk_mov_b32 v[6:7], s[2:3], s[2:3] op_sel:[0,1]
	flat_load_dword v5, v[6:7] offset:4
.LBB277_6:
	s_waitcnt vmcnt(0) lgkmcnt(0)
	v_or_b32_e32 v1, v2, v3
	v_and_b32_e32 v1, 0x7fffffff, v1
	v_cmp_eq_u32_e32 vcc, 0, v1
	s_mov_b64 s[0:1], -1
	s_and_saveexec_b64 s[2:3], vcc
; %bb.7:
	v_and_b32_e32 v1, 0x7fffffff, v5
	v_cmp_neq_f32_e32 vcc, 1.0, v4
	v_cmp_ne_u32_e64 s[0:1], 0, v1
	s_or_b64 s[0:1], vcc, s[0:1]
	s_orn2_b64 s[0:1], s[0:1], exec
; %bb.8:
	s_or_b64 exec, exec, s[2:3]
	s_and_saveexec_b64 s[2:3], s[0:1]
	s_cbranch_execz .LBB277_20
; %bb.9:
	s_load_dword s21, s[4:5], 0x4
	v_lshl_or_b32 v1, s6, 8, v0
	v_lshrrev_b32_e32 v6, 3, v1
	s_waitcnt lgkmcnt(0)
	v_cmp_gt_i32_e32 vcc, s21, v6
	s_and_b64 exec, exec, vcc
	s_cbranch_execz .LBB277_20
; %bb.10:
	s_load_dword s0, s[4:5], 0x50
	s_load_dwordx2 s[6:7], s[4:5], 0x40
	s_load_dwordx8 s[8:15], s[4:5], 0x18
	v_and_b32_e32 v7, 7, v0
	v_subrev_co_u32_e32 v22, vcc, s20, v7
	s_mov_b32 s16, 0
	s_waitcnt lgkmcnt(0)
	s_lshl_b32 s22, s0, 5
	v_subb_co_u32_e64 v23, s[0:1], 0, 0, vcc
	s_brev_b32 s1, 1
	s_mov_b32 s0, s16
	v_pk_mul_f32 v[8:9], v[2:3], s[0:1]
	s_ashr_i32 s1, s20, 31
	s_mov_b32 s0, s20
	s_lshl_b64 s[0:1], s[0:1], 3
	s_sub_u32 s23, s14, s0
	v_cmp_eq_u32_e32 vcc, 7, v7
	v_and_b32_e32 v7, 0x7fffffff, v4
	s_subb_u32 s14, s15, s1
	v_cmp_ne_u32_e64 s[0:1], 0, v7
	v_cmp_neq_f32_e64 s[2:3], 0, v5
	v_mov_b32_e32 v0, v9
	v_mov_b32_e32 v1, v8
	s_or_b64 s[2:3], s[0:1], s[2:3]
	v_xor_b32_e32 v8, 0x80000000, v5
	v_mov_b32_e32 v9, v4
	s_mov_b64 s[4:5], 0
	v_mov_b32_e32 v24, s19
	v_mov_b32_e32 v25, s9
	;; [unrolled: 1-line block ×4, first 2 shown]
	s_branch .LBB277_13
.LBB277_11:                             ;   in Loop: Header=BB277_13 Depth=1
	s_or_b64 exec, exec, s[0:1]
	global_store_dwordx2 v[10:11], v[12:13], off
.LBB277_12:                             ;   in Loop: Header=BB277_13 Depth=1
	s_or_b64 exec, exec, s[14:15]
	v_add_u32_e32 v6, s22, v6
	v_cmp_le_i32_e64 s[0:1], s21, v6
	s_or_b64 s[4:5], s[0:1], s[4:5]
	s_andn2_b64 exec, exec, s[4:5]
	s_cbranch_execz .LBB277_20
.LBB277_13:                             ; =>This Loop Header: Depth=1
                                        ;     Child Loop BB277_15 Depth 2
	v_ashrrev_i32_e32 v7, 31, v6
	v_lshlrev_b64 v[10:11], 3, v[6:7]
	v_add_co_u32_e64 v12, s[0:1], s8, v10
	v_addc_co_u32_e64 v13, s[0:1], v25, v11, s[0:1]
	global_load_dwordx2 v[14:15], v[12:13], off
	v_add_co_u32_e64 v12, s[0:1], s18, v10
	v_addc_co_u32_e64 v13, s[0:1], v24, v11, s[0:1]
	global_load_dwordx2 v[16:17], v[12:13], off
	v_mov_b32_e32 v13, 0
	v_mov_b32_e32 v12, v13
	s_waitcnt vmcnt(1)
	v_subrev_co_u32_e64 v14, s[0:1], s20, v14
	v_subb_co_u32_e64 v15, s[0:1], v15, v26, s[0:1]
	s_waitcnt vmcnt(0)
	v_add_co_u32_e64 v16, s[0:1], v16, v22
	v_addc_co_u32_e64 v17, s[0:1], v17, v23, s[0:1]
	v_cmp_lt_i64_e64 s[0:1], v[16:17], v[14:15]
	s_and_saveexec_b64 s[14:15], s[0:1]
	s_cbranch_execz .LBB277_17
; %bb.14:                               ;   in Loop: Header=BB277_13 Depth=1
	v_lshlrev_b64 v[12:13], 2, v[16:17]
	v_mov_b32_e32 v7, s13
	v_add_co_u32_e64 v18, s[0:1], s12, v12
	v_addc_co_u32_e64 v19, s[0:1], v7, v13, s[0:1]
	v_mov_b32_e32 v7, s11
	v_add_co_u32_e64 v20, s[0:1], s10, v12
	v_mov_b32_e32 v12, 0
	v_addc_co_u32_e64 v21, s[0:1], v7, v13, s[0:1]
	s_mov_b64 s[16:17], 0
	v_mov_b32_e32 v13, v12
.LBB277_15:                             ;   Parent Loop BB277_13 Depth=1
                                        ; =>  This Inner Loop Header: Depth=2
	global_load_dword v28, v[20:21], off
	global_load_dword v30, v[18:19], off
	s_waitcnt vmcnt(1)
	v_ashrrev_i32_e32 v29, 31, v28
	v_lshlrev_b64 v[28:29], 3, v[28:29]
	v_add_co_u32_e64 v28, s[0:1], s23, v28
	v_addc_co_u32_e64 v29, s[0:1], v27, v29, s[0:1]
	global_load_dwordx2 v[28:29], v[28:29], off
	v_add_co_u32_e64 v16, s[0:1], 8, v16
	v_addc_co_u32_e64 v17, s[0:1], 0, v17, s[0:1]
	v_add_co_u32_e64 v18, s[0:1], 32, v18
	v_addc_co_u32_e64 v19, s[0:1], 0, v19, s[0:1]
	;; [unrolled: 2-line block ×3, first 2 shown]
	s_waitcnt vmcnt(1)
	v_pk_fma_f32 v[30:31], v[2:3], v[30:31], v[0:1] op_sel_hi:[1,0,1]
	v_cmp_ge_i64_e64 s[0:1], v[16:17], v[14:15]
	s_or_b64 s[16:17], s[0:1], s[16:17]
	s_waitcnt vmcnt(0)
	v_pk_fma_f32 v[12:13], v[30:31], v[28:29], v[12:13] op_sel_hi:[1,0,1]
	v_pk_fma_f32 v[12:13], v[30:31], v[28:29], v[12:13] op_sel:[1,1,0] op_sel_hi:[0,1,1] neg_lo:[1,0,0]
	s_andn2_b64 exec, exec, s[16:17]
	s_cbranch_execnz .LBB277_15
; %bb.16:                               ;   in Loop: Header=BB277_13 Depth=1
	s_or_b64 exec, exec, s[16:17]
.LBB277_17:                             ;   in Loop: Header=BB277_13 Depth=1
	s_or_b64 exec, exec, s[14:15]
	v_mov_b32_dpp v14, v12 row_shr:1 row_mask:0xf bank_mask:0xf
	v_mov_b32_dpp v15, v13 row_shr:1 row_mask:0xf bank_mask:0xf
	v_pk_add_f32 v[12:13], v[12:13], v[14:15]
	s_nop 1
	v_mov_b32_dpp v14, v12 row_shr:2 row_mask:0xf bank_mask:0xf
	v_mov_b32_dpp v15, v13 row_shr:2 row_mask:0xf bank_mask:0xf
	v_pk_add_f32 v[12:13], v[12:13], v[14:15]
	s_nop 1
	v_mov_b32_dpp v14, v12 row_shr:4 row_mask:0xf bank_mask:0xe
	v_mov_b32_dpp v15, v13 row_shr:4 row_mask:0xf bank_mask:0xe
	s_and_saveexec_b64 s[14:15], vcc
	s_cbranch_execz .LBB277_12
; %bb.18:                               ;   in Loop: Header=BB277_13 Depth=1
	v_mov_b32_e32 v7, s7
	v_add_co_u32_e64 v10, s[0:1], s6, v10
	v_pk_add_f32 v[12:13], v[12:13], v[14:15]
	v_addc_co_u32_e64 v11, s[0:1], v7, v11, s[0:1]
	s_and_saveexec_b64 s[0:1], s[2:3]
	s_cbranch_execz .LBB277_11
; %bb.19:                               ;   in Loop: Header=BB277_13 Depth=1
	global_load_dwordx2 v[14:15], v[10:11], off
	s_waitcnt vmcnt(0)
	v_pk_fma_f32 v[12:13], v[4:5], v[14:15], v[12:13] op_sel_hi:[1,0,1]
	v_pk_fma_f32 v[12:13], v[8:9], v[14:15], v[12:13] op_sel:[0,1,0]
	s_branch .LBB277_11
.LBB277_20:
	s_endpgm
.LBB277_21:
	v_pk_mov_b32 v[4:5], s[16:17], s[16:17] op_sel:[0,1]
	flat_load_dword v3, v[4:5] offset:4
	s_and_b64 vcc, exec, s[0:1]
	v_mov_b32_e32 v4, s2
	s_cbranch_vccnz .LBB277_4
.LBB277_22:
	v_pk_mov_b32 v[4:5], s[2:3], s[2:3] op_sel:[0,1]
	flat_load_dword v4, v[4:5]
	s_and_b64 vcc, exec, s[0:1]
	v_mov_b32_e32 v5, s3
	s_cbranch_vccz .LBB277_5
	s_branch .LBB277_6
	.section	.rodata,"a",@progbits
	.p2align	6, 0x0
	.amdhsa_kernel _ZN9rocsparseL21csrmvn_general_kernelILj256ELj8Elif21rocsparse_complex_numIfES2_S2_EEvbT2_NS_24const_host_device_scalarIT6_EEPKT1_S9_PKS3_PKT3_PKT4_S6_PT5_21rocsparse_index_base_b
		.amdhsa_group_segment_fixed_size 0
		.amdhsa_private_segment_fixed_size 0
		.amdhsa_kernarg_size 336
		.amdhsa_user_sgpr_count 6
		.amdhsa_user_sgpr_private_segment_buffer 1
		.amdhsa_user_sgpr_dispatch_ptr 0
		.amdhsa_user_sgpr_queue_ptr 0
		.amdhsa_user_sgpr_kernarg_segment_ptr 1
		.amdhsa_user_sgpr_dispatch_id 0
		.amdhsa_user_sgpr_flat_scratch_init 0
		.amdhsa_user_sgpr_kernarg_preload_length 0
		.amdhsa_user_sgpr_kernarg_preload_offset 0
		.amdhsa_user_sgpr_private_segment_size 0
		.amdhsa_uses_dynamic_stack 0
		.amdhsa_system_sgpr_private_segment_wavefront_offset 0
		.amdhsa_system_sgpr_workgroup_id_x 1
		.amdhsa_system_sgpr_workgroup_id_y 0
		.amdhsa_system_sgpr_workgroup_id_z 0
		.amdhsa_system_sgpr_workgroup_info 0
		.amdhsa_system_vgpr_workitem_id 0
		.amdhsa_next_free_vgpr 32
		.amdhsa_next_free_sgpr 24
		.amdhsa_accum_offset 32
		.amdhsa_reserve_vcc 1
		.amdhsa_reserve_flat_scratch 0
		.amdhsa_float_round_mode_32 0
		.amdhsa_float_round_mode_16_64 0
		.amdhsa_float_denorm_mode_32 3
		.amdhsa_float_denorm_mode_16_64 3
		.amdhsa_dx10_clamp 1
		.amdhsa_ieee_mode 1
		.amdhsa_fp16_overflow 0
		.amdhsa_tg_split 0
		.amdhsa_exception_fp_ieee_invalid_op 0
		.amdhsa_exception_fp_denorm_src 0
		.amdhsa_exception_fp_ieee_div_zero 0
		.amdhsa_exception_fp_ieee_overflow 0
		.amdhsa_exception_fp_ieee_underflow 0
		.amdhsa_exception_fp_ieee_inexact 0
		.amdhsa_exception_int_div_zero 0
	.end_amdhsa_kernel
	.section	.text._ZN9rocsparseL21csrmvn_general_kernelILj256ELj8Elif21rocsparse_complex_numIfES2_S2_EEvbT2_NS_24const_host_device_scalarIT6_EEPKT1_S9_PKS3_PKT3_PKT4_S6_PT5_21rocsparse_index_base_b,"axG",@progbits,_ZN9rocsparseL21csrmvn_general_kernelILj256ELj8Elif21rocsparse_complex_numIfES2_S2_EEvbT2_NS_24const_host_device_scalarIT6_EEPKT1_S9_PKS3_PKT3_PKT4_S6_PT5_21rocsparse_index_base_b,comdat
.Lfunc_end277:
	.size	_ZN9rocsparseL21csrmvn_general_kernelILj256ELj8Elif21rocsparse_complex_numIfES2_S2_EEvbT2_NS_24const_host_device_scalarIT6_EEPKT1_S9_PKS3_PKT3_PKT4_S6_PT5_21rocsparse_index_base_b, .Lfunc_end277-_ZN9rocsparseL21csrmvn_general_kernelILj256ELj8Elif21rocsparse_complex_numIfES2_S2_EEvbT2_NS_24const_host_device_scalarIT6_EEPKT1_S9_PKS3_PKT3_PKT4_S6_PT5_21rocsparse_index_base_b
                                        ; -- End function
	.section	.AMDGPU.csdata,"",@progbits
; Kernel info:
; codeLenInByte = 1004
; NumSgprs: 28
; NumVgprs: 32
; NumAgprs: 0
; TotalNumVgprs: 32
; ScratchSize: 0
; MemoryBound: 0
; FloatMode: 240
; IeeeMode: 1
; LDSByteSize: 0 bytes/workgroup (compile time only)
; SGPRBlocks: 3
; VGPRBlocks: 3
; NumSGPRsForWavesPerEU: 28
; NumVGPRsForWavesPerEU: 32
; AccumOffset: 32
; Occupancy: 8
; WaveLimiterHint : 1
; COMPUTE_PGM_RSRC2:SCRATCH_EN: 0
; COMPUTE_PGM_RSRC2:USER_SGPR: 6
; COMPUTE_PGM_RSRC2:TRAP_HANDLER: 0
; COMPUTE_PGM_RSRC2:TGID_X_EN: 1
; COMPUTE_PGM_RSRC2:TGID_Y_EN: 0
; COMPUTE_PGM_RSRC2:TGID_Z_EN: 0
; COMPUTE_PGM_RSRC2:TIDIG_COMP_CNT: 0
; COMPUTE_PGM_RSRC3_GFX90A:ACCUM_OFFSET: 7
; COMPUTE_PGM_RSRC3_GFX90A:TG_SPLIT: 0
	.section	.text._ZN9rocsparseL21csrmvn_general_kernelILj256ELj16Elif21rocsparse_complex_numIfES2_S2_EEvbT2_NS_24const_host_device_scalarIT6_EEPKT1_S9_PKS3_PKT3_PKT4_S6_PT5_21rocsparse_index_base_b,"axG",@progbits,_ZN9rocsparseL21csrmvn_general_kernelILj256ELj16Elif21rocsparse_complex_numIfES2_S2_EEvbT2_NS_24const_host_device_scalarIT6_EEPKT1_S9_PKS3_PKT3_PKT4_S6_PT5_21rocsparse_index_base_b,comdat
	.globl	_ZN9rocsparseL21csrmvn_general_kernelILj256ELj16Elif21rocsparse_complex_numIfES2_S2_EEvbT2_NS_24const_host_device_scalarIT6_EEPKT1_S9_PKS3_PKT3_PKT4_S6_PT5_21rocsparse_index_base_b ; -- Begin function _ZN9rocsparseL21csrmvn_general_kernelILj256ELj16Elif21rocsparse_complex_numIfES2_S2_EEvbT2_NS_24const_host_device_scalarIT6_EEPKT1_S9_PKS3_PKT3_PKT4_S6_PT5_21rocsparse_index_base_b
	.p2align	8
	.type	_ZN9rocsparseL21csrmvn_general_kernelILj256ELj16Elif21rocsparse_complex_numIfES2_S2_EEvbT2_NS_24const_host_device_scalarIT6_EEPKT1_S9_PKS3_PKT3_PKT4_S6_PT5_21rocsparse_index_base_b,@function
_ZN9rocsparseL21csrmvn_general_kernelILj256ELj16Elif21rocsparse_complex_numIfES2_S2_EEvbT2_NS_24const_host_device_scalarIT6_EEPKT1_S9_PKS3_PKT3_PKT4_S6_PT5_21rocsparse_index_base_b: ; @_ZN9rocsparseL21csrmvn_general_kernelILj256ELj16Elif21rocsparse_complex_numIfES2_S2_EEvbT2_NS_24const_host_device_scalarIT6_EEPKT1_S9_PKS3_PKT3_PKT4_S6_PT5_21rocsparse_index_base_b
; %bb.0:
	s_load_dwordx2 s[20:21], s[4:5], 0x48
	s_load_dwordx4 s[16:19], s[4:5], 0x8
	s_load_dwordx2 s[2:3], s[4:5], 0x38
	s_waitcnt lgkmcnt(0)
	s_bitcmp1_b32 s21, 0
	s_cselect_b64 s[0:1], -1, 0
	s_xor_b64 s[8:9], s[0:1], -1
	s_and_b64 vcc, exec, s[0:1]
	v_mov_b32_e32 v2, s16
	s_cbranch_vccnz .LBB278_2
; %bb.1:
	v_pk_mov_b32 v[2:3], s[16:17], s[16:17] op_sel:[0,1]
	flat_load_dword v2, v[2:3]
.LBB278_2:
	v_cndmask_b32_e64 v1, 0, 1, s[8:9]
	v_cmp_ne_u32_e64 s[0:1], 1, v1
	s_andn2_b64 vcc, exec, s[8:9]
	v_mov_b32_e32 v3, s17
	s_cbranch_vccz .LBB278_21
; %bb.3:
	s_and_b64 vcc, exec, s[0:1]
	v_mov_b32_e32 v4, s2
	s_cbranch_vccz .LBB278_22
.LBB278_4:
	s_and_b64 vcc, exec, s[0:1]
	v_mov_b32_e32 v5, s3
	s_cbranch_vccnz .LBB278_6
.LBB278_5:
	v_pk_mov_b32 v[6:7], s[2:3], s[2:3] op_sel:[0,1]
	flat_load_dword v5, v[6:7] offset:4
.LBB278_6:
	s_waitcnt vmcnt(0) lgkmcnt(0)
	v_or_b32_e32 v1, v2, v3
	v_and_b32_e32 v1, 0x7fffffff, v1
	v_cmp_eq_u32_e32 vcc, 0, v1
	s_mov_b64 s[0:1], -1
	s_and_saveexec_b64 s[2:3], vcc
; %bb.7:
	v_and_b32_e32 v1, 0x7fffffff, v5
	v_cmp_neq_f32_e32 vcc, 1.0, v4
	v_cmp_ne_u32_e64 s[0:1], 0, v1
	s_or_b64 s[0:1], vcc, s[0:1]
	s_orn2_b64 s[0:1], s[0:1], exec
; %bb.8:
	s_or_b64 exec, exec, s[2:3]
	s_and_saveexec_b64 s[2:3], s[0:1]
	s_cbranch_execz .LBB278_20
; %bb.9:
	s_load_dword s21, s[4:5], 0x4
	v_lshl_or_b32 v1, s6, 8, v0
	v_lshrrev_b32_e32 v6, 4, v1
	s_waitcnt lgkmcnt(0)
	v_cmp_gt_i32_e32 vcc, s21, v6
	s_and_b64 exec, exec, vcc
	s_cbranch_execz .LBB278_20
; %bb.10:
	s_load_dword s0, s[4:5], 0x50
	s_load_dwordx2 s[6:7], s[4:5], 0x40
	s_load_dwordx8 s[8:15], s[4:5], 0x18
	v_and_b32_e32 v7, 15, v0
	v_subrev_co_u32_e32 v22, vcc, s20, v7
	s_waitcnt lgkmcnt(0)
	s_lshl_b32 s22, s0, 4
	s_mov_b32 s16, 0
	v_subb_co_u32_e64 v23, s[0:1], 0, 0, vcc
	v_mov_b32_e32 v8, v3
	v_mov_b32_e32 v9, v2
	s_brev_b32 s0, 1
	s_mov_b32 s1, s16
	v_pk_mul_f32 v[0:1], v[8:9], s[0:1]
	s_ashr_i32 s1, s20, 31
	s_mov_b32 s0, s20
	s_lshl_b64 s[0:1], s[0:1], 3
	s_sub_u32 s23, s14, s0
	v_cmp_eq_u32_e32 vcc, 15, v7
	v_and_b32_e32 v7, 0x7fffffff, v4
	s_subb_u32 s14, s15, s1
	v_cmp_ne_u32_e64 s[0:1], 0, v7
	v_cmp_neq_f32_e64 s[2:3], 0, v5
	s_or_b64 s[2:3], s[0:1], s[2:3]
	v_xor_b32_e32 v8, 0x80000000, v5
	v_mov_b32_e32 v9, v4
	s_mov_b64 s[4:5], 0
	v_mov_b32_e32 v24, s19
	v_mov_b32_e32 v25, s9
	;; [unrolled: 1-line block ×4, first 2 shown]
	s_branch .LBB278_13
.LBB278_11:                             ;   in Loop: Header=BB278_13 Depth=1
	s_or_b64 exec, exec, s[0:1]
	global_store_dwordx2 v[10:11], v[12:13], off
.LBB278_12:                             ;   in Loop: Header=BB278_13 Depth=1
	s_or_b64 exec, exec, s[14:15]
	v_add_u32_e32 v6, s22, v6
	v_cmp_le_i32_e64 s[0:1], s21, v6
	s_or_b64 s[4:5], s[0:1], s[4:5]
	s_andn2_b64 exec, exec, s[4:5]
	s_cbranch_execz .LBB278_20
.LBB278_13:                             ; =>This Loop Header: Depth=1
                                        ;     Child Loop BB278_15 Depth 2
	v_ashrrev_i32_e32 v7, 31, v6
	v_lshlrev_b64 v[10:11], 3, v[6:7]
	v_add_co_u32_e64 v12, s[0:1], s8, v10
	v_addc_co_u32_e64 v13, s[0:1], v25, v11, s[0:1]
	global_load_dwordx2 v[14:15], v[12:13], off
	v_add_co_u32_e64 v12, s[0:1], s18, v10
	v_addc_co_u32_e64 v13, s[0:1], v24, v11, s[0:1]
	global_load_dwordx2 v[16:17], v[12:13], off
	v_mov_b32_e32 v13, 0
	v_mov_b32_e32 v12, v13
	s_waitcnt vmcnt(1)
	v_subrev_co_u32_e64 v14, s[0:1], s20, v14
	v_subb_co_u32_e64 v15, s[0:1], v15, v26, s[0:1]
	s_waitcnt vmcnt(0)
	v_add_co_u32_e64 v16, s[0:1], v16, v22
	v_addc_co_u32_e64 v17, s[0:1], v17, v23, s[0:1]
	v_cmp_lt_i64_e64 s[0:1], v[16:17], v[14:15]
	s_and_saveexec_b64 s[14:15], s[0:1]
	s_cbranch_execz .LBB278_17
; %bb.14:                               ;   in Loop: Header=BB278_13 Depth=1
	v_lshlrev_b64 v[12:13], 2, v[16:17]
	v_mov_b32_e32 v7, s13
	v_add_co_u32_e64 v18, s[0:1], s12, v12
	v_addc_co_u32_e64 v19, s[0:1], v7, v13, s[0:1]
	v_mov_b32_e32 v7, s11
	v_add_co_u32_e64 v20, s[0:1], s10, v12
	v_mov_b32_e32 v12, 0
	v_addc_co_u32_e64 v21, s[0:1], v7, v13, s[0:1]
	s_mov_b64 s[16:17], 0
	v_mov_b32_e32 v13, v12
.LBB278_15:                             ;   Parent Loop BB278_13 Depth=1
                                        ; =>  This Inner Loop Header: Depth=2
	global_load_dword v28, v[20:21], off
	global_load_dword v30, v[18:19], off
	s_waitcnt vmcnt(1)
	v_ashrrev_i32_e32 v29, 31, v28
	v_lshlrev_b64 v[28:29], 3, v[28:29]
	v_add_co_u32_e64 v28, s[0:1], s23, v28
	v_addc_co_u32_e64 v29, s[0:1], v27, v29, s[0:1]
	global_load_dwordx2 v[28:29], v[28:29], off
	v_add_co_u32_e64 v16, s[0:1], 16, v16
	v_addc_co_u32_e64 v17, s[0:1], 0, v17, s[0:1]
	v_add_co_u32_e64 v18, s[0:1], 64, v18
	v_addc_co_u32_e64 v19, s[0:1], 0, v19, s[0:1]
	;; [unrolled: 2-line block ×3, first 2 shown]
	s_waitcnt vmcnt(1)
	v_pk_fma_f32 v[30:31], v[2:3], v[30:31], v[0:1] op_sel_hi:[1,0,1]
	v_cmp_ge_i64_e64 s[0:1], v[16:17], v[14:15]
	s_or_b64 s[16:17], s[0:1], s[16:17]
	s_waitcnt vmcnt(0)
	v_pk_fma_f32 v[12:13], v[30:31], v[28:29], v[12:13] op_sel_hi:[1,0,1]
	v_pk_fma_f32 v[12:13], v[30:31], v[28:29], v[12:13] op_sel:[1,1,0] op_sel_hi:[0,1,1] neg_lo:[1,0,0]
	s_andn2_b64 exec, exec, s[16:17]
	s_cbranch_execnz .LBB278_15
; %bb.16:                               ;   in Loop: Header=BB278_13 Depth=1
	s_or_b64 exec, exec, s[16:17]
.LBB278_17:                             ;   in Loop: Header=BB278_13 Depth=1
	s_or_b64 exec, exec, s[14:15]
	v_mov_b32_dpp v14, v12 row_shr:1 row_mask:0xf bank_mask:0xf
	v_mov_b32_dpp v15, v13 row_shr:1 row_mask:0xf bank_mask:0xf
	v_pk_add_f32 v[12:13], v[12:13], v[14:15]
	s_nop 1
	v_mov_b32_dpp v14, v12 row_shr:2 row_mask:0xf bank_mask:0xf
	v_mov_b32_dpp v15, v13 row_shr:2 row_mask:0xf bank_mask:0xf
	v_pk_add_f32 v[12:13], v[12:13], v[14:15]
	s_nop 1
	;; [unrolled: 4-line block ×3, first 2 shown]
	v_mov_b32_dpp v14, v12 row_shr:8 row_mask:0xf bank_mask:0xc
	v_mov_b32_dpp v15, v13 row_shr:8 row_mask:0xf bank_mask:0xc
	s_and_saveexec_b64 s[14:15], vcc
	s_cbranch_execz .LBB278_12
; %bb.18:                               ;   in Loop: Header=BB278_13 Depth=1
	v_mov_b32_e32 v7, s7
	v_add_co_u32_e64 v10, s[0:1], s6, v10
	v_pk_add_f32 v[12:13], v[12:13], v[14:15]
	v_addc_co_u32_e64 v11, s[0:1], v7, v11, s[0:1]
	s_and_saveexec_b64 s[0:1], s[2:3]
	s_cbranch_execz .LBB278_11
; %bb.19:                               ;   in Loop: Header=BB278_13 Depth=1
	global_load_dwordx2 v[14:15], v[10:11], off
	s_waitcnt vmcnt(0)
	v_pk_fma_f32 v[12:13], v[4:5], v[14:15], v[12:13] op_sel_hi:[1,0,1]
	v_pk_fma_f32 v[12:13], v[8:9], v[14:15], v[12:13] op_sel:[0,1,0]
	s_branch .LBB278_11
.LBB278_20:
	s_endpgm
.LBB278_21:
	v_pk_mov_b32 v[4:5], s[16:17], s[16:17] op_sel:[0,1]
	flat_load_dword v3, v[4:5] offset:4
	s_and_b64 vcc, exec, s[0:1]
	v_mov_b32_e32 v4, s2
	s_cbranch_vccnz .LBB278_4
.LBB278_22:
	v_pk_mov_b32 v[4:5], s[2:3], s[2:3] op_sel:[0,1]
	flat_load_dword v4, v[4:5]
	s_and_b64 vcc, exec, s[0:1]
	v_mov_b32_e32 v5, s3
	s_cbranch_vccz .LBB278_5
	s_branch .LBB278_6
	.section	.rodata,"a",@progbits
	.p2align	6, 0x0
	.amdhsa_kernel _ZN9rocsparseL21csrmvn_general_kernelILj256ELj16Elif21rocsparse_complex_numIfES2_S2_EEvbT2_NS_24const_host_device_scalarIT6_EEPKT1_S9_PKS3_PKT3_PKT4_S6_PT5_21rocsparse_index_base_b
		.amdhsa_group_segment_fixed_size 0
		.amdhsa_private_segment_fixed_size 0
		.amdhsa_kernarg_size 336
		.amdhsa_user_sgpr_count 6
		.amdhsa_user_sgpr_private_segment_buffer 1
		.amdhsa_user_sgpr_dispatch_ptr 0
		.amdhsa_user_sgpr_queue_ptr 0
		.amdhsa_user_sgpr_kernarg_segment_ptr 1
		.amdhsa_user_sgpr_dispatch_id 0
		.amdhsa_user_sgpr_flat_scratch_init 0
		.amdhsa_user_sgpr_kernarg_preload_length 0
		.amdhsa_user_sgpr_kernarg_preload_offset 0
		.amdhsa_user_sgpr_private_segment_size 0
		.amdhsa_uses_dynamic_stack 0
		.amdhsa_system_sgpr_private_segment_wavefront_offset 0
		.amdhsa_system_sgpr_workgroup_id_x 1
		.amdhsa_system_sgpr_workgroup_id_y 0
		.amdhsa_system_sgpr_workgroup_id_z 0
		.amdhsa_system_sgpr_workgroup_info 0
		.amdhsa_system_vgpr_workitem_id 0
		.amdhsa_next_free_vgpr 32
		.amdhsa_next_free_sgpr 24
		.amdhsa_accum_offset 32
		.amdhsa_reserve_vcc 1
		.amdhsa_reserve_flat_scratch 0
		.amdhsa_float_round_mode_32 0
		.amdhsa_float_round_mode_16_64 0
		.amdhsa_float_denorm_mode_32 3
		.amdhsa_float_denorm_mode_16_64 3
		.amdhsa_dx10_clamp 1
		.amdhsa_ieee_mode 1
		.amdhsa_fp16_overflow 0
		.amdhsa_tg_split 0
		.amdhsa_exception_fp_ieee_invalid_op 0
		.amdhsa_exception_fp_denorm_src 0
		.amdhsa_exception_fp_ieee_div_zero 0
		.amdhsa_exception_fp_ieee_overflow 0
		.amdhsa_exception_fp_ieee_underflow 0
		.amdhsa_exception_fp_ieee_inexact 0
		.amdhsa_exception_int_div_zero 0
	.end_amdhsa_kernel
	.section	.text._ZN9rocsparseL21csrmvn_general_kernelILj256ELj16Elif21rocsparse_complex_numIfES2_S2_EEvbT2_NS_24const_host_device_scalarIT6_EEPKT1_S9_PKS3_PKT3_PKT4_S6_PT5_21rocsparse_index_base_b,"axG",@progbits,_ZN9rocsparseL21csrmvn_general_kernelILj256ELj16Elif21rocsparse_complex_numIfES2_S2_EEvbT2_NS_24const_host_device_scalarIT6_EEPKT1_S9_PKS3_PKT3_PKT4_S6_PT5_21rocsparse_index_base_b,comdat
.Lfunc_end278:
	.size	_ZN9rocsparseL21csrmvn_general_kernelILj256ELj16Elif21rocsparse_complex_numIfES2_S2_EEvbT2_NS_24const_host_device_scalarIT6_EEPKT1_S9_PKS3_PKT3_PKT4_S6_PT5_21rocsparse_index_base_b, .Lfunc_end278-_ZN9rocsparseL21csrmvn_general_kernelILj256ELj16Elif21rocsparse_complex_numIfES2_S2_EEvbT2_NS_24const_host_device_scalarIT6_EEPKT1_S9_PKS3_PKT3_PKT4_S6_PT5_21rocsparse_index_base_b
                                        ; -- End function
	.section	.AMDGPU.csdata,"",@progbits
; Kernel info:
; codeLenInByte = 1032
; NumSgprs: 28
; NumVgprs: 32
; NumAgprs: 0
; TotalNumVgprs: 32
; ScratchSize: 0
; MemoryBound: 0
; FloatMode: 240
; IeeeMode: 1
; LDSByteSize: 0 bytes/workgroup (compile time only)
; SGPRBlocks: 3
; VGPRBlocks: 3
; NumSGPRsForWavesPerEU: 28
; NumVGPRsForWavesPerEU: 32
; AccumOffset: 32
; Occupancy: 8
; WaveLimiterHint : 1
; COMPUTE_PGM_RSRC2:SCRATCH_EN: 0
; COMPUTE_PGM_RSRC2:USER_SGPR: 6
; COMPUTE_PGM_RSRC2:TRAP_HANDLER: 0
; COMPUTE_PGM_RSRC2:TGID_X_EN: 1
; COMPUTE_PGM_RSRC2:TGID_Y_EN: 0
; COMPUTE_PGM_RSRC2:TGID_Z_EN: 0
; COMPUTE_PGM_RSRC2:TIDIG_COMP_CNT: 0
; COMPUTE_PGM_RSRC3_GFX90A:ACCUM_OFFSET: 7
; COMPUTE_PGM_RSRC3_GFX90A:TG_SPLIT: 0
	.section	.text._ZN9rocsparseL21csrmvn_general_kernelILj256ELj32Elif21rocsparse_complex_numIfES2_S2_EEvbT2_NS_24const_host_device_scalarIT6_EEPKT1_S9_PKS3_PKT3_PKT4_S6_PT5_21rocsparse_index_base_b,"axG",@progbits,_ZN9rocsparseL21csrmvn_general_kernelILj256ELj32Elif21rocsparse_complex_numIfES2_S2_EEvbT2_NS_24const_host_device_scalarIT6_EEPKT1_S9_PKS3_PKT3_PKT4_S6_PT5_21rocsparse_index_base_b,comdat
	.globl	_ZN9rocsparseL21csrmvn_general_kernelILj256ELj32Elif21rocsparse_complex_numIfES2_S2_EEvbT2_NS_24const_host_device_scalarIT6_EEPKT1_S9_PKS3_PKT3_PKT4_S6_PT5_21rocsparse_index_base_b ; -- Begin function _ZN9rocsparseL21csrmvn_general_kernelILj256ELj32Elif21rocsparse_complex_numIfES2_S2_EEvbT2_NS_24const_host_device_scalarIT6_EEPKT1_S9_PKS3_PKT3_PKT4_S6_PT5_21rocsparse_index_base_b
	.p2align	8
	.type	_ZN9rocsparseL21csrmvn_general_kernelILj256ELj32Elif21rocsparse_complex_numIfES2_S2_EEvbT2_NS_24const_host_device_scalarIT6_EEPKT1_S9_PKS3_PKT3_PKT4_S6_PT5_21rocsparse_index_base_b,@function
_ZN9rocsparseL21csrmvn_general_kernelILj256ELj32Elif21rocsparse_complex_numIfES2_S2_EEvbT2_NS_24const_host_device_scalarIT6_EEPKT1_S9_PKS3_PKT3_PKT4_S6_PT5_21rocsparse_index_base_b: ; @_ZN9rocsparseL21csrmvn_general_kernelILj256ELj32Elif21rocsparse_complex_numIfES2_S2_EEvbT2_NS_24const_host_device_scalarIT6_EEPKT1_S9_PKS3_PKT3_PKT4_S6_PT5_21rocsparse_index_base_b
; %bb.0:
	s_load_dwordx2 s[20:21], s[4:5], 0x48
	s_load_dwordx4 s[16:19], s[4:5], 0x8
	s_load_dwordx2 s[2:3], s[4:5], 0x38
	s_waitcnt lgkmcnt(0)
	s_bitcmp1_b32 s21, 0
	s_cselect_b64 s[0:1], -1, 0
	s_xor_b64 s[8:9], s[0:1], -1
	s_and_b64 vcc, exec, s[0:1]
	v_mov_b32_e32 v2, s16
	s_cbranch_vccnz .LBB279_2
; %bb.1:
	v_pk_mov_b32 v[2:3], s[16:17], s[16:17] op_sel:[0,1]
	flat_load_dword v2, v[2:3]
.LBB279_2:
	v_cndmask_b32_e64 v1, 0, 1, s[8:9]
	v_cmp_ne_u32_e64 s[0:1], 1, v1
	s_andn2_b64 vcc, exec, s[8:9]
	v_mov_b32_e32 v3, s17
	s_cbranch_vccz .LBB279_21
; %bb.3:
	s_and_b64 vcc, exec, s[0:1]
	v_mov_b32_e32 v4, s2
	s_cbranch_vccz .LBB279_22
.LBB279_4:
	s_and_b64 vcc, exec, s[0:1]
	v_mov_b32_e32 v5, s3
	s_cbranch_vccnz .LBB279_6
.LBB279_5:
	v_pk_mov_b32 v[6:7], s[2:3], s[2:3] op_sel:[0,1]
	flat_load_dword v5, v[6:7] offset:4
.LBB279_6:
	s_waitcnt vmcnt(0) lgkmcnt(0)
	v_or_b32_e32 v1, v2, v3
	v_and_b32_e32 v1, 0x7fffffff, v1
	v_cmp_eq_u32_e32 vcc, 0, v1
	s_mov_b64 s[0:1], -1
	s_and_saveexec_b64 s[2:3], vcc
; %bb.7:
	v_and_b32_e32 v1, 0x7fffffff, v5
	v_cmp_neq_f32_e32 vcc, 1.0, v4
	v_cmp_ne_u32_e64 s[0:1], 0, v1
	s_or_b64 s[0:1], vcc, s[0:1]
	s_orn2_b64 s[0:1], s[0:1], exec
; %bb.8:
	s_or_b64 exec, exec, s[2:3]
	s_and_saveexec_b64 s[2:3], s[0:1]
	s_cbranch_execz .LBB279_20
; %bb.9:
	s_load_dword s21, s[4:5], 0x4
	v_lshl_or_b32 v1, s6, 8, v0
	v_lshrrev_b32_e32 v6, 5, v1
	s_waitcnt lgkmcnt(0)
	v_cmp_gt_i32_e32 vcc, s21, v6
	s_and_b64 exec, exec, vcc
	s_cbranch_execz .LBB279_20
; %bb.10:
	s_load_dword s0, s[4:5], 0x50
	s_load_dwordx2 s[6:7], s[4:5], 0x40
	s_load_dwordx8 s[8:15], s[4:5], 0x18
	v_and_b32_e32 v7, 31, v0
	v_subrev_co_u32_e32 v22, vcc, s20, v7
	s_mov_b32 s16, 0
	s_waitcnt lgkmcnt(0)
	s_lshl_b32 s24, s0, 3
	v_subb_co_u32_e64 v23, s[0:1], 0, 0, vcc
	s_brev_b32 s1, 1
	s_mov_b32 s0, s16
	v_pk_mul_f32 v[8:9], v[2:3], s[0:1]
	s_ashr_i32 s1, s20, 31
	s_mov_b32 s0, s20
	s_lshl_b64 s[0:1], s[0:1], 3
	s_sub_u32 s25, s14, s0
	s_subb_u32 s17, s15, s1
	v_cmp_eq_u32_e64 s[0:1], 31, v7
	v_and_b32_e32 v7, 0x7fffffff, v4
	v_cmp_ne_u32_e32 vcc, 0, v7
	v_cmp_neq_f32_e64 s[2:3], 0, v5
	v_mov_b32_e32 v0, v9
	v_mov_b32_e32 v1, v8
	s_or_b64 s[4:5], vcc, s[2:3]
	v_xor_b32_e32 v8, 0x80000000, v5
	v_mov_b32_e32 v9, v4
	s_mov_b64 s[14:15], 0
	v_mov_b32_e32 v24, s19
	v_mov_b32_e32 v25, s9
	;; [unrolled: 1-line block ×4, first 2 shown]
	s_branch .LBB279_13
.LBB279_11:                             ;   in Loop: Header=BB279_13 Depth=1
	s_or_b64 exec, exec, s[16:17]
	global_store_dwordx2 v[10:11], v[12:13], off
.LBB279_12:                             ;   in Loop: Header=BB279_13 Depth=1
	s_or_b64 exec, exec, s[2:3]
	v_add_u32_e32 v6, s24, v6
	v_cmp_le_i32_e32 vcc, s21, v6
	s_or_b64 s[14:15], vcc, s[14:15]
	s_andn2_b64 exec, exec, s[14:15]
	s_cbranch_execz .LBB279_20
.LBB279_13:                             ; =>This Loop Header: Depth=1
                                        ;     Child Loop BB279_15 Depth 2
	v_ashrrev_i32_e32 v7, 31, v6
	v_lshlrev_b64 v[10:11], 3, v[6:7]
	v_add_co_u32_e32 v12, vcc, s8, v10
	v_addc_co_u32_e32 v13, vcc, v25, v11, vcc
	global_load_dwordx2 v[14:15], v[12:13], off
	v_add_co_u32_e32 v12, vcc, s18, v10
	v_addc_co_u32_e32 v13, vcc, v24, v11, vcc
	global_load_dwordx2 v[16:17], v[12:13], off
	v_mov_b32_e32 v13, 0
	v_mov_b32_e32 v12, v13
	s_waitcnt vmcnt(1)
	v_subrev_co_u32_e32 v14, vcc, s20, v14
	v_subb_co_u32_e32 v15, vcc, v15, v26, vcc
	s_waitcnt vmcnt(0)
	v_add_co_u32_e32 v16, vcc, v16, v22
	v_addc_co_u32_e32 v17, vcc, v17, v23, vcc
	v_cmp_lt_i64_e32 vcc, v[16:17], v[14:15]
	s_and_saveexec_b64 s[16:17], vcc
	s_cbranch_execz .LBB279_17
; %bb.14:                               ;   in Loop: Header=BB279_13 Depth=1
	v_lshlrev_b64 v[12:13], 2, v[16:17]
	v_mov_b32_e32 v7, s13
	v_add_co_u32_e32 v18, vcc, s12, v12
	v_addc_co_u32_e32 v19, vcc, v7, v13, vcc
	v_mov_b32_e32 v7, s11
	v_add_co_u32_e32 v20, vcc, s10, v12
	v_addc_co_u32_e32 v21, vcc, v7, v13, vcc
	v_mov_b32_e32 v13, 0
	s_mov_b64 s[22:23], 0
	v_mov_b32_e32 v12, v13
.LBB279_15:                             ;   Parent Loop BB279_13 Depth=1
                                        ; =>  This Inner Loop Header: Depth=2
	global_load_dword v28, v[20:21], off
	global_load_dword v30, v[18:19], off
	s_waitcnt vmcnt(1)
	v_ashrrev_i32_e32 v29, 31, v28
	v_lshlrev_b64 v[28:29], 3, v[28:29]
	v_add_co_u32_e32 v28, vcc, s25, v28
	v_addc_co_u32_e32 v29, vcc, v27, v29, vcc
	global_load_dwordx2 v[28:29], v[28:29], off
	v_add_co_u32_e32 v16, vcc, 32, v16
	v_addc_co_u32_e32 v17, vcc, 0, v17, vcc
	v_add_co_u32_e32 v18, vcc, 0x80, v18
	v_addc_co_u32_e32 v19, vcc, 0, v19, vcc
	s_waitcnt vmcnt(1)
	v_pk_fma_f32 v[30:31], v[2:3], v[30:31], v[0:1] op_sel_hi:[1,0,1]
	v_add_co_u32_e32 v20, vcc, 0x80, v20
	v_cmp_ge_i64_e64 s[2:3], v[16:17], v[14:15]
	v_addc_co_u32_e32 v21, vcc, 0, v21, vcc
	s_or_b64 s[22:23], s[2:3], s[22:23]
	s_waitcnt vmcnt(0)
	v_pk_fma_f32 v[12:13], v[30:31], v[28:29], v[12:13] op_sel_hi:[1,0,1]
	v_pk_fma_f32 v[12:13], v[30:31], v[28:29], v[12:13] op_sel:[1,1,0] op_sel_hi:[0,1,1] neg_lo:[1,0,0]
	s_andn2_b64 exec, exec, s[22:23]
	s_cbranch_execnz .LBB279_15
; %bb.16:                               ;   in Loop: Header=BB279_13 Depth=1
	s_or_b64 exec, exec, s[22:23]
.LBB279_17:                             ;   in Loop: Header=BB279_13 Depth=1
	s_or_b64 exec, exec, s[16:17]
	v_mov_b32_dpp v14, v12 row_shr:1 row_mask:0xf bank_mask:0xf
	v_mov_b32_dpp v15, v13 row_shr:1 row_mask:0xf bank_mask:0xf
	v_pk_add_f32 v[12:13], v[12:13], v[14:15]
	s_nop 1
	v_mov_b32_dpp v14, v12 row_shr:2 row_mask:0xf bank_mask:0xf
	v_mov_b32_dpp v15, v13 row_shr:2 row_mask:0xf bank_mask:0xf
	v_pk_add_f32 v[12:13], v[12:13], v[14:15]
	s_nop 1
	;; [unrolled: 4-line block ×4, first 2 shown]
	v_mov_b32_dpp v14, v12 row_bcast:15 row_mask:0xa bank_mask:0xf
	v_mov_b32_dpp v15, v13 row_bcast:15 row_mask:0xa bank_mask:0xf
	s_and_saveexec_b64 s[2:3], s[0:1]
	s_cbranch_execz .LBB279_12
; %bb.18:                               ;   in Loop: Header=BB279_13 Depth=1
	v_mov_b32_e32 v7, s7
	v_add_co_u32_e32 v10, vcc, s6, v10
	v_pk_add_f32 v[12:13], v[12:13], v[14:15]
	v_addc_co_u32_e32 v11, vcc, v7, v11, vcc
	s_and_saveexec_b64 s[16:17], s[4:5]
	s_cbranch_execz .LBB279_11
; %bb.19:                               ;   in Loop: Header=BB279_13 Depth=1
	global_load_dwordx2 v[14:15], v[10:11], off
	s_waitcnt vmcnt(0)
	v_pk_fma_f32 v[12:13], v[4:5], v[14:15], v[12:13] op_sel_hi:[1,0,1]
	v_pk_fma_f32 v[12:13], v[8:9], v[14:15], v[12:13] op_sel:[0,1,0]
	s_branch .LBB279_11
.LBB279_20:
	s_endpgm
.LBB279_21:
	v_pk_mov_b32 v[4:5], s[16:17], s[16:17] op_sel:[0,1]
	flat_load_dword v3, v[4:5] offset:4
	s_and_b64 vcc, exec, s[0:1]
	v_mov_b32_e32 v4, s2
	s_cbranch_vccnz .LBB279_4
.LBB279_22:
	v_pk_mov_b32 v[4:5], s[2:3], s[2:3] op_sel:[0,1]
	flat_load_dword v4, v[4:5]
	s_and_b64 vcc, exec, s[0:1]
	v_mov_b32_e32 v5, s3
	s_cbranch_vccz .LBB279_5
	s_branch .LBB279_6
	.section	.rodata,"a",@progbits
	.p2align	6, 0x0
	.amdhsa_kernel _ZN9rocsparseL21csrmvn_general_kernelILj256ELj32Elif21rocsparse_complex_numIfES2_S2_EEvbT2_NS_24const_host_device_scalarIT6_EEPKT1_S9_PKS3_PKT3_PKT4_S6_PT5_21rocsparse_index_base_b
		.amdhsa_group_segment_fixed_size 0
		.amdhsa_private_segment_fixed_size 0
		.amdhsa_kernarg_size 336
		.amdhsa_user_sgpr_count 6
		.amdhsa_user_sgpr_private_segment_buffer 1
		.amdhsa_user_sgpr_dispatch_ptr 0
		.amdhsa_user_sgpr_queue_ptr 0
		.amdhsa_user_sgpr_kernarg_segment_ptr 1
		.amdhsa_user_sgpr_dispatch_id 0
		.amdhsa_user_sgpr_flat_scratch_init 0
		.amdhsa_user_sgpr_kernarg_preload_length 0
		.amdhsa_user_sgpr_kernarg_preload_offset 0
		.amdhsa_user_sgpr_private_segment_size 0
		.amdhsa_uses_dynamic_stack 0
		.amdhsa_system_sgpr_private_segment_wavefront_offset 0
		.amdhsa_system_sgpr_workgroup_id_x 1
		.amdhsa_system_sgpr_workgroup_id_y 0
		.amdhsa_system_sgpr_workgroup_id_z 0
		.amdhsa_system_sgpr_workgroup_info 0
		.amdhsa_system_vgpr_workitem_id 0
		.amdhsa_next_free_vgpr 32
		.amdhsa_next_free_sgpr 26
		.amdhsa_accum_offset 32
		.amdhsa_reserve_vcc 1
		.amdhsa_reserve_flat_scratch 0
		.amdhsa_float_round_mode_32 0
		.amdhsa_float_round_mode_16_64 0
		.amdhsa_float_denorm_mode_32 3
		.amdhsa_float_denorm_mode_16_64 3
		.amdhsa_dx10_clamp 1
		.amdhsa_ieee_mode 1
		.amdhsa_fp16_overflow 0
		.amdhsa_tg_split 0
		.amdhsa_exception_fp_ieee_invalid_op 0
		.amdhsa_exception_fp_denorm_src 0
		.amdhsa_exception_fp_ieee_div_zero 0
		.amdhsa_exception_fp_ieee_overflow 0
		.amdhsa_exception_fp_ieee_underflow 0
		.amdhsa_exception_fp_ieee_inexact 0
		.amdhsa_exception_int_div_zero 0
	.end_amdhsa_kernel
	.section	.text._ZN9rocsparseL21csrmvn_general_kernelILj256ELj32Elif21rocsparse_complex_numIfES2_S2_EEvbT2_NS_24const_host_device_scalarIT6_EEPKT1_S9_PKS3_PKT3_PKT4_S6_PT5_21rocsparse_index_base_b,"axG",@progbits,_ZN9rocsparseL21csrmvn_general_kernelILj256ELj32Elif21rocsparse_complex_numIfES2_S2_EEvbT2_NS_24const_host_device_scalarIT6_EEPKT1_S9_PKS3_PKT3_PKT4_S6_PT5_21rocsparse_index_base_b,comdat
.Lfunc_end279:
	.size	_ZN9rocsparseL21csrmvn_general_kernelILj256ELj32Elif21rocsparse_complex_numIfES2_S2_EEvbT2_NS_24const_host_device_scalarIT6_EEPKT1_S9_PKS3_PKT3_PKT4_S6_PT5_21rocsparse_index_base_b, .Lfunc_end279-_ZN9rocsparseL21csrmvn_general_kernelILj256ELj32Elif21rocsparse_complex_numIfES2_S2_EEvbT2_NS_24const_host_device_scalarIT6_EEPKT1_S9_PKS3_PKT3_PKT4_S6_PT5_21rocsparse_index_base_b
                                        ; -- End function
	.section	.AMDGPU.csdata,"",@progbits
; Kernel info:
; codeLenInByte = 972
; NumSgprs: 30
; NumVgprs: 32
; NumAgprs: 0
; TotalNumVgprs: 32
; ScratchSize: 0
; MemoryBound: 0
; FloatMode: 240
; IeeeMode: 1
; LDSByteSize: 0 bytes/workgroup (compile time only)
; SGPRBlocks: 3
; VGPRBlocks: 3
; NumSGPRsForWavesPerEU: 30
; NumVGPRsForWavesPerEU: 32
; AccumOffset: 32
; Occupancy: 8
; WaveLimiterHint : 1
; COMPUTE_PGM_RSRC2:SCRATCH_EN: 0
; COMPUTE_PGM_RSRC2:USER_SGPR: 6
; COMPUTE_PGM_RSRC2:TRAP_HANDLER: 0
; COMPUTE_PGM_RSRC2:TGID_X_EN: 1
; COMPUTE_PGM_RSRC2:TGID_Y_EN: 0
; COMPUTE_PGM_RSRC2:TGID_Z_EN: 0
; COMPUTE_PGM_RSRC2:TIDIG_COMP_CNT: 0
; COMPUTE_PGM_RSRC3_GFX90A:ACCUM_OFFSET: 7
; COMPUTE_PGM_RSRC3_GFX90A:TG_SPLIT: 0
	.section	.text._ZN9rocsparseL21csrmvn_general_kernelILj256ELj64Elif21rocsparse_complex_numIfES2_S2_EEvbT2_NS_24const_host_device_scalarIT6_EEPKT1_S9_PKS3_PKT3_PKT4_S6_PT5_21rocsparse_index_base_b,"axG",@progbits,_ZN9rocsparseL21csrmvn_general_kernelILj256ELj64Elif21rocsparse_complex_numIfES2_S2_EEvbT2_NS_24const_host_device_scalarIT6_EEPKT1_S9_PKS3_PKT3_PKT4_S6_PT5_21rocsparse_index_base_b,comdat
	.globl	_ZN9rocsparseL21csrmvn_general_kernelILj256ELj64Elif21rocsparse_complex_numIfES2_S2_EEvbT2_NS_24const_host_device_scalarIT6_EEPKT1_S9_PKS3_PKT3_PKT4_S6_PT5_21rocsparse_index_base_b ; -- Begin function _ZN9rocsparseL21csrmvn_general_kernelILj256ELj64Elif21rocsparse_complex_numIfES2_S2_EEvbT2_NS_24const_host_device_scalarIT6_EEPKT1_S9_PKS3_PKT3_PKT4_S6_PT5_21rocsparse_index_base_b
	.p2align	8
	.type	_ZN9rocsparseL21csrmvn_general_kernelILj256ELj64Elif21rocsparse_complex_numIfES2_S2_EEvbT2_NS_24const_host_device_scalarIT6_EEPKT1_S9_PKS3_PKT3_PKT4_S6_PT5_21rocsparse_index_base_b,@function
_ZN9rocsparseL21csrmvn_general_kernelILj256ELj64Elif21rocsparse_complex_numIfES2_S2_EEvbT2_NS_24const_host_device_scalarIT6_EEPKT1_S9_PKS3_PKT3_PKT4_S6_PT5_21rocsparse_index_base_b: ; @_ZN9rocsparseL21csrmvn_general_kernelILj256ELj64Elif21rocsparse_complex_numIfES2_S2_EEvbT2_NS_24const_host_device_scalarIT6_EEPKT1_S9_PKS3_PKT3_PKT4_S6_PT5_21rocsparse_index_base_b
; %bb.0:
	s_load_dwordx2 s[20:21], s[4:5], 0x48
	s_load_dwordx4 s[16:19], s[4:5], 0x8
	s_load_dwordx2 s[2:3], s[4:5], 0x38
	s_waitcnt lgkmcnt(0)
	s_bitcmp1_b32 s21, 0
	s_cselect_b64 s[0:1], -1, 0
	s_xor_b64 s[8:9], s[0:1], -1
	s_and_b64 vcc, exec, s[0:1]
	v_mov_b32_e32 v2, s16
	s_cbranch_vccnz .LBB280_2
; %bb.1:
	v_pk_mov_b32 v[2:3], s[16:17], s[16:17] op_sel:[0,1]
	flat_load_dword v2, v[2:3]
.LBB280_2:
	v_cndmask_b32_e64 v1, 0, 1, s[8:9]
	v_cmp_ne_u32_e64 s[0:1], 1, v1
	s_andn2_b64 vcc, exec, s[8:9]
	v_mov_b32_e32 v3, s17
	s_cbranch_vccz .LBB280_21
; %bb.3:
	s_and_b64 vcc, exec, s[0:1]
	v_mov_b32_e32 v4, s2
	s_cbranch_vccz .LBB280_22
.LBB280_4:
	s_and_b64 vcc, exec, s[0:1]
	v_mov_b32_e32 v5, s3
	s_cbranch_vccnz .LBB280_6
.LBB280_5:
	v_pk_mov_b32 v[6:7], s[2:3], s[2:3] op_sel:[0,1]
	flat_load_dword v5, v[6:7] offset:4
.LBB280_6:
	s_waitcnt vmcnt(0) lgkmcnt(0)
	v_or_b32_e32 v1, v2, v3
	v_and_b32_e32 v1, 0x7fffffff, v1
	v_cmp_eq_u32_e32 vcc, 0, v1
	s_mov_b64 s[0:1], -1
	s_and_saveexec_b64 s[2:3], vcc
; %bb.7:
	v_and_b32_e32 v1, 0x7fffffff, v5
	v_cmp_neq_f32_e32 vcc, 1.0, v4
	v_cmp_ne_u32_e64 s[0:1], 0, v1
	s_or_b64 s[0:1], vcc, s[0:1]
	s_orn2_b64 s[0:1], s[0:1], exec
; %bb.8:
	s_or_b64 exec, exec, s[2:3]
	s_and_saveexec_b64 s[2:3], s[0:1]
	s_cbranch_execz .LBB280_20
; %bb.9:
	s_load_dword s21, s[4:5], 0x4
	v_lshl_or_b32 v1, s6, 8, v0
	v_lshrrev_b32_e32 v6, 6, v1
	s_waitcnt lgkmcnt(0)
	v_cmp_gt_i32_e32 vcc, s21, v6
	s_and_b64 exec, exec, vcc
	s_cbranch_execz .LBB280_20
; %bb.10:
	s_load_dword s0, s[4:5], 0x50
	s_load_dwordx2 s[6:7], s[4:5], 0x40
	s_load_dwordx8 s[8:15], s[4:5], 0x18
	v_and_b32_e32 v7, 63, v0
	v_subrev_co_u32_e32 v22, vcc, s20, v7
	s_mov_b32 s16, 0
	s_waitcnt lgkmcnt(0)
	s_lshl_b32 s24, s0, 2
	v_subb_co_u32_e64 v23, s[0:1], 0, 0, vcc
	s_brev_b32 s1, 1
	s_mov_b32 s0, s16
	v_pk_mul_f32 v[8:9], v[2:3], s[0:1]
	s_ashr_i32 s1, s20, 31
	s_mov_b32 s0, s20
	s_lshl_b64 s[0:1], s[0:1], 3
	s_sub_u32 s25, s14, s0
	s_subb_u32 s17, s15, s1
	v_cmp_eq_u32_e64 s[0:1], 63, v7
	v_and_b32_e32 v7, 0x7fffffff, v4
	v_cmp_ne_u32_e32 vcc, 0, v7
	v_cmp_neq_f32_e64 s[2:3], 0, v5
	v_mov_b32_e32 v0, v9
	v_mov_b32_e32 v1, v8
	s_or_b64 s[4:5], vcc, s[2:3]
	v_xor_b32_e32 v8, 0x80000000, v5
	v_mov_b32_e32 v9, v4
	s_mov_b64 s[14:15], 0
	v_mov_b32_e32 v24, s19
	v_mov_b32_e32 v25, s9
	;; [unrolled: 1-line block ×4, first 2 shown]
	s_branch .LBB280_13
.LBB280_11:                             ;   in Loop: Header=BB280_13 Depth=1
	s_or_b64 exec, exec, s[16:17]
	global_store_dwordx2 v[10:11], v[12:13], off
.LBB280_12:                             ;   in Loop: Header=BB280_13 Depth=1
	s_or_b64 exec, exec, s[2:3]
	v_add_u32_e32 v6, s24, v6
	v_cmp_le_i32_e32 vcc, s21, v6
	s_or_b64 s[14:15], vcc, s[14:15]
	s_andn2_b64 exec, exec, s[14:15]
	s_cbranch_execz .LBB280_20
.LBB280_13:                             ; =>This Loop Header: Depth=1
                                        ;     Child Loop BB280_15 Depth 2
	v_ashrrev_i32_e32 v7, 31, v6
	v_lshlrev_b64 v[10:11], 3, v[6:7]
	v_add_co_u32_e32 v12, vcc, s8, v10
	v_addc_co_u32_e32 v13, vcc, v25, v11, vcc
	global_load_dwordx2 v[14:15], v[12:13], off
	v_add_co_u32_e32 v12, vcc, s18, v10
	v_addc_co_u32_e32 v13, vcc, v24, v11, vcc
	global_load_dwordx2 v[16:17], v[12:13], off
	v_mov_b32_e32 v13, 0
	v_mov_b32_e32 v12, v13
	s_waitcnt vmcnt(1)
	v_subrev_co_u32_e32 v14, vcc, s20, v14
	v_subb_co_u32_e32 v15, vcc, v15, v26, vcc
	s_waitcnt vmcnt(0)
	v_add_co_u32_e32 v16, vcc, v16, v22
	v_addc_co_u32_e32 v17, vcc, v17, v23, vcc
	v_cmp_lt_i64_e32 vcc, v[16:17], v[14:15]
	s_and_saveexec_b64 s[16:17], vcc
	s_cbranch_execz .LBB280_17
; %bb.14:                               ;   in Loop: Header=BB280_13 Depth=1
	v_lshlrev_b64 v[12:13], 2, v[16:17]
	v_mov_b32_e32 v7, s13
	v_add_co_u32_e32 v18, vcc, s12, v12
	v_addc_co_u32_e32 v19, vcc, v7, v13, vcc
	v_mov_b32_e32 v7, s11
	v_add_co_u32_e32 v20, vcc, s10, v12
	v_mov_b32_e32 v12, 0
	v_addc_co_u32_e32 v21, vcc, v7, v13, vcc
	s_mov_b64 s[22:23], 0
	v_mov_b32_e32 v13, v12
.LBB280_15:                             ;   Parent Loop BB280_13 Depth=1
                                        ; =>  This Inner Loop Header: Depth=2
	global_load_dword v28, v[20:21], off
	global_load_dword v30, v[18:19], off
	s_waitcnt vmcnt(1)
	v_ashrrev_i32_e32 v29, 31, v28
	v_lshlrev_b64 v[28:29], 3, v[28:29]
	v_add_co_u32_e32 v28, vcc, s25, v28
	v_addc_co_u32_e32 v29, vcc, v27, v29, vcc
	global_load_dwordx2 v[28:29], v[28:29], off
	v_add_co_u32_e32 v16, vcc, 64, v16
	v_addc_co_u32_e32 v17, vcc, 0, v17, vcc
	v_add_co_u32_e32 v18, vcc, 0x100, v18
	v_addc_co_u32_e32 v19, vcc, 0, v19, vcc
	s_waitcnt vmcnt(1)
	v_pk_fma_f32 v[30:31], v[2:3], v[30:31], v[0:1] op_sel_hi:[1,0,1]
	v_add_co_u32_e32 v20, vcc, 0x100, v20
	v_cmp_ge_i64_e64 s[2:3], v[16:17], v[14:15]
	v_addc_co_u32_e32 v21, vcc, 0, v21, vcc
	s_or_b64 s[22:23], s[2:3], s[22:23]
	s_waitcnt vmcnt(0)
	v_pk_fma_f32 v[12:13], v[30:31], v[28:29], v[12:13] op_sel_hi:[1,0,1]
	v_pk_fma_f32 v[12:13], v[30:31], v[28:29], v[12:13] op_sel:[1,1,0] op_sel_hi:[0,1,1] neg_lo:[1,0,0]
	s_andn2_b64 exec, exec, s[22:23]
	s_cbranch_execnz .LBB280_15
; %bb.16:                               ;   in Loop: Header=BB280_13 Depth=1
	s_or_b64 exec, exec, s[22:23]
.LBB280_17:                             ;   in Loop: Header=BB280_13 Depth=1
	s_or_b64 exec, exec, s[16:17]
	v_mov_b32_dpp v14, v12 row_shr:1 row_mask:0xf bank_mask:0xf
	v_mov_b32_dpp v15, v13 row_shr:1 row_mask:0xf bank_mask:0xf
	v_pk_add_f32 v[12:13], v[12:13], v[14:15]
	s_nop 1
	v_mov_b32_dpp v14, v12 row_shr:2 row_mask:0xf bank_mask:0xf
	v_mov_b32_dpp v15, v13 row_shr:2 row_mask:0xf bank_mask:0xf
	v_pk_add_f32 v[12:13], v[12:13], v[14:15]
	s_nop 1
	;; [unrolled: 4-line block ×4, first 2 shown]
	v_mov_b32_dpp v14, v12 row_bcast:15 row_mask:0xa bank_mask:0xf
	v_mov_b32_dpp v15, v13 row_bcast:15 row_mask:0xa bank_mask:0xf
	v_pk_add_f32 v[12:13], v[12:13], v[14:15]
	s_nop 1
	v_mov_b32_dpp v14, v12 row_bcast:31 row_mask:0xc bank_mask:0xf
	v_mov_b32_dpp v15, v13 row_bcast:31 row_mask:0xc bank_mask:0xf
	s_and_saveexec_b64 s[2:3], s[0:1]
	s_cbranch_execz .LBB280_12
; %bb.18:                               ;   in Loop: Header=BB280_13 Depth=1
	v_mov_b32_e32 v7, s7
	v_add_co_u32_e32 v10, vcc, s6, v10
	v_pk_add_f32 v[12:13], v[12:13], v[14:15]
	v_addc_co_u32_e32 v11, vcc, v7, v11, vcc
	s_and_saveexec_b64 s[16:17], s[4:5]
	s_cbranch_execz .LBB280_11
; %bb.19:                               ;   in Loop: Header=BB280_13 Depth=1
	global_load_dwordx2 v[14:15], v[10:11], off
	s_waitcnt vmcnt(0)
	v_pk_fma_f32 v[12:13], v[4:5], v[14:15], v[12:13] op_sel_hi:[1,0,1]
	v_pk_fma_f32 v[12:13], v[8:9], v[14:15], v[12:13] op_sel:[0,1,0]
	s_branch .LBB280_11
.LBB280_20:
	s_endpgm
.LBB280_21:
	v_pk_mov_b32 v[4:5], s[16:17], s[16:17] op_sel:[0,1]
	flat_load_dword v3, v[4:5] offset:4
	s_and_b64 vcc, exec, s[0:1]
	v_mov_b32_e32 v4, s2
	s_cbranch_vccnz .LBB280_4
.LBB280_22:
	v_pk_mov_b32 v[4:5], s[2:3], s[2:3] op_sel:[0,1]
	flat_load_dword v4, v[4:5]
	s_and_b64 vcc, exec, s[0:1]
	v_mov_b32_e32 v5, s3
	s_cbranch_vccz .LBB280_5
	s_branch .LBB280_6
	.section	.rodata,"a",@progbits
	.p2align	6, 0x0
	.amdhsa_kernel _ZN9rocsparseL21csrmvn_general_kernelILj256ELj64Elif21rocsparse_complex_numIfES2_S2_EEvbT2_NS_24const_host_device_scalarIT6_EEPKT1_S9_PKS3_PKT3_PKT4_S6_PT5_21rocsparse_index_base_b
		.amdhsa_group_segment_fixed_size 0
		.amdhsa_private_segment_fixed_size 0
		.amdhsa_kernarg_size 336
		.amdhsa_user_sgpr_count 6
		.amdhsa_user_sgpr_private_segment_buffer 1
		.amdhsa_user_sgpr_dispatch_ptr 0
		.amdhsa_user_sgpr_queue_ptr 0
		.amdhsa_user_sgpr_kernarg_segment_ptr 1
		.amdhsa_user_sgpr_dispatch_id 0
		.amdhsa_user_sgpr_flat_scratch_init 0
		.amdhsa_user_sgpr_kernarg_preload_length 0
		.amdhsa_user_sgpr_kernarg_preload_offset 0
		.amdhsa_user_sgpr_private_segment_size 0
		.amdhsa_uses_dynamic_stack 0
		.amdhsa_system_sgpr_private_segment_wavefront_offset 0
		.amdhsa_system_sgpr_workgroup_id_x 1
		.amdhsa_system_sgpr_workgroup_id_y 0
		.amdhsa_system_sgpr_workgroup_id_z 0
		.amdhsa_system_sgpr_workgroup_info 0
		.amdhsa_system_vgpr_workitem_id 0
		.amdhsa_next_free_vgpr 32
		.amdhsa_next_free_sgpr 26
		.amdhsa_accum_offset 32
		.amdhsa_reserve_vcc 1
		.amdhsa_reserve_flat_scratch 0
		.amdhsa_float_round_mode_32 0
		.amdhsa_float_round_mode_16_64 0
		.amdhsa_float_denorm_mode_32 3
		.amdhsa_float_denorm_mode_16_64 3
		.amdhsa_dx10_clamp 1
		.amdhsa_ieee_mode 1
		.amdhsa_fp16_overflow 0
		.amdhsa_tg_split 0
		.amdhsa_exception_fp_ieee_invalid_op 0
		.amdhsa_exception_fp_denorm_src 0
		.amdhsa_exception_fp_ieee_div_zero 0
		.amdhsa_exception_fp_ieee_overflow 0
		.amdhsa_exception_fp_ieee_underflow 0
		.amdhsa_exception_fp_ieee_inexact 0
		.amdhsa_exception_int_div_zero 0
	.end_amdhsa_kernel
	.section	.text._ZN9rocsparseL21csrmvn_general_kernelILj256ELj64Elif21rocsparse_complex_numIfES2_S2_EEvbT2_NS_24const_host_device_scalarIT6_EEPKT1_S9_PKS3_PKT3_PKT4_S6_PT5_21rocsparse_index_base_b,"axG",@progbits,_ZN9rocsparseL21csrmvn_general_kernelILj256ELj64Elif21rocsparse_complex_numIfES2_S2_EEvbT2_NS_24const_host_device_scalarIT6_EEPKT1_S9_PKS3_PKT3_PKT4_S6_PT5_21rocsparse_index_base_b,comdat
.Lfunc_end280:
	.size	_ZN9rocsparseL21csrmvn_general_kernelILj256ELj64Elif21rocsparse_complex_numIfES2_S2_EEvbT2_NS_24const_host_device_scalarIT6_EEPKT1_S9_PKS3_PKT3_PKT4_S6_PT5_21rocsparse_index_base_b, .Lfunc_end280-_ZN9rocsparseL21csrmvn_general_kernelILj256ELj64Elif21rocsparse_complex_numIfES2_S2_EEvbT2_NS_24const_host_device_scalarIT6_EEPKT1_S9_PKS3_PKT3_PKT4_S6_PT5_21rocsparse_index_base_b
                                        ; -- End function
	.section	.AMDGPU.csdata,"",@progbits
; Kernel info:
; codeLenInByte = 1000
; NumSgprs: 30
; NumVgprs: 32
; NumAgprs: 0
; TotalNumVgprs: 32
; ScratchSize: 0
; MemoryBound: 0
; FloatMode: 240
; IeeeMode: 1
; LDSByteSize: 0 bytes/workgroup (compile time only)
; SGPRBlocks: 3
; VGPRBlocks: 3
; NumSGPRsForWavesPerEU: 30
; NumVGPRsForWavesPerEU: 32
; AccumOffset: 32
; Occupancy: 8
; WaveLimiterHint : 1
; COMPUTE_PGM_RSRC2:SCRATCH_EN: 0
; COMPUTE_PGM_RSRC2:USER_SGPR: 6
; COMPUTE_PGM_RSRC2:TRAP_HANDLER: 0
; COMPUTE_PGM_RSRC2:TGID_X_EN: 1
; COMPUTE_PGM_RSRC2:TGID_Y_EN: 0
; COMPUTE_PGM_RSRC2:TGID_Z_EN: 0
; COMPUTE_PGM_RSRC2:TIDIG_COMP_CNT: 0
; COMPUTE_PGM_RSRC3_GFX90A:ACCUM_OFFSET: 7
; COMPUTE_PGM_RSRC3_GFX90A:TG_SPLIT: 0
	.section	.text._ZN9rocsparseL21csrmvt_general_kernelILj256ELj4Elif21rocsparse_complex_numIfES2_S2_EEvbbT2_NS_24const_host_device_scalarIT6_EEPKT1_S9_PKS3_PKT3_PKT4_PT5_21rocsparse_index_base_b,"axG",@progbits,_ZN9rocsparseL21csrmvt_general_kernelILj256ELj4Elif21rocsparse_complex_numIfES2_S2_EEvbbT2_NS_24const_host_device_scalarIT6_EEPKT1_S9_PKS3_PKT3_PKT4_PT5_21rocsparse_index_base_b,comdat
	.globl	_ZN9rocsparseL21csrmvt_general_kernelILj256ELj4Elif21rocsparse_complex_numIfES2_S2_EEvbbT2_NS_24const_host_device_scalarIT6_EEPKT1_S9_PKS3_PKT3_PKT4_PT5_21rocsparse_index_base_b ; -- Begin function _ZN9rocsparseL21csrmvt_general_kernelILj256ELj4Elif21rocsparse_complex_numIfES2_S2_EEvbbT2_NS_24const_host_device_scalarIT6_EEPKT1_S9_PKS3_PKT3_PKT4_PT5_21rocsparse_index_base_b
	.p2align	8
	.type	_ZN9rocsparseL21csrmvt_general_kernelILj256ELj4Elif21rocsparse_complex_numIfES2_S2_EEvbbT2_NS_24const_host_device_scalarIT6_EEPKT1_S9_PKS3_PKT3_PKT4_PT5_21rocsparse_index_base_b,@function
_ZN9rocsparseL21csrmvt_general_kernelILj256ELj4Elif21rocsparse_complex_numIfES2_S2_EEvbbT2_NS_24const_host_device_scalarIT6_EEPKT1_S9_PKS3_PKT3_PKT4_PT5_21rocsparse_index_base_b: ; @_ZN9rocsparseL21csrmvt_general_kernelILj256ELj4Elif21rocsparse_complex_numIfES2_S2_EEvbbT2_NS_24const_host_device_scalarIT6_EEPKT1_S9_PKS3_PKT3_PKT4_PT5_21rocsparse_index_base_b
; %bb.0:
	s_load_dwordx2 s[20:21], s[4:5], 0x40
	s_load_dwordx4 s[16:19], s[4:5], 0x0
	s_load_dwordx4 s[0:3], s[4:5], 0x8
	s_waitcnt lgkmcnt(0)
	s_bitcmp1_b32 s21, 0
	s_cselect_b64 s[10:11], -1, 0
	s_xor_b64 s[8:9], s[10:11], -1
	s_and_b64 vcc, exec, s[10:11]
	v_mov_b32_e32 v12, s18
	s_cbranch_vccnz .LBB281_2
; %bb.1:
	v_pk_mov_b32 v[2:3], s[0:1], s[0:1] op_sel:[0,1]
	flat_load_dword v12, v[2:3]
.LBB281_2:
	s_andn2_b64 vcc, exec, s[8:9]
	v_mov_b32_e32 v13, s19
	s_cbranch_vccnz .LBB281_4
; %bb.3:
	v_pk_mov_b32 v[2:3], s[0:1], s[0:1] op_sel:[0,1]
	flat_load_dword v13, v[2:3] offset:4
.LBB281_4:
	s_waitcnt vmcnt(0) lgkmcnt(0)
	v_cmp_neq_f32_e32 vcc, 0, v12
	v_cmp_neq_f32_e64 s[0:1], 0, v13
	s_or_b64 s[0:1], vcc, s[0:1]
	s_and_saveexec_b64 s[8:9], s[0:1]
	s_cbranch_execz .LBB281_29
; %bb.5:
	s_load_dword s0, s[4:5], 0x48
	s_load_dwordx2 s[18:19], s[4:5], 0x38
	s_load_dwordx8 s[8:15], s[4:5], 0x18
	v_and_b32_e32 v1, 3, v0
	v_lshl_or_b32 v0, s6, 8, v0
	s_and_b32 s1, s16, 1
	s_waitcnt lgkmcnt(0)
	s_lshl_b32 s16, s0, 6
	v_lshrrev_b32_e32 v0, 2, v0
	s_cmp_eq_u32 s1, 0
	v_cmp_gt_i32_e64 s[0:1], s17, v0
	s_mov_b64 s[4:5], -1
	s_cbranch_scc0 .LBB281_17
; %bb.6:
	s_and_saveexec_b64 s[4:5], s[0:1]
	s_cbranch_execz .LBB281_16
; %bb.7:
	v_subrev_co_u32_e32 v14, vcc, s20, v1
	s_mov_b32 s21, 0
	v_subb_co_u32_e64 v15, s[6:7], 0, 0, vcc
	s_mov_b64 s[6:7], 0
	v_mov_b32_e32 v16, s3
	v_mov_b32_e32 v17, s9
	;; [unrolled: 1-line block ×4, first 2 shown]
	s_branch .LBB281_9
.LBB281_8:                              ;   in Loop: Header=BB281_9 Depth=1
	s_or_b64 exec, exec, s[22:23]
	v_add_u32_e32 v2, s16, v2
	v_cmp_le_i32_e32 vcc, s17, v2
	s_or_b64 s[6:7], vcc, s[6:7]
	s_andn2_b64 exec, exec, s[6:7]
	s_cbranch_execz .LBB281_16
.LBB281_9:                              ; =>This Loop Header: Depth=1
                                        ;     Child Loop BB281_11 Depth 2
                                        ;       Child Loop BB281_12 Depth 3
                                        ;       Child Loop BB281_14 Depth 3
	v_ashrrev_i32_e32 v3, 31, v2
	v_lshlrev_b64 v[8:9], 3, v[2:3]
	v_add_co_u32_e32 v4, vcc, s8, v8
	v_addc_co_u32_e32 v5, vcc, v17, v9, vcc
	global_load_dwordx2 v[4:5], v[4:5], off
	v_add_co_u32_e32 v6, vcc, s2, v8
	v_addc_co_u32_e32 v7, vcc, v16, v9, vcc
	global_load_dwordx2 v[6:7], v[6:7], off
	s_waitcnt vmcnt(1)
	v_subrev_co_u32_e32 v4, vcc, s20, v4
	v_subb_co_u32_e32 v5, vcc, v5, v18, vcc
	s_waitcnt vmcnt(0)
	v_add_co_u32_e32 v6, vcc, v6, v14
	v_addc_co_u32_e32 v7, vcc, v7, v15, vcc
	v_cmp_lt_i64_e32 vcc, v[6:7], v[4:5]
	s_and_saveexec_b64 s[22:23], vcc
	s_cbranch_execz .LBB281_8
; %bb.10:                               ;   in Loop: Header=BB281_9 Depth=1
	v_mov_b32_e32 v3, s15
	v_add_co_u32_e32 v8, vcc, s14, v8
	v_addc_co_u32_e32 v9, vcc, v3, v9, vcc
	global_load_dwordx2 v[8:9], v[8:9], off
	s_mov_b64 s[24:25], 0
	s_waitcnt vmcnt(0)
	v_mul_f32_e64 v3, v9, -v13
	v_mul_f32_e32 v19, v12, v9
	v_fmac_f32_e32 v3, v12, v8
	v_fmac_f32_e32 v19, v13, v8
	v_mul_f32_e32 v20, 0x80000000, v19
	v_mul_f32_e32 v21, 0, v3
.LBB281_11:                             ;   Parent Loop BB281_9 Depth=1
                                        ; =>  This Loop Header: Depth=2
                                        ;       Child Loop BB281_12 Depth 3
                                        ;       Child Loop BB281_14 Depth 3
	v_lshlrev_b64 v[8:9], 2, v[6:7]
	v_mov_b32_e32 v11, s11
	v_add_co_u32_e32 v10, vcc, s10, v8
	v_addc_co_u32_e32 v11, vcc, v11, v9, vcc
	global_load_dword v10, v[10:11], off
	v_mov_b32_e32 v11, s13
	v_add_co_u32_e32 v8, vcc, s12, v8
	v_addc_co_u32_e32 v9, vcc, v11, v9, vcc
	global_load_dword v22, v[8:9], off
	v_mov_b32_e32 v23, s19
	s_mov_b64 s[26:27], 0
	s_waitcnt vmcnt(1)
	v_subrev_u32_e32 v8, s20, v10
	v_ashrrev_i32_e32 v9, 31, v8
	v_lshlrev_b64 v[8:9], 3, v[8:9]
	v_add_co_u32_e32 v8, vcc, s18, v8
	v_addc_co_u32_e32 v9, vcc, v23, v9, vcc
	global_load_dword v11, v[8:9], off
	s_waitcnt vmcnt(1)
	v_fma_f32 v23, v3, v22, v20
.LBB281_12:                             ;   Parent Loop BB281_9 Depth=1
                                        ;     Parent Loop BB281_11 Depth=2
                                        ; =>    This Inner Loop Header: Depth=3
	s_waitcnt vmcnt(0)
	v_add_f32_e32 v10, v11, v23
	global_atomic_cmpswap v10, v[8:9], v[10:11], off glc
	s_waitcnt vmcnt(0)
	v_cmp_eq_u32_e32 vcc, v10, v11
	s_or_b64 s[26:27], vcc, s[26:27]
	v_mov_b32_e32 v11, v10
	s_andn2_b64 exec, exec, s[26:27]
	s_cbranch_execnz .LBB281_12
; %bb.13:                               ;   in Loop: Header=BB281_11 Depth=2
	s_or_b64 exec, exec, s[26:27]
	global_load_dword v11, v[8:9], off offset:4
	v_fma_f32 v22, v19, v22, v21
	s_mov_b64 s[26:27], 0
.LBB281_14:                             ;   Parent Loop BB281_9 Depth=1
                                        ;     Parent Loop BB281_11 Depth=2
                                        ; =>    This Inner Loop Header: Depth=3
	s_waitcnt vmcnt(0)
	v_add_f32_e32 v10, v11, v22
	global_atomic_cmpswap v10, v[8:9], v[10:11], off offset:4 glc
	s_waitcnt vmcnt(0)
	v_cmp_eq_u32_e32 vcc, v10, v11
	s_or_b64 s[26:27], vcc, s[26:27]
	v_mov_b32_e32 v11, v10
	s_andn2_b64 exec, exec, s[26:27]
	s_cbranch_execnz .LBB281_14
; %bb.15:                               ;   in Loop: Header=BB281_11 Depth=2
	s_or_b64 exec, exec, s[26:27]
	v_add_co_u32_e32 v6, vcc, 4, v6
	v_addc_co_u32_e32 v7, vcc, 0, v7, vcc
	v_cmp_ge_i64_e32 vcc, v[6:7], v[4:5]
	s_or_b64 s[24:25], vcc, s[24:25]
	s_andn2_b64 exec, exec, s[24:25]
	s_cbranch_execnz .LBB281_11
	s_branch .LBB281_8
.LBB281_16:
	s_or_b64 exec, exec, s[4:5]
	s_mov_b64 s[4:5], 0
.LBB281_17:
	s_andn2_b64 vcc, exec, s[4:5]
	s_cbranch_vccnz .LBB281_29
; %bb.18:
	s_and_b64 exec, exec, s[0:1]
	s_cbranch_execz .LBB281_29
; %bb.19:
	v_subrev_co_u32_e32 v10, vcc, s20, v1
	s_mov_b32 s4, 0
	v_subb_co_u32_e64 v11, s[0:1], 0, 0, vcc
	s_mov_b64 s[0:1], 0
	v_mov_b32_e32 v14, s3
	v_mov_b32_e32 v15, s9
	;; [unrolled: 1-line block ×3, first 2 shown]
	s_branch .LBB281_21
.LBB281_20:                             ;   in Loop: Header=BB281_21 Depth=1
	s_or_b64 exec, exec, s[4:5]
	v_add_u32_e32 v0, s16, v0
	v_cmp_le_i32_e32 vcc, s17, v0
	s_or_b64 s[0:1], vcc, s[0:1]
	s_andn2_b64 exec, exec, s[0:1]
	s_cbranch_execz .LBB281_29
.LBB281_21:                             ; =>This Loop Header: Depth=1
                                        ;     Child Loop BB281_24 Depth 2
                                        ;       Child Loop BB281_26 Depth 3
                                        ;       Child Loop BB281_28 Depth 3
	v_ashrrev_i32_e32 v1, 31, v0
	v_lshlrev_b64 v[6:7], 3, v[0:1]
	v_add_co_u32_e32 v2, vcc, s8, v6
	v_addc_co_u32_e32 v3, vcc, v15, v7, vcc
	global_load_dwordx2 v[2:3], v[2:3], off
	v_add_co_u32_e32 v4, vcc, s2, v6
	v_addc_co_u32_e32 v5, vcc, v14, v7, vcc
	global_load_dwordx2 v[4:5], v[4:5], off
	s_waitcnt vmcnt(1)
	v_subrev_co_u32_e32 v2, vcc, s20, v2
	v_subb_co_u32_e32 v3, vcc, v3, v16, vcc
	s_waitcnt vmcnt(0)
	v_add_co_u32_e32 v4, vcc, v4, v10
	v_addc_co_u32_e32 v5, vcc, v5, v11, vcc
	v_cmp_lt_i64_e32 vcc, v[4:5], v[2:3]
	s_and_saveexec_b64 s[4:5], vcc
	s_cbranch_execz .LBB281_20
; %bb.22:                               ;   in Loop: Header=BB281_21 Depth=1
	v_mov_b32_e32 v1, s15
	v_add_co_u32_e32 v6, vcc, s14, v6
	v_addc_co_u32_e32 v7, vcc, v1, v7, vcc
	global_load_dwordx2 v[6:7], v[6:7], off
	s_mov_b64 s[6:7], 0
	s_waitcnt vmcnt(0)
	v_mul_f32_e64 v1, v7, -v13
	v_mul_f32_e32 v17, v12, v7
	v_fmac_f32_e32 v1, v12, v6
	v_fmac_f32_e32 v17, v13, v6
	v_mul_f32_e32 v18, 0x80000000, v17
	v_mul_f32_e32 v19, 0, v1
	s_branch .LBB281_24
.LBB281_23:                             ;   in Loop: Header=BB281_24 Depth=2
	s_or_b64 exec, exec, s[22:23]
	v_add_co_u32_e32 v4, vcc, 4, v4
	v_addc_co_u32_e32 v5, vcc, 0, v5, vcc
	v_cmp_ge_i64_e32 vcc, v[4:5], v[2:3]
	s_or_b64 s[6:7], vcc, s[6:7]
	s_andn2_b64 exec, exec, s[6:7]
	s_cbranch_execz .LBB281_20
.LBB281_24:                             ;   Parent Loop BB281_21 Depth=1
                                        ; =>  This Loop Header: Depth=2
                                        ;       Child Loop BB281_26 Depth 3
                                        ;       Child Loop BB281_28 Depth 3
	v_lshlrev_b64 v[6:7], 2, v[4:5]
	v_mov_b32_e32 v9, s11
	v_add_co_u32_e32 v8, vcc, s10, v6
	v_addc_co_u32_e32 v9, vcc, v9, v7, vcc
	global_load_dword v8, v[8:9], off
	s_waitcnt vmcnt(0)
	v_subrev_u32_e32 v8, s20, v8
	v_cmp_ne_u32_e32 vcc, v8, v0
	s_and_saveexec_b64 s[22:23], vcc
	s_cbranch_execz .LBB281_23
; %bb.25:                               ;   in Loop: Header=BB281_24 Depth=2
	v_mov_b32_e32 v9, s13
	v_add_co_u32_e32 v6, vcc, s12, v6
	v_addc_co_u32_e32 v7, vcc, v9, v7, vcc
	v_ashrrev_i32_e32 v9, 31, v8
	global_load_dword v20, v[6:7], off
	v_lshlrev_b64 v[6:7], 3, v[8:9]
	v_mov_b32_e32 v8, s19
	v_add_co_u32_e32 v6, vcc, s18, v6
	v_addc_co_u32_e32 v7, vcc, v8, v7, vcc
	global_load_dword v9, v[6:7], off
	s_mov_b64 s[24:25], 0
	s_waitcnt vmcnt(1)
	v_fma_f32 v21, v1, v20, v18
.LBB281_26:                             ;   Parent Loop BB281_21 Depth=1
                                        ;     Parent Loop BB281_24 Depth=2
                                        ; =>    This Inner Loop Header: Depth=3
	s_waitcnt vmcnt(0)
	v_add_f32_e32 v8, v9, v21
	global_atomic_cmpswap v8, v[6:7], v[8:9], off glc
	s_waitcnt vmcnt(0)
	v_cmp_eq_u32_e32 vcc, v8, v9
	s_or_b64 s[24:25], vcc, s[24:25]
	v_mov_b32_e32 v9, v8
	s_andn2_b64 exec, exec, s[24:25]
	s_cbranch_execnz .LBB281_26
; %bb.27:                               ;   in Loop: Header=BB281_24 Depth=2
	s_or_b64 exec, exec, s[24:25]
	global_load_dword v9, v[6:7], off offset:4
	v_fma_f32 v20, v17, v20, v19
	s_mov_b64 s[24:25], 0
.LBB281_28:                             ;   Parent Loop BB281_21 Depth=1
                                        ;     Parent Loop BB281_24 Depth=2
                                        ; =>    This Inner Loop Header: Depth=3
	s_waitcnt vmcnt(0)
	v_add_f32_e32 v8, v9, v20
	global_atomic_cmpswap v8, v[6:7], v[8:9], off offset:4 glc
	s_waitcnt vmcnt(0)
	v_cmp_eq_u32_e32 vcc, v8, v9
	s_or_b64 s[24:25], vcc, s[24:25]
	v_mov_b32_e32 v9, v8
	s_andn2_b64 exec, exec, s[24:25]
	s_cbranch_execnz .LBB281_28
	s_branch .LBB281_23
.LBB281_29:
	s_endpgm
	.section	.rodata,"a",@progbits
	.p2align	6, 0x0
	.amdhsa_kernel _ZN9rocsparseL21csrmvt_general_kernelILj256ELj4Elif21rocsparse_complex_numIfES2_S2_EEvbbT2_NS_24const_host_device_scalarIT6_EEPKT1_S9_PKS3_PKT3_PKT4_PT5_21rocsparse_index_base_b
		.amdhsa_group_segment_fixed_size 0
		.amdhsa_private_segment_fixed_size 0
		.amdhsa_kernarg_size 328
		.amdhsa_user_sgpr_count 6
		.amdhsa_user_sgpr_private_segment_buffer 1
		.amdhsa_user_sgpr_dispatch_ptr 0
		.amdhsa_user_sgpr_queue_ptr 0
		.amdhsa_user_sgpr_kernarg_segment_ptr 1
		.amdhsa_user_sgpr_dispatch_id 0
		.amdhsa_user_sgpr_flat_scratch_init 0
		.amdhsa_user_sgpr_kernarg_preload_length 0
		.amdhsa_user_sgpr_kernarg_preload_offset 0
		.amdhsa_user_sgpr_private_segment_size 0
		.amdhsa_uses_dynamic_stack 0
		.amdhsa_system_sgpr_private_segment_wavefront_offset 0
		.amdhsa_system_sgpr_workgroup_id_x 1
		.amdhsa_system_sgpr_workgroup_id_y 0
		.amdhsa_system_sgpr_workgroup_id_z 0
		.amdhsa_system_sgpr_workgroup_info 0
		.amdhsa_system_vgpr_workitem_id 0
		.amdhsa_next_free_vgpr 24
		.amdhsa_next_free_sgpr 28
		.amdhsa_accum_offset 24
		.amdhsa_reserve_vcc 1
		.amdhsa_reserve_flat_scratch 0
		.amdhsa_float_round_mode_32 0
		.amdhsa_float_round_mode_16_64 0
		.amdhsa_float_denorm_mode_32 3
		.amdhsa_float_denorm_mode_16_64 3
		.amdhsa_dx10_clamp 1
		.amdhsa_ieee_mode 1
		.amdhsa_fp16_overflow 0
		.amdhsa_tg_split 0
		.amdhsa_exception_fp_ieee_invalid_op 0
		.amdhsa_exception_fp_denorm_src 0
		.amdhsa_exception_fp_ieee_div_zero 0
		.amdhsa_exception_fp_ieee_overflow 0
		.amdhsa_exception_fp_ieee_underflow 0
		.amdhsa_exception_fp_ieee_inexact 0
		.amdhsa_exception_int_div_zero 0
	.end_amdhsa_kernel
	.section	.text._ZN9rocsparseL21csrmvt_general_kernelILj256ELj4Elif21rocsparse_complex_numIfES2_S2_EEvbbT2_NS_24const_host_device_scalarIT6_EEPKT1_S9_PKS3_PKT3_PKT4_PT5_21rocsparse_index_base_b,"axG",@progbits,_ZN9rocsparseL21csrmvt_general_kernelILj256ELj4Elif21rocsparse_complex_numIfES2_S2_EEvbbT2_NS_24const_host_device_scalarIT6_EEPKT1_S9_PKS3_PKT3_PKT4_PT5_21rocsparse_index_base_b,comdat
.Lfunc_end281:
	.size	_ZN9rocsparseL21csrmvt_general_kernelILj256ELj4Elif21rocsparse_complex_numIfES2_S2_EEvbbT2_NS_24const_host_device_scalarIT6_EEPKT1_S9_PKS3_PKT3_PKT4_PT5_21rocsparse_index_base_b, .Lfunc_end281-_ZN9rocsparseL21csrmvt_general_kernelILj256ELj4Elif21rocsparse_complex_numIfES2_S2_EEvbbT2_NS_24const_host_device_scalarIT6_EEPKT1_S9_PKS3_PKT3_PKT4_PT5_21rocsparse_index_base_b
                                        ; -- End function
	.section	.AMDGPU.csdata,"",@progbits
; Kernel info:
; codeLenInByte = 1132
; NumSgprs: 32
; NumVgprs: 24
; NumAgprs: 0
; TotalNumVgprs: 24
; ScratchSize: 0
; MemoryBound: 0
; FloatMode: 240
; IeeeMode: 1
; LDSByteSize: 0 bytes/workgroup (compile time only)
; SGPRBlocks: 3
; VGPRBlocks: 2
; NumSGPRsForWavesPerEU: 32
; NumVGPRsForWavesPerEU: 24
; AccumOffset: 24
; Occupancy: 8
; WaveLimiterHint : 1
; COMPUTE_PGM_RSRC2:SCRATCH_EN: 0
; COMPUTE_PGM_RSRC2:USER_SGPR: 6
; COMPUTE_PGM_RSRC2:TRAP_HANDLER: 0
; COMPUTE_PGM_RSRC2:TGID_X_EN: 1
; COMPUTE_PGM_RSRC2:TGID_Y_EN: 0
; COMPUTE_PGM_RSRC2:TGID_Z_EN: 0
; COMPUTE_PGM_RSRC2:TIDIG_COMP_CNT: 0
; COMPUTE_PGM_RSRC3_GFX90A:ACCUM_OFFSET: 5
; COMPUTE_PGM_RSRC3_GFX90A:TG_SPLIT: 0
	.section	.text._ZN9rocsparseL21csrmvt_general_kernelILj256ELj8Elif21rocsparse_complex_numIfES2_S2_EEvbbT2_NS_24const_host_device_scalarIT6_EEPKT1_S9_PKS3_PKT3_PKT4_PT5_21rocsparse_index_base_b,"axG",@progbits,_ZN9rocsparseL21csrmvt_general_kernelILj256ELj8Elif21rocsparse_complex_numIfES2_S2_EEvbbT2_NS_24const_host_device_scalarIT6_EEPKT1_S9_PKS3_PKT3_PKT4_PT5_21rocsparse_index_base_b,comdat
	.globl	_ZN9rocsparseL21csrmvt_general_kernelILj256ELj8Elif21rocsparse_complex_numIfES2_S2_EEvbbT2_NS_24const_host_device_scalarIT6_EEPKT1_S9_PKS3_PKT3_PKT4_PT5_21rocsparse_index_base_b ; -- Begin function _ZN9rocsparseL21csrmvt_general_kernelILj256ELj8Elif21rocsparse_complex_numIfES2_S2_EEvbbT2_NS_24const_host_device_scalarIT6_EEPKT1_S9_PKS3_PKT3_PKT4_PT5_21rocsparse_index_base_b
	.p2align	8
	.type	_ZN9rocsparseL21csrmvt_general_kernelILj256ELj8Elif21rocsparse_complex_numIfES2_S2_EEvbbT2_NS_24const_host_device_scalarIT6_EEPKT1_S9_PKS3_PKT3_PKT4_PT5_21rocsparse_index_base_b,@function
_ZN9rocsparseL21csrmvt_general_kernelILj256ELj8Elif21rocsparse_complex_numIfES2_S2_EEvbbT2_NS_24const_host_device_scalarIT6_EEPKT1_S9_PKS3_PKT3_PKT4_PT5_21rocsparse_index_base_b: ; @_ZN9rocsparseL21csrmvt_general_kernelILj256ELj8Elif21rocsparse_complex_numIfES2_S2_EEvbbT2_NS_24const_host_device_scalarIT6_EEPKT1_S9_PKS3_PKT3_PKT4_PT5_21rocsparse_index_base_b
; %bb.0:
	s_load_dwordx2 s[20:21], s[4:5], 0x40
	s_load_dwordx4 s[16:19], s[4:5], 0x0
	s_load_dwordx4 s[0:3], s[4:5], 0x8
	s_waitcnt lgkmcnt(0)
	s_bitcmp1_b32 s21, 0
	s_cselect_b64 s[10:11], -1, 0
	s_xor_b64 s[8:9], s[10:11], -1
	s_and_b64 vcc, exec, s[10:11]
	v_mov_b32_e32 v12, s18
	s_cbranch_vccnz .LBB282_2
; %bb.1:
	v_pk_mov_b32 v[2:3], s[0:1], s[0:1] op_sel:[0,1]
	flat_load_dword v12, v[2:3]
.LBB282_2:
	s_andn2_b64 vcc, exec, s[8:9]
	v_mov_b32_e32 v13, s19
	s_cbranch_vccnz .LBB282_4
; %bb.3:
	v_pk_mov_b32 v[2:3], s[0:1], s[0:1] op_sel:[0,1]
	flat_load_dword v13, v[2:3] offset:4
.LBB282_4:
	s_waitcnt vmcnt(0) lgkmcnt(0)
	v_cmp_neq_f32_e32 vcc, 0, v12
	v_cmp_neq_f32_e64 s[0:1], 0, v13
	s_or_b64 s[0:1], vcc, s[0:1]
	s_and_saveexec_b64 s[8:9], s[0:1]
	s_cbranch_execz .LBB282_29
; %bb.5:
	s_load_dword s0, s[4:5], 0x48
	s_load_dwordx2 s[18:19], s[4:5], 0x38
	s_load_dwordx8 s[8:15], s[4:5], 0x18
	v_and_b32_e32 v1, 7, v0
	v_lshl_or_b32 v0, s6, 8, v0
	s_and_b32 s1, s16, 1
	s_waitcnt lgkmcnt(0)
	s_lshl_b32 s16, s0, 5
	v_lshrrev_b32_e32 v0, 3, v0
	s_cmp_eq_u32 s1, 0
	v_cmp_gt_i32_e64 s[0:1], s17, v0
	s_mov_b64 s[4:5], -1
	s_cbranch_scc0 .LBB282_17
; %bb.6:
	s_and_saveexec_b64 s[4:5], s[0:1]
	s_cbranch_execz .LBB282_16
; %bb.7:
	v_subrev_co_u32_e32 v14, vcc, s20, v1
	s_mov_b32 s21, 0
	v_subb_co_u32_e64 v15, s[6:7], 0, 0, vcc
	s_mov_b64 s[6:7], 0
	v_mov_b32_e32 v16, s3
	v_mov_b32_e32 v17, s9
	;; [unrolled: 1-line block ×4, first 2 shown]
	s_branch .LBB282_9
.LBB282_8:                              ;   in Loop: Header=BB282_9 Depth=1
	s_or_b64 exec, exec, s[22:23]
	v_add_u32_e32 v2, s16, v2
	v_cmp_le_i32_e32 vcc, s17, v2
	s_or_b64 s[6:7], vcc, s[6:7]
	s_andn2_b64 exec, exec, s[6:7]
	s_cbranch_execz .LBB282_16
.LBB282_9:                              ; =>This Loop Header: Depth=1
                                        ;     Child Loop BB282_11 Depth 2
                                        ;       Child Loop BB282_12 Depth 3
                                        ;       Child Loop BB282_14 Depth 3
	v_ashrrev_i32_e32 v3, 31, v2
	v_lshlrev_b64 v[8:9], 3, v[2:3]
	v_add_co_u32_e32 v4, vcc, s8, v8
	v_addc_co_u32_e32 v5, vcc, v17, v9, vcc
	global_load_dwordx2 v[4:5], v[4:5], off
	v_add_co_u32_e32 v6, vcc, s2, v8
	v_addc_co_u32_e32 v7, vcc, v16, v9, vcc
	global_load_dwordx2 v[6:7], v[6:7], off
	s_waitcnt vmcnt(1)
	v_subrev_co_u32_e32 v4, vcc, s20, v4
	v_subb_co_u32_e32 v5, vcc, v5, v18, vcc
	s_waitcnt vmcnt(0)
	v_add_co_u32_e32 v6, vcc, v6, v14
	v_addc_co_u32_e32 v7, vcc, v7, v15, vcc
	v_cmp_lt_i64_e32 vcc, v[6:7], v[4:5]
	s_and_saveexec_b64 s[22:23], vcc
	s_cbranch_execz .LBB282_8
; %bb.10:                               ;   in Loop: Header=BB282_9 Depth=1
	v_mov_b32_e32 v3, s15
	v_add_co_u32_e32 v8, vcc, s14, v8
	v_addc_co_u32_e32 v9, vcc, v3, v9, vcc
	global_load_dwordx2 v[8:9], v[8:9], off
	s_mov_b64 s[24:25], 0
	s_waitcnt vmcnt(0)
	v_mul_f32_e64 v3, v9, -v13
	v_mul_f32_e32 v19, v12, v9
	v_fmac_f32_e32 v3, v12, v8
	v_fmac_f32_e32 v19, v13, v8
	v_mul_f32_e32 v20, 0x80000000, v19
	v_mul_f32_e32 v21, 0, v3
.LBB282_11:                             ;   Parent Loop BB282_9 Depth=1
                                        ; =>  This Loop Header: Depth=2
                                        ;       Child Loop BB282_12 Depth 3
                                        ;       Child Loop BB282_14 Depth 3
	v_lshlrev_b64 v[8:9], 2, v[6:7]
	v_mov_b32_e32 v11, s11
	v_add_co_u32_e32 v10, vcc, s10, v8
	v_addc_co_u32_e32 v11, vcc, v11, v9, vcc
	global_load_dword v10, v[10:11], off
	v_mov_b32_e32 v11, s13
	v_add_co_u32_e32 v8, vcc, s12, v8
	v_addc_co_u32_e32 v9, vcc, v11, v9, vcc
	global_load_dword v22, v[8:9], off
	v_mov_b32_e32 v23, s19
	s_mov_b64 s[26:27], 0
	s_waitcnt vmcnt(1)
	v_subrev_u32_e32 v8, s20, v10
	v_ashrrev_i32_e32 v9, 31, v8
	v_lshlrev_b64 v[8:9], 3, v[8:9]
	v_add_co_u32_e32 v8, vcc, s18, v8
	v_addc_co_u32_e32 v9, vcc, v23, v9, vcc
	global_load_dword v11, v[8:9], off
	s_waitcnt vmcnt(1)
	v_fma_f32 v23, v3, v22, v20
.LBB282_12:                             ;   Parent Loop BB282_9 Depth=1
                                        ;     Parent Loop BB282_11 Depth=2
                                        ; =>    This Inner Loop Header: Depth=3
	s_waitcnt vmcnt(0)
	v_add_f32_e32 v10, v11, v23
	global_atomic_cmpswap v10, v[8:9], v[10:11], off glc
	s_waitcnt vmcnt(0)
	v_cmp_eq_u32_e32 vcc, v10, v11
	s_or_b64 s[26:27], vcc, s[26:27]
	v_mov_b32_e32 v11, v10
	s_andn2_b64 exec, exec, s[26:27]
	s_cbranch_execnz .LBB282_12
; %bb.13:                               ;   in Loop: Header=BB282_11 Depth=2
	s_or_b64 exec, exec, s[26:27]
	global_load_dword v11, v[8:9], off offset:4
	v_fma_f32 v22, v19, v22, v21
	s_mov_b64 s[26:27], 0
.LBB282_14:                             ;   Parent Loop BB282_9 Depth=1
                                        ;     Parent Loop BB282_11 Depth=2
                                        ; =>    This Inner Loop Header: Depth=3
	s_waitcnt vmcnt(0)
	v_add_f32_e32 v10, v11, v22
	global_atomic_cmpswap v10, v[8:9], v[10:11], off offset:4 glc
	s_waitcnt vmcnt(0)
	v_cmp_eq_u32_e32 vcc, v10, v11
	s_or_b64 s[26:27], vcc, s[26:27]
	v_mov_b32_e32 v11, v10
	s_andn2_b64 exec, exec, s[26:27]
	s_cbranch_execnz .LBB282_14
; %bb.15:                               ;   in Loop: Header=BB282_11 Depth=2
	s_or_b64 exec, exec, s[26:27]
	v_add_co_u32_e32 v6, vcc, 8, v6
	v_addc_co_u32_e32 v7, vcc, 0, v7, vcc
	v_cmp_ge_i64_e32 vcc, v[6:7], v[4:5]
	s_or_b64 s[24:25], vcc, s[24:25]
	s_andn2_b64 exec, exec, s[24:25]
	s_cbranch_execnz .LBB282_11
	s_branch .LBB282_8
.LBB282_16:
	s_or_b64 exec, exec, s[4:5]
	s_mov_b64 s[4:5], 0
.LBB282_17:
	s_andn2_b64 vcc, exec, s[4:5]
	s_cbranch_vccnz .LBB282_29
; %bb.18:
	s_and_b64 exec, exec, s[0:1]
	s_cbranch_execz .LBB282_29
; %bb.19:
	v_subrev_co_u32_e32 v10, vcc, s20, v1
	s_mov_b32 s4, 0
	v_subb_co_u32_e64 v11, s[0:1], 0, 0, vcc
	s_mov_b64 s[0:1], 0
	v_mov_b32_e32 v14, s3
	v_mov_b32_e32 v15, s9
	;; [unrolled: 1-line block ×3, first 2 shown]
	s_branch .LBB282_21
.LBB282_20:                             ;   in Loop: Header=BB282_21 Depth=1
	s_or_b64 exec, exec, s[4:5]
	v_add_u32_e32 v0, s16, v0
	v_cmp_le_i32_e32 vcc, s17, v0
	s_or_b64 s[0:1], vcc, s[0:1]
	s_andn2_b64 exec, exec, s[0:1]
	s_cbranch_execz .LBB282_29
.LBB282_21:                             ; =>This Loop Header: Depth=1
                                        ;     Child Loop BB282_24 Depth 2
                                        ;       Child Loop BB282_26 Depth 3
                                        ;       Child Loop BB282_28 Depth 3
	v_ashrrev_i32_e32 v1, 31, v0
	v_lshlrev_b64 v[6:7], 3, v[0:1]
	v_add_co_u32_e32 v2, vcc, s8, v6
	v_addc_co_u32_e32 v3, vcc, v15, v7, vcc
	global_load_dwordx2 v[2:3], v[2:3], off
	v_add_co_u32_e32 v4, vcc, s2, v6
	v_addc_co_u32_e32 v5, vcc, v14, v7, vcc
	global_load_dwordx2 v[4:5], v[4:5], off
	s_waitcnt vmcnt(1)
	v_subrev_co_u32_e32 v2, vcc, s20, v2
	v_subb_co_u32_e32 v3, vcc, v3, v16, vcc
	s_waitcnt vmcnt(0)
	v_add_co_u32_e32 v4, vcc, v4, v10
	v_addc_co_u32_e32 v5, vcc, v5, v11, vcc
	v_cmp_lt_i64_e32 vcc, v[4:5], v[2:3]
	s_and_saveexec_b64 s[4:5], vcc
	s_cbranch_execz .LBB282_20
; %bb.22:                               ;   in Loop: Header=BB282_21 Depth=1
	v_mov_b32_e32 v1, s15
	v_add_co_u32_e32 v6, vcc, s14, v6
	v_addc_co_u32_e32 v7, vcc, v1, v7, vcc
	global_load_dwordx2 v[6:7], v[6:7], off
	s_mov_b64 s[6:7], 0
	s_waitcnt vmcnt(0)
	v_mul_f32_e64 v1, v7, -v13
	v_mul_f32_e32 v17, v12, v7
	v_fmac_f32_e32 v1, v12, v6
	v_fmac_f32_e32 v17, v13, v6
	v_mul_f32_e32 v18, 0x80000000, v17
	v_mul_f32_e32 v19, 0, v1
	s_branch .LBB282_24
.LBB282_23:                             ;   in Loop: Header=BB282_24 Depth=2
	s_or_b64 exec, exec, s[22:23]
	v_add_co_u32_e32 v4, vcc, 8, v4
	v_addc_co_u32_e32 v5, vcc, 0, v5, vcc
	v_cmp_ge_i64_e32 vcc, v[4:5], v[2:3]
	s_or_b64 s[6:7], vcc, s[6:7]
	s_andn2_b64 exec, exec, s[6:7]
	s_cbranch_execz .LBB282_20
.LBB282_24:                             ;   Parent Loop BB282_21 Depth=1
                                        ; =>  This Loop Header: Depth=2
                                        ;       Child Loop BB282_26 Depth 3
                                        ;       Child Loop BB282_28 Depth 3
	v_lshlrev_b64 v[6:7], 2, v[4:5]
	v_mov_b32_e32 v9, s11
	v_add_co_u32_e32 v8, vcc, s10, v6
	v_addc_co_u32_e32 v9, vcc, v9, v7, vcc
	global_load_dword v8, v[8:9], off
	s_waitcnt vmcnt(0)
	v_subrev_u32_e32 v8, s20, v8
	v_cmp_ne_u32_e32 vcc, v8, v0
	s_and_saveexec_b64 s[22:23], vcc
	s_cbranch_execz .LBB282_23
; %bb.25:                               ;   in Loop: Header=BB282_24 Depth=2
	v_mov_b32_e32 v9, s13
	v_add_co_u32_e32 v6, vcc, s12, v6
	v_addc_co_u32_e32 v7, vcc, v9, v7, vcc
	v_ashrrev_i32_e32 v9, 31, v8
	global_load_dword v20, v[6:7], off
	v_lshlrev_b64 v[6:7], 3, v[8:9]
	v_mov_b32_e32 v8, s19
	v_add_co_u32_e32 v6, vcc, s18, v6
	v_addc_co_u32_e32 v7, vcc, v8, v7, vcc
	global_load_dword v9, v[6:7], off
	s_mov_b64 s[24:25], 0
	s_waitcnt vmcnt(1)
	v_fma_f32 v21, v1, v20, v18
.LBB282_26:                             ;   Parent Loop BB282_21 Depth=1
                                        ;     Parent Loop BB282_24 Depth=2
                                        ; =>    This Inner Loop Header: Depth=3
	s_waitcnt vmcnt(0)
	v_add_f32_e32 v8, v9, v21
	global_atomic_cmpswap v8, v[6:7], v[8:9], off glc
	s_waitcnt vmcnt(0)
	v_cmp_eq_u32_e32 vcc, v8, v9
	s_or_b64 s[24:25], vcc, s[24:25]
	v_mov_b32_e32 v9, v8
	s_andn2_b64 exec, exec, s[24:25]
	s_cbranch_execnz .LBB282_26
; %bb.27:                               ;   in Loop: Header=BB282_24 Depth=2
	s_or_b64 exec, exec, s[24:25]
	global_load_dword v9, v[6:7], off offset:4
	v_fma_f32 v20, v17, v20, v19
	s_mov_b64 s[24:25], 0
.LBB282_28:                             ;   Parent Loop BB282_21 Depth=1
                                        ;     Parent Loop BB282_24 Depth=2
                                        ; =>    This Inner Loop Header: Depth=3
	s_waitcnt vmcnt(0)
	v_add_f32_e32 v8, v9, v20
	global_atomic_cmpswap v8, v[6:7], v[8:9], off offset:4 glc
	s_waitcnt vmcnt(0)
	v_cmp_eq_u32_e32 vcc, v8, v9
	s_or_b64 s[24:25], vcc, s[24:25]
	v_mov_b32_e32 v9, v8
	s_andn2_b64 exec, exec, s[24:25]
	s_cbranch_execnz .LBB282_28
	s_branch .LBB282_23
.LBB282_29:
	s_endpgm
	.section	.rodata,"a",@progbits
	.p2align	6, 0x0
	.amdhsa_kernel _ZN9rocsparseL21csrmvt_general_kernelILj256ELj8Elif21rocsparse_complex_numIfES2_S2_EEvbbT2_NS_24const_host_device_scalarIT6_EEPKT1_S9_PKS3_PKT3_PKT4_PT5_21rocsparse_index_base_b
		.amdhsa_group_segment_fixed_size 0
		.amdhsa_private_segment_fixed_size 0
		.amdhsa_kernarg_size 328
		.amdhsa_user_sgpr_count 6
		.amdhsa_user_sgpr_private_segment_buffer 1
		.amdhsa_user_sgpr_dispatch_ptr 0
		.amdhsa_user_sgpr_queue_ptr 0
		.amdhsa_user_sgpr_kernarg_segment_ptr 1
		.amdhsa_user_sgpr_dispatch_id 0
		.amdhsa_user_sgpr_flat_scratch_init 0
		.amdhsa_user_sgpr_kernarg_preload_length 0
		.amdhsa_user_sgpr_kernarg_preload_offset 0
		.amdhsa_user_sgpr_private_segment_size 0
		.amdhsa_uses_dynamic_stack 0
		.amdhsa_system_sgpr_private_segment_wavefront_offset 0
		.amdhsa_system_sgpr_workgroup_id_x 1
		.amdhsa_system_sgpr_workgroup_id_y 0
		.amdhsa_system_sgpr_workgroup_id_z 0
		.amdhsa_system_sgpr_workgroup_info 0
		.amdhsa_system_vgpr_workitem_id 0
		.amdhsa_next_free_vgpr 24
		.amdhsa_next_free_sgpr 28
		.amdhsa_accum_offset 24
		.amdhsa_reserve_vcc 1
		.amdhsa_reserve_flat_scratch 0
		.amdhsa_float_round_mode_32 0
		.amdhsa_float_round_mode_16_64 0
		.amdhsa_float_denorm_mode_32 3
		.amdhsa_float_denorm_mode_16_64 3
		.amdhsa_dx10_clamp 1
		.amdhsa_ieee_mode 1
		.amdhsa_fp16_overflow 0
		.amdhsa_tg_split 0
		.amdhsa_exception_fp_ieee_invalid_op 0
		.amdhsa_exception_fp_denorm_src 0
		.amdhsa_exception_fp_ieee_div_zero 0
		.amdhsa_exception_fp_ieee_overflow 0
		.amdhsa_exception_fp_ieee_underflow 0
		.amdhsa_exception_fp_ieee_inexact 0
		.amdhsa_exception_int_div_zero 0
	.end_amdhsa_kernel
	.section	.text._ZN9rocsparseL21csrmvt_general_kernelILj256ELj8Elif21rocsparse_complex_numIfES2_S2_EEvbbT2_NS_24const_host_device_scalarIT6_EEPKT1_S9_PKS3_PKT3_PKT4_PT5_21rocsparse_index_base_b,"axG",@progbits,_ZN9rocsparseL21csrmvt_general_kernelILj256ELj8Elif21rocsparse_complex_numIfES2_S2_EEvbbT2_NS_24const_host_device_scalarIT6_EEPKT1_S9_PKS3_PKT3_PKT4_PT5_21rocsparse_index_base_b,comdat
.Lfunc_end282:
	.size	_ZN9rocsparseL21csrmvt_general_kernelILj256ELj8Elif21rocsparse_complex_numIfES2_S2_EEvbbT2_NS_24const_host_device_scalarIT6_EEPKT1_S9_PKS3_PKT3_PKT4_PT5_21rocsparse_index_base_b, .Lfunc_end282-_ZN9rocsparseL21csrmvt_general_kernelILj256ELj8Elif21rocsparse_complex_numIfES2_S2_EEvbbT2_NS_24const_host_device_scalarIT6_EEPKT1_S9_PKS3_PKT3_PKT4_PT5_21rocsparse_index_base_b
                                        ; -- End function
	.section	.AMDGPU.csdata,"",@progbits
; Kernel info:
; codeLenInByte = 1132
; NumSgprs: 32
; NumVgprs: 24
; NumAgprs: 0
; TotalNumVgprs: 24
; ScratchSize: 0
; MemoryBound: 0
; FloatMode: 240
; IeeeMode: 1
; LDSByteSize: 0 bytes/workgroup (compile time only)
; SGPRBlocks: 3
; VGPRBlocks: 2
; NumSGPRsForWavesPerEU: 32
; NumVGPRsForWavesPerEU: 24
; AccumOffset: 24
; Occupancy: 8
; WaveLimiterHint : 1
; COMPUTE_PGM_RSRC2:SCRATCH_EN: 0
; COMPUTE_PGM_RSRC2:USER_SGPR: 6
; COMPUTE_PGM_RSRC2:TRAP_HANDLER: 0
; COMPUTE_PGM_RSRC2:TGID_X_EN: 1
; COMPUTE_PGM_RSRC2:TGID_Y_EN: 0
; COMPUTE_PGM_RSRC2:TGID_Z_EN: 0
; COMPUTE_PGM_RSRC2:TIDIG_COMP_CNT: 0
; COMPUTE_PGM_RSRC3_GFX90A:ACCUM_OFFSET: 5
; COMPUTE_PGM_RSRC3_GFX90A:TG_SPLIT: 0
	.section	.text._ZN9rocsparseL21csrmvt_general_kernelILj256ELj16Elif21rocsparse_complex_numIfES2_S2_EEvbbT2_NS_24const_host_device_scalarIT6_EEPKT1_S9_PKS3_PKT3_PKT4_PT5_21rocsparse_index_base_b,"axG",@progbits,_ZN9rocsparseL21csrmvt_general_kernelILj256ELj16Elif21rocsparse_complex_numIfES2_S2_EEvbbT2_NS_24const_host_device_scalarIT6_EEPKT1_S9_PKS3_PKT3_PKT4_PT5_21rocsparse_index_base_b,comdat
	.globl	_ZN9rocsparseL21csrmvt_general_kernelILj256ELj16Elif21rocsparse_complex_numIfES2_S2_EEvbbT2_NS_24const_host_device_scalarIT6_EEPKT1_S9_PKS3_PKT3_PKT4_PT5_21rocsparse_index_base_b ; -- Begin function _ZN9rocsparseL21csrmvt_general_kernelILj256ELj16Elif21rocsparse_complex_numIfES2_S2_EEvbbT2_NS_24const_host_device_scalarIT6_EEPKT1_S9_PKS3_PKT3_PKT4_PT5_21rocsparse_index_base_b
	.p2align	8
	.type	_ZN9rocsparseL21csrmvt_general_kernelILj256ELj16Elif21rocsparse_complex_numIfES2_S2_EEvbbT2_NS_24const_host_device_scalarIT6_EEPKT1_S9_PKS3_PKT3_PKT4_PT5_21rocsparse_index_base_b,@function
_ZN9rocsparseL21csrmvt_general_kernelILj256ELj16Elif21rocsparse_complex_numIfES2_S2_EEvbbT2_NS_24const_host_device_scalarIT6_EEPKT1_S9_PKS3_PKT3_PKT4_PT5_21rocsparse_index_base_b: ; @_ZN9rocsparseL21csrmvt_general_kernelILj256ELj16Elif21rocsparse_complex_numIfES2_S2_EEvbbT2_NS_24const_host_device_scalarIT6_EEPKT1_S9_PKS3_PKT3_PKT4_PT5_21rocsparse_index_base_b
; %bb.0:
	s_load_dwordx2 s[20:21], s[4:5], 0x40
	s_load_dwordx4 s[16:19], s[4:5], 0x0
	s_load_dwordx4 s[0:3], s[4:5], 0x8
	s_waitcnt lgkmcnt(0)
	s_bitcmp1_b32 s21, 0
	s_cselect_b64 s[10:11], -1, 0
	s_xor_b64 s[8:9], s[10:11], -1
	s_and_b64 vcc, exec, s[10:11]
	v_mov_b32_e32 v12, s18
	s_cbranch_vccnz .LBB283_2
; %bb.1:
	v_pk_mov_b32 v[2:3], s[0:1], s[0:1] op_sel:[0,1]
	flat_load_dword v12, v[2:3]
.LBB283_2:
	s_andn2_b64 vcc, exec, s[8:9]
	v_mov_b32_e32 v13, s19
	s_cbranch_vccnz .LBB283_4
; %bb.3:
	v_pk_mov_b32 v[2:3], s[0:1], s[0:1] op_sel:[0,1]
	flat_load_dword v13, v[2:3] offset:4
.LBB283_4:
	s_waitcnt vmcnt(0) lgkmcnt(0)
	v_cmp_neq_f32_e32 vcc, 0, v12
	v_cmp_neq_f32_e64 s[0:1], 0, v13
	s_or_b64 s[0:1], vcc, s[0:1]
	s_and_saveexec_b64 s[8:9], s[0:1]
	s_cbranch_execz .LBB283_29
; %bb.5:
	s_load_dword s0, s[4:5], 0x48
	s_load_dwordx2 s[18:19], s[4:5], 0x38
	s_load_dwordx8 s[8:15], s[4:5], 0x18
	v_and_b32_e32 v1, 15, v0
	v_lshl_or_b32 v0, s6, 8, v0
	s_and_b32 s1, s16, 1
	s_waitcnt lgkmcnt(0)
	s_lshl_b32 s16, s0, 4
	v_lshrrev_b32_e32 v0, 4, v0
	s_cmp_eq_u32 s1, 0
	v_cmp_gt_i32_e64 s[0:1], s17, v0
	s_mov_b64 s[4:5], -1
	s_cbranch_scc0 .LBB283_17
; %bb.6:
	s_and_saveexec_b64 s[4:5], s[0:1]
	s_cbranch_execz .LBB283_16
; %bb.7:
	v_subrev_co_u32_e32 v14, vcc, s20, v1
	s_mov_b32 s21, 0
	v_subb_co_u32_e64 v15, s[6:7], 0, 0, vcc
	s_mov_b64 s[6:7], 0
	v_mov_b32_e32 v16, s3
	v_mov_b32_e32 v17, s9
	;; [unrolled: 1-line block ×4, first 2 shown]
	s_branch .LBB283_9
.LBB283_8:                              ;   in Loop: Header=BB283_9 Depth=1
	s_or_b64 exec, exec, s[22:23]
	v_add_u32_e32 v2, s16, v2
	v_cmp_le_i32_e32 vcc, s17, v2
	s_or_b64 s[6:7], vcc, s[6:7]
	s_andn2_b64 exec, exec, s[6:7]
	s_cbranch_execz .LBB283_16
.LBB283_9:                              ; =>This Loop Header: Depth=1
                                        ;     Child Loop BB283_11 Depth 2
                                        ;       Child Loop BB283_12 Depth 3
                                        ;       Child Loop BB283_14 Depth 3
	v_ashrrev_i32_e32 v3, 31, v2
	v_lshlrev_b64 v[8:9], 3, v[2:3]
	v_add_co_u32_e32 v4, vcc, s8, v8
	v_addc_co_u32_e32 v5, vcc, v17, v9, vcc
	global_load_dwordx2 v[4:5], v[4:5], off
	v_add_co_u32_e32 v6, vcc, s2, v8
	v_addc_co_u32_e32 v7, vcc, v16, v9, vcc
	global_load_dwordx2 v[6:7], v[6:7], off
	s_waitcnt vmcnt(1)
	v_subrev_co_u32_e32 v4, vcc, s20, v4
	v_subb_co_u32_e32 v5, vcc, v5, v18, vcc
	s_waitcnt vmcnt(0)
	v_add_co_u32_e32 v6, vcc, v6, v14
	v_addc_co_u32_e32 v7, vcc, v7, v15, vcc
	v_cmp_lt_i64_e32 vcc, v[6:7], v[4:5]
	s_and_saveexec_b64 s[22:23], vcc
	s_cbranch_execz .LBB283_8
; %bb.10:                               ;   in Loop: Header=BB283_9 Depth=1
	v_mov_b32_e32 v3, s15
	v_add_co_u32_e32 v8, vcc, s14, v8
	v_addc_co_u32_e32 v9, vcc, v3, v9, vcc
	global_load_dwordx2 v[8:9], v[8:9], off
	s_mov_b64 s[24:25], 0
	s_waitcnt vmcnt(0)
	v_mul_f32_e64 v3, v9, -v13
	v_mul_f32_e32 v19, v12, v9
	v_fmac_f32_e32 v3, v12, v8
	v_fmac_f32_e32 v19, v13, v8
	v_mul_f32_e32 v20, 0x80000000, v19
	v_mul_f32_e32 v21, 0, v3
.LBB283_11:                             ;   Parent Loop BB283_9 Depth=1
                                        ; =>  This Loop Header: Depth=2
                                        ;       Child Loop BB283_12 Depth 3
                                        ;       Child Loop BB283_14 Depth 3
	v_lshlrev_b64 v[8:9], 2, v[6:7]
	v_mov_b32_e32 v11, s11
	v_add_co_u32_e32 v10, vcc, s10, v8
	v_addc_co_u32_e32 v11, vcc, v11, v9, vcc
	global_load_dword v10, v[10:11], off
	v_mov_b32_e32 v11, s13
	v_add_co_u32_e32 v8, vcc, s12, v8
	v_addc_co_u32_e32 v9, vcc, v11, v9, vcc
	global_load_dword v22, v[8:9], off
	v_mov_b32_e32 v23, s19
	s_mov_b64 s[26:27], 0
	s_waitcnt vmcnt(1)
	v_subrev_u32_e32 v8, s20, v10
	v_ashrrev_i32_e32 v9, 31, v8
	v_lshlrev_b64 v[8:9], 3, v[8:9]
	v_add_co_u32_e32 v8, vcc, s18, v8
	v_addc_co_u32_e32 v9, vcc, v23, v9, vcc
	global_load_dword v11, v[8:9], off
	s_waitcnt vmcnt(1)
	v_fma_f32 v23, v3, v22, v20
.LBB283_12:                             ;   Parent Loop BB283_9 Depth=1
                                        ;     Parent Loop BB283_11 Depth=2
                                        ; =>    This Inner Loop Header: Depth=3
	s_waitcnt vmcnt(0)
	v_add_f32_e32 v10, v11, v23
	global_atomic_cmpswap v10, v[8:9], v[10:11], off glc
	s_waitcnt vmcnt(0)
	v_cmp_eq_u32_e32 vcc, v10, v11
	s_or_b64 s[26:27], vcc, s[26:27]
	v_mov_b32_e32 v11, v10
	s_andn2_b64 exec, exec, s[26:27]
	s_cbranch_execnz .LBB283_12
; %bb.13:                               ;   in Loop: Header=BB283_11 Depth=2
	s_or_b64 exec, exec, s[26:27]
	global_load_dword v11, v[8:9], off offset:4
	v_fma_f32 v22, v19, v22, v21
	s_mov_b64 s[26:27], 0
.LBB283_14:                             ;   Parent Loop BB283_9 Depth=1
                                        ;     Parent Loop BB283_11 Depth=2
                                        ; =>    This Inner Loop Header: Depth=3
	s_waitcnt vmcnt(0)
	v_add_f32_e32 v10, v11, v22
	global_atomic_cmpswap v10, v[8:9], v[10:11], off offset:4 glc
	s_waitcnt vmcnt(0)
	v_cmp_eq_u32_e32 vcc, v10, v11
	s_or_b64 s[26:27], vcc, s[26:27]
	v_mov_b32_e32 v11, v10
	s_andn2_b64 exec, exec, s[26:27]
	s_cbranch_execnz .LBB283_14
; %bb.15:                               ;   in Loop: Header=BB283_11 Depth=2
	s_or_b64 exec, exec, s[26:27]
	v_add_co_u32_e32 v6, vcc, 16, v6
	v_addc_co_u32_e32 v7, vcc, 0, v7, vcc
	v_cmp_ge_i64_e32 vcc, v[6:7], v[4:5]
	s_or_b64 s[24:25], vcc, s[24:25]
	s_andn2_b64 exec, exec, s[24:25]
	s_cbranch_execnz .LBB283_11
	s_branch .LBB283_8
.LBB283_16:
	s_or_b64 exec, exec, s[4:5]
	s_mov_b64 s[4:5], 0
.LBB283_17:
	s_andn2_b64 vcc, exec, s[4:5]
	s_cbranch_vccnz .LBB283_29
; %bb.18:
	s_and_b64 exec, exec, s[0:1]
	s_cbranch_execz .LBB283_29
; %bb.19:
	v_subrev_co_u32_e32 v10, vcc, s20, v1
	s_mov_b32 s4, 0
	v_subb_co_u32_e64 v11, s[0:1], 0, 0, vcc
	s_mov_b64 s[0:1], 0
	v_mov_b32_e32 v14, s3
	v_mov_b32_e32 v15, s9
	;; [unrolled: 1-line block ×3, first 2 shown]
	s_branch .LBB283_21
.LBB283_20:                             ;   in Loop: Header=BB283_21 Depth=1
	s_or_b64 exec, exec, s[4:5]
	v_add_u32_e32 v0, s16, v0
	v_cmp_le_i32_e32 vcc, s17, v0
	s_or_b64 s[0:1], vcc, s[0:1]
	s_andn2_b64 exec, exec, s[0:1]
	s_cbranch_execz .LBB283_29
.LBB283_21:                             ; =>This Loop Header: Depth=1
                                        ;     Child Loop BB283_24 Depth 2
                                        ;       Child Loop BB283_26 Depth 3
                                        ;       Child Loop BB283_28 Depth 3
	v_ashrrev_i32_e32 v1, 31, v0
	v_lshlrev_b64 v[6:7], 3, v[0:1]
	v_add_co_u32_e32 v2, vcc, s8, v6
	v_addc_co_u32_e32 v3, vcc, v15, v7, vcc
	global_load_dwordx2 v[2:3], v[2:3], off
	v_add_co_u32_e32 v4, vcc, s2, v6
	v_addc_co_u32_e32 v5, vcc, v14, v7, vcc
	global_load_dwordx2 v[4:5], v[4:5], off
	s_waitcnt vmcnt(1)
	v_subrev_co_u32_e32 v2, vcc, s20, v2
	v_subb_co_u32_e32 v3, vcc, v3, v16, vcc
	s_waitcnt vmcnt(0)
	v_add_co_u32_e32 v4, vcc, v4, v10
	v_addc_co_u32_e32 v5, vcc, v5, v11, vcc
	v_cmp_lt_i64_e32 vcc, v[4:5], v[2:3]
	s_and_saveexec_b64 s[4:5], vcc
	s_cbranch_execz .LBB283_20
; %bb.22:                               ;   in Loop: Header=BB283_21 Depth=1
	v_mov_b32_e32 v1, s15
	v_add_co_u32_e32 v6, vcc, s14, v6
	v_addc_co_u32_e32 v7, vcc, v1, v7, vcc
	global_load_dwordx2 v[6:7], v[6:7], off
	s_mov_b64 s[6:7], 0
	s_waitcnt vmcnt(0)
	v_mul_f32_e64 v1, v7, -v13
	v_mul_f32_e32 v17, v12, v7
	v_fmac_f32_e32 v1, v12, v6
	v_fmac_f32_e32 v17, v13, v6
	v_mul_f32_e32 v18, 0x80000000, v17
	v_mul_f32_e32 v19, 0, v1
	s_branch .LBB283_24
.LBB283_23:                             ;   in Loop: Header=BB283_24 Depth=2
	s_or_b64 exec, exec, s[22:23]
	v_add_co_u32_e32 v4, vcc, 16, v4
	v_addc_co_u32_e32 v5, vcc, 0, v5, vcc
	v_cmp_ge_i64_e32 vcc, v[4:5], v[2:3]
	s_or_b64 s[6:7], vcc, s[6:7]
	s_andn2_b64 exec, exec, s[6:7]
	s_cbranch_execz .LBB283_20
.LBB283_24:                             ;   Parent Loop BB283_21 Depth=1
                                        ; =>  This Loop Header: Depth=2
                                        ;       Child Loop BB283_26 Depth 3
                                        ;       Child Loop BB283_28 Depth 3
	v_lshlrev_b64 v[6:7], 2, v[4:5]
	v_mov_b32_e32 v9, s11
	v_add_co_u32_e32 v8, vcc, s10, v6
	v_addc_co_u32_e32 v9, vcc, v9, v7, vcc
	global_load_dword v8, v[8:9], off
	s_waitcnt vmcnt(0)
	v_subrev_u32_e32 v8, s20, v8
	v_cmp_ne_u32_e32 vcc, v8, v0
	s_and_saveexec_b64 s[22:23], vcc
	s_cbranch_execz .LBB283_23
; %bb.25:                               ;   in Loop: Header=BB283_24 Depth=2
	v_mov_b32_e32 v9, s13
	v_add_co_u32_e32 v6, vcc, s12, v6
	v_addc_co_u32_e32 v7, vcc, v9, v7, vcc
	v_ashrrev_i32_e32 v9, 31, v8
	global_load_dword v20, v[6:7], off
	v_lshlrev_b64 v[6:7], 3, v[8:9]
	v_mov_b32_e32 v8, s19
	v_add_co_u32_e32 v6, vcc, s18, v6
	v_addc_co_u32_e32 v7, vcc, v8, v7, vcc
	global_load_dword v9, v[6:7], off
	s_mov_b64 s[24:25], 0
	s_waitcnt vmcnt(1)
	v_fma_f32 v21, v1, v20, v18
.LBB283_26:                             ;   Parent Loop BB283_21 Depth=1
                                        ;     Parent Loop BB283_24 Depth=2
                                        ; =>    This Inner Loop Header: Depth=3
	s_waitcnt vmcnt(0)
	v_add_f32_e32 v8, v9, v21
	global_atomic_cmpswap v8, v[6:7], v[8:9], off glc
	s_waitcnt vmcnt(0)
	v_cmp_eq_u32_e32 vcc, v8, v9
	s_or_b64 s[24:25], vcc, s[24:25]
	v_mov_b32_e32 v9, v8
	s_andn2_b64 exec, exec, s[24:25]
	s_cbranch_execnz .LBB283_26
; %bb.27:                               ;   in Loop: Header=BB283_24 Depth=2
	s_or_b64 exec, exec, s[24:25]
	global_load_dword v9, v[6:7], off offset:4
	v_fma_f32 v20, v17, v20, v19
	s_mov_b64 s[24:25], 0
.LBB283_28:                             ;   Parent Loop BB283_21 Depth=1
                                        ;     Parent Loop BB283_24 Depth=2
                                        ; =>    This Inner Loop Header: Depth=3
	s_waitcnt vmcnt(0)
	v_add_f32_e32 v8, v9, v20
	global_atomic_cmpswap v8, v[6:7], v[8:9], off offset:4 glc
	s_waitcnt vmcnt(0)
	v_cmp_eq_u32_e32 vcc, v8, v9
	s_or_b64 s[24:25], vcc, s[24:25]
	v_mov_b32_e32 v9, v8
	s_andn2_b64 exec, exec, s[24:25]
	s_cbranch_execnz .LBB283_28
	s_branch .LBB283_23
.LBB283_29:
	s_endpgm
	.section	.rodata,"a",@progbits
	.p2align	6, 0x0
	.amdhsa_kernel _ZN9rocsparseL21csrmvt_general_kernelILj256ELj16Elif21rocsparse_complex_numIfES2_S2_EEvbbT2_NS_24const_host_device_scalarIT6_EEPKT1_S9_PKS3_PKT3_PKT4_PT5_21rocsparse_index_base_b
		.amdhsa_group_segment_fixed_size 0
		.amdhsa_private_segment_fixed_size 0
		.amdhsa_kernarg_size 328
		.amdhsa_user_sgpr_count 6
		.amdhsa_user_sgpr_private_segment_buffer 1
		.amdhsa_user_sgpr_dispatch_ptr 0
		.amdhsa_user_sgpr_queue_ptr 0
		.amdhsa_user_sgpr_kernarg_segment_ptr 1
		.amdhsa_user_sgpr_dispatch_id 0
		.amdhsa_user_sgpr_flat_scratch_init 0
		.amdhsa_user_sgpr_kernarg_preload_length 0
		.amdhsa_user_sgpr_kernarg_preload_offset 0
		.amdhsa_user_sgpr_private_segment_size 0
		.amdhsa_uses_dynamic_stack 0
		.amdhsa_system_sgpr_private_segment_wavefront_offset 0
		.amdhsa_system_sgpr_workgroup_id_x 1
		.amdhsa_system_sgpr_workgroup_id_y 0
		.amdhsa_system_sgpr_workgroup_id_z 0
		.amdhsa_system_sgpr_workgroup_info 0
		.amdhsa_system_vgpr_workitem_id 0
		.amdhsa_next_free_vgpr 24
		.amdhsa_next_free_sgpr 28
		.amdhsa_accum_offset 24
		.amdhsa_reserve_vcc 1
		.amdhsa_reserve_flat_scratch 0
		.amdhsa_float_round_mode_32 0
		.amdhsa_float_round_mode_16_64 0
		.amdhsa_float_denorm_mode_32 3
		.amdhsa_float_denorm_mode_16_64 3
		.amdhsa_dx10_clamp 1
		.amdhsa_ieee_mode 1
		.amdhsa_fp16_overflow 0
		.amdhsa_tg_split 0
		.amdhsa_exception_fp_ieee_invalid_op 0
		.amdhsa_exception_fp_denorm_src 0
		.amdhsa_exception_fp_ieee_div_zero 0
		.amdhsa_exception_fp_ieee_overflow 0
		.amdhsa_exception_fp_ieee_underflow 0
		.amdhsa_exception_fp_ieee_inexact 0
		.amdhsa_exception_int_div_zero 0
	.end_amdhsa_kernel
	.section	.text._ZN9rocsparseL21csrmvt_general_kernelILj256ELj16Elif21rocsparse_complex_numIfES2_S2_EEvbbT2_NS_24const_host_device_scalarIT6_EEPKT1_S9_PKS3_PKT3_PKT4_PT5_21rocsparse_index_base_b,"axG",@progbits,_ZN9rocsparseL21csrmvt_general_kernelILj256ELj16Elif21rocsparse_complex_numIfES2_S2_EEvbbT2_NS_24const_host_device_scalarIT6_EEPKT1_S9_PKS3_PKT3_PKT4_PT5_21rocsparse_index_base_b,comdat
.Lfunc_end283:
	.size	_ZN9rocsparseL21csrmvt_general_kernelILj256ELj16Elif21rocsparse_complex_numIfES2_S2_EEvbbT2_NS_24const_host_device_scalarIT6_EEPKT1_S9_PKS3_PKT3_PKT4_PT5_21rocsparse_index_base_b, .Lfunc_end283-_ZN9rocsparseL21csrmvt_general_kernelILj256ELj16Elif21rocsparse_complex_numIfES2_S2_EEvbbT2_NS_24const_host_device_scalarIT6_EEPKT1_S9_PKS3_PKT3_PKT4_PT5_21rocsparse_index_base_b
                                        ; -- End function
	.section	.AMDGPU.csdata,"",@progbits
; Kernel info:
; codeLenInByte = 1132
; NumSgprs: 32
; NumVgprs: 24
; NumAgprs: 0
; TotalNumVgprs: 24
; ScratchSize: 0
; MemoryBound: 0
; FloatMode: 240
; IeeeMode: 1
; LDSByteSize: 0 bytes/workgroup (compile time only)
; SGPRBlocks: 3
; VGPRBlocks: 2
; NumSGPRsForWavesPerEU: 32
; NumVGPRsForWavesPerEU: 24
; AccumOffset: 24
; Occupancy: 8
; WaveLimiterHint : 1
; COMPUTE_PGM_RSRC2:SCRATCH_EN: 0
; COMPUTE_PGM_RSRC2:USER_SGPR: 6
; COMPUTE_PGM_RSRC2:TRAP_HANDLER: 0
; COMPUTE_PGM_RSRC2:TGID_X_EN: 1
; COMPUTE_PGM_RSRC2:TGID_Y_EN: 0
; COMPUTE_PGM_RSRC2:TGID_Z_EN: 0
; COMPUTE_PGM_RSRC2:TIDIG_COMP_CNT: 0
; COMPUTE_PGM_RSRC3_GFX90A:ACCUM_OFFSET: 5
; COMPUTE_PGM_RSRC3_GFX90A:TG_SPLIT: 0
	.section	.text._ZN9rocsparseL21csrmvt_general_kernelILj256ELj32Elif21rocsparse_complex_numIfES2_S2_EEvbbT2_NS_24const_host_device_scalarIT6_EEPKT1_S9_PKS3_PKT3_PKT4_PT5_21rocsparse_index_base_b,"axG",@progbits,_ZN9rocsparseL21csrmvt_general_kernelILj256ELj32Elif21rocsparse_complex_numIfES2_S2_EEvbbT2_NS_24const_host_device_scalarIT6_EEPKT1_S9_PKS3_PKT3_PKT4_PT5_21rocsparse_index_base_b,comdat
	.globl	_ZN9rocsparseL21csrmvt_general_kernelILj256ELj32Elif21rocsparse_complex_numIfES2_S2_EEvbbT2_NS_24const_host_device_scalarIT6_EEPKT1_S9_PKS3_PKT3_PKT4_PT5_21rocsparse_index_base_b ; -- Begin function _ZN9rocsparseL21csrmvt_general_kernelILj256ELj32Elif21rocsparse_complex_numIfES2_S2_EEvbbT2_NS_24const_host_device_scalarIT6_EEPKT1_S9_PKS3_PKT3_PKT4_PT5_21rocsparse_index_base_b
	.p2align	8
	.type	_ZN9rocsparseL21csrmvt_general_kernelILj256ELj32Elif21rocsparse_complex_numIfES2_S2_EEvbbT2_NS_24const_host_device_scalarIT6_EEPKT1_S9_PKS3_PKT3_PKT4_PT5_21rocsparse_index_base_b,@function
_ZN9rocsparseL21csrmvt_general_kernelILj256ELj32Elif21rocsparse_complex_numIfES2_S2_EEvbbT2_NS_24const_host_device_scalarIT6_EEPKT1_S9_PKS3_PKT3_PKT4_PT5_21rocsparse_index_base_b: ; @_ZN9rocsparseL21csrmvt_general_kernelILj256ELj32Elif21rocsparse_complex_numIfES2_S2_EEvbbT2_NS_24const_host_device_scalarIT6_EEPKT1_S9_PKS3_PKT3_PKT4_PT5_21rocsparse_index_base_b
; %bb.0:
	s_load_dwordx2 s[20:21], s[4:5], 0x40
	s_load_dwordx4 s[16:19], s[4:5], 0x0
	s_load_dwordx4 s[0:3], s[4:5], 0x8
	s_waitcnt lgkmcnt(0)
	s_bitcmp1_b32 s21, 0
	s_cselect_b64 s[10:11], -1, 0
	s_xor_b64 s[8:9], s[10:11], -1
	s_and_b64 vcc, exec, s[10:11]
	v_mov_b32_e32 v12, s18
	s_cbranch_vccnz .LBB284_2
; %bb.1:
	v_pk_mov_b32 v[2:3], s[0:1], s[0:1] op_sel:[0,1]
	flat_load_dword v12, v[2:3]
.LBB284_2:
	s_andn2_b64 vcc, exec, s[8:9]
	v_mov_b32_e32 v13, s19
	s_cbranch_vccnz .LBB284_4
; %bb.3:
	v_pk_mov_b32 v[2:3], s[0:1], s[0:1] op_sel:[0,1]
	flat_load_dword v13, v[2:3] offset:4
.LBB284_4:
	s_waitcnt vmcnt(0) lgkmcnt(0)
	v_cmp_neq_f32_e32 vcc, 0, v12
	v_cmp_neq_f32_e64 s[0:1], 0, v13
	s_or_b64 s[0:1], vcc, s[0:1]
	s_and_saveexec_b64 s[8:9], s[0:1]
	s_cbranch_execz .LBB284_29
; %bb.5:
	s_load_dword s0, s[4:5], 0x48
	s_load_dwordx2 s[18:19], s[4:5], 0x38
	s_load_dwordx8 s[8:15], s[4:5], 0x18
	v_and_b32_e32 v1, 31, v0
	v_lshl_or_b32 v0, s6, 8, v0
	s_and_b32 s1, s16, 1
	s_waitcnt lgkmcnt(0)
	s_lshl_b32 s16, s0, 3
	v_lshrrev_b32_e32 v0, 5, v0
	s_cmp_eq_u32 s1, 0
	v_cmp_gt_i32_e64 s[0:1], s17, v0
	s_mov_b64 s[4:5], -1
	s_cbranch_scc0 .LBB284_17
; %bb.6:
	s_and_saveexec_b64 s[4:5], s[0:1]
	s_cbranch_execz .LBB284_16
; %bb.7:
	v_subrev_co_u32_e32 v14, vcc, s20, v1
	s_mov_b32 s21, 0
	v_subb_co_u32_e64 v15, s[6:7], 0, 0, vcc
	s_mov_b64 s[6:7], 0
	v_mov_b32_e32 v16, s3
	v_mov_b32_e32 v17, s9
	;; [unrolled: 1-line block ×4, first 2 shown]
	s_branch .LBB284_9
.LBB284_8:                              ;   in Loop: Header=BB284_9 Depth=1
	s_or_b64 exec, exec, s[22:23]
	v_add_u32_e32 v2, s16, v2
	v_cmp_le_i32_e32 vcc, s17, v2
	s_or_b64 s[6:7], vcc, s[6:7]
	s_andn2_b64 exec, exec, s[6:7]
	s_cbranch_execz .LBB284_16
.LBB284_9:                              ; =>This Loop Header: Depth=1
                                        ;     Child Loop BB284_11 Depth 2
                                        ;       Child Loop BB284_12 Depth 3
                                        ;       Child Loop BB284_14 Depth 3
	v_ashrrev_i32_e32 v3, 31, v2
	v_lshlrev_b64 v[8:9], 3, v[2:3]
	v_add_co_u32_e32 v4, vcc, s8, v8
	v_addc_co_u32_e32 v5, vcc, v17, v9, vcc
	global_load_dwordx2 v[4:5], v[4:5], off
	v_add_co_u32_e32 v6, vcc, s2, v8
	v_addc_co_u32_e32 v7, vcc, v16, v9, vcc
	global_load_dwordx2 v[6:7], v[6:7], off
	s_waitcnt vmcnt(1)
	v_subrev_co_u32_e32 v4, vcc, s20, v4
	v_subb_co_u32_e32 v5, vcc, v5, v18, vcc
	s_waitcnt vmcnt(0)
	v_add_co_u32_e32 v6, vcc, v6, v14
	v_addc_co_u32_e32 v7, vcc, v7, v15, vcc
	v_cmp_lt_i64_e32 vcc, v[6:7], v[4:5]
	s_and_saveexec_b64 s[22:23], vcc
	s_cbranch_execz .LBB284_8
; %bb.10:                               ;   in Loop: Header=BB284_9 Depth=1
	v_mov_b32_e32 v3, s15
	v_add_co_u32_e32 v8, vcc, s14, v8
	v_addc_co_u32_e32 v9, vcc, v3, v9, vcc
	global_load_dwordx2 v[8:9], v[8:9], off
	s_mov_b64 s[24:25], 0
	s_waitcnt vmcnt(0)
	v_mul_f32_e64 v3, v9, -v13
	v_mul_f32_e32 v19, v12, v9
	v_fmac_f32_e32 v3, v12, v8
	v_fmac_f32_e32 v19, v13, v8
	v_mul_f32_e32 v20, 0x80000000, v19
	v_mul_f32_e32 v21, 0, v3
.LBB284_11:                             ;   Parent Loop BB284_9 Depth=1
                                        ; =>  This Loop Header: Depth=2
                                        ;       Child Loop BB284_12 Depth 3
                                        ;       Child Loop BB284_14 Depth 3
	v_lshlrev_b64 v[8:9], 2, v[6:7]
	v_mov_b32_e32 v11, s11
	v_add_co_u32_e32 v10, vcc, s10, v8
	v_addc_co_u32_e32 v11, vcc, v11, v9, vcc
	global_load_dword v10, v[10:11], off
	v_mov_b32_e32 v11, s13
	v_add_co_u32_e32 v8, vcc, s12, v8
	v_addc_co_u32_e32 v9, vcc, v11, v9, vcc
	global_load_dword v22, v[8:9], off
	v_mov_b32_e32 v23, s19
	s_mov_b64 s[26:27], 0
	s_waitcnt vmcnt(1)
	v_subrev_u32_e32 v8, s20, v10
	v_ashrrev_i32_e32 v9, 31, v8
	v_lshlrev_b64 v[8:9], 3, v[8:9]
	v_add_co_u32_e32 v8, vcc, s18, v8
	v_addc_co_u32_e32 v9, vcc, v23, v9, vcc
	global_load_dword v11, v[8:9], off
	s_waitcnt vmcnt(1)
	v_fma_f32 v23, v3, v22, v20
.LBB284_12:                             ;   Parent Loop BB284_9 Depth=1
                                        ;     Parent Loop BB284_11 Depth=2
                                        ; =>    This Inner Loop Header: Depth=3
	s_waitcnt vmcnt(0)
	v_add_f32_e32 v10, v11, v23
	global_atomic_cmpswap v10, v[8:9], v[10:11], off glc
	s_waitcnt vmcnt(0)
	v_cmp_eq_u32_e32 vcc, v10, v11
	s_or_b64 s[26:27], vcc, s[26:27]
	v_mov_b32_e32 v11, v10
	s_andn2_b64 exec, exec, s[26:27]
	s_cbranch_execnz .LBB284_12
; %bb.13:                               ;   in Loop: Header=BB284_11 Depth=2
	s_or_b64 exec, exec, s[26:27]
	global_load_dword v11, v[8:9], off offset:4
	v_fma_f32 v22, v19, v22, v21
	s_mov_b64 s[26:27], 0
.LBB284_14:                             ;   Parent Loop BB284_9 Depth=1
                                        ;     Parent Loop BB284_11 Depth=2
                                        ; =>    This Inner Loop Header: Depth=3
	s_waitcnt vmcnt(0)
	v_add_f32_e32 v10, v11, v22
	global_atomic_cmpswap v10, v[8:9], v[10:11], off offset:4 glc
	s_waitcnt vmcnt(0)
	v_cmp_eq_u32_e32 vcc, v10, v11
	s_or_b64 s[26:27], vcc, s[26:27]
	v_mov_b32_e32 v11, v10
	s_andn2_b64 exec, exec, s[26:27]
	s_cbranch_execnz .LBB284_14
; %bb.15:                               ;   in Loop: Header=BB284_11 Depth=2
	s_or_b64 exec, exec, s[26:27]
	v_add_co_u32_e32 v6, vcc, 32, v6
	v_addc_co_u32_e32 v7, vcc, 0, v7, vcc
	v_cmp_ge_i64_e32 vcc, v[6:7], v[4:5]
	s_or_b64 s[24:25], vcc, s[24:25]
	s_andn2_b64 exec, exec, s[24:25]
	s_cbranch_execnz .LBB284_11
	s_branch .LBB284_8
.LBB284_16:
	s_or_b64 exec, exec, s[4:5]
	s_mov_b64 s[4:5], 0
.LBB284_17:
	s_andn2_b64 vcc, exec, s[4:5]
	s_cbranch_vccnz .LBB284_29
; %bb.18:
	s_and_b64 exec, exec, s[0:1]
	s_cbranch_execz .LBB284_29
; %bb.19:
	v_subrev_co_u32_e32 v10, vcc, s20, v1
	s_mov_b32 s4, 0
	v_subb_co_u32_e64 v11, s[0:1], 0, 0, vcc
	s_mov_b64 s[0:1], 0
	v_mov_b32_e32 v14, s3
	v_mov_b32_e32 v15, s9
	;; [unrolled: 1-line block ×3, first 2 shown]
	s_branch .LBB284_21
.LBB284_20:                             ;   in Loop: Header=BB284_21 Depth=1
	s_or_b64 exec, exec, s[4:5]
	v_add_u32_e32 v0, s16, v0
	v_cmp_le_i32_e32 vcc, s17, v0
	s_or_b64 s[0:1], vcc, s[0:1]
	s_andn2_b64 exec, exec, s[0:1]
	s_cbranch_execz .LBB284_29
.LBB284_21:                             ; =>This Loop Header: Depth=1
                                        ;     Child Loop BB284_24 Depth 2
                                        ;       Child Loop BB284_26 Depth 3
                                        ;       Child Loop BB284_28 Depth 3
	v_ashrrev_i32_e32 v1, 31, v0
	v_lshlrev_b64 v[6:7], 3, v[0:1]
	v_add_co_u32_e32 v2, vcc, s8, v6
	v_addc_co_u32_e32 v3, vcc, v15, v7, vcc
	global_load_dwordx2 v[2:3], v[2:3], off
	v_add_co_u32_e32 v4, vcc, s2, v6
	v_addc_co_u32_e32 v5, vcc, v14, v7, vcc
	global_load_dwordx2 v[4:5], v[4:5], off
	s_waitcnt vmcnt(1)
	v_subrev_co_u32_e32 v2, vcc, s20, v2
	v_subb_co_u32_e32 v3, vcc, v3, v16, vcc
	s_waitcnt vmcnt(0)
	v_add_co_u32_e32 v4, vcc, v4, v10
	v_addc_co_u32_e32 v5, vcc, v5, v11, vcc
	v_cmp_lt_i64_e32 vcc, v[4:5], v[2:3]
	s_and_saveexec_b64 s[4:5], vcc
	s_cbranch_execz .LBB284_20
; %bb.22:                               ;   in Loop: Header=BB284_21 Depth=1
	v_mov_b32_e32 v1, s15
	v_add_co_u32_e32 v6, vcc, s14, v6
	v_addc_co_u32_e32 v7, vcc, v1, v7, vcc
	global_load_dwordx2 v[6:7], v[6:7], off
	s_mov_b64 s[6:7], 0
	s_waitcnt vmcnt(0)
	v_mul_f32_e64 v1, v7, -v13
	v_mul_f32_e32 v17, v12, v7
	v_fmac_f32_e32 v1, v12, v6
	v_fmac_f32_e32 v17, v13, v6
	v_mul_f32_e32 v18, 0x80000000, v17
	v_mul_f32_e32 v19, 0, v1
	s_branch .LBB284_24
.LBB284_23:                             ;   in Loop: Header=BB284_24 Depth=2
	s_or_b64 exec, exec, s[22:23]
	v_add_co_u32_e32 v4, vcc, 32, v4
	v_addc_co_u32_e32 v5, vcc, 0, v5, vcc
	v_cmp_ge_i64_e32 vcc, v[4:5], v[2:3]
	s_or_b64 s[6:7], vcc, s[6:7]
	s_andn2_b64 exec, exec, s[6:7]
	s_cbranch_execz .LBB284_20
.LBB284_24:                             ;   Parent Loop BB284_21 Depth=1
                                        ; =>  This Loop Header: Depth=2
                                        ;       Child Loop BB284_26 Depth 3
                                        ;       Child Loop BB284_28 Depth 3
	v_lshlrev_b64 v[6:7], 2, v[4:5]
	v_mov_b32_e32 v9, s11
	v_add_co_u32_e32 v8, vcc, s10, v6
	v_addc_co_u32_e32 v9, vcc, v9, v7, vcc
	global_load_dword v8, v[8:9], off
	s_waitcnt vmcnt(0)
	v_subrev_u32_e32 v8, s20, v8
	v_cmp_ne_u32_e32 vcc, v8, v0
	s_and_saveexec_b64 s[22:23], vcc
	s_cbranch_execz .LBB284_23
; %bb.25:                               ;   in Loop: Header=BB284_24 Depth=2
	v_mov_b32_e32 v9, s13
	v_add_co_u32_e32 v6, vcc, s12, v6
	v_addc_co_u32_e32 v7, vcc, v9, v7, vcc
	v_ashrrev_i32_e32 v9, 31, v8
	global_load_dword v20, v[6:7], off
	v_lshlrev_b64 v[6:7], 3, v[8:9]
	v_mov_b32_e32 v8, s19
	v_add_co_u32_e32 v6, vcc, s18, v6
	v_addc_co_u32_e32 v7, vcc, v8, v7, vcc
	global_load_dword v9, v[6:7], off
	s_mov_b64 s[24:25], 0
	s_waitcnt vmcnt(1)
	v_fma_f32 v21, v1, v20, v18
.LBB284_26:                             ;   Parent Loop BB284_21 Depth=1
                                        ;     Parent Loop BB284_24 Depth=2
                                        ; =>    This Inner Loop Header: Depth=3
	s_waitcnt vmcnt(0)
	v_add_f32_e32 v8, v9, v21
	global_atomic_cmpswap v8, v[6:7], v[8:9], off glc
	s_waitcnt vmcnt(0)
	v_cmp_eq_u32_e32 vcc, v8, v9
	s_or_b64 s[24:25], vcc, s[24:25]
	v_mov_b32_e32 v9, v8
	s_andn2_b64 exec, exec, s[24:25]
	s_cbranch_execnz .LBB284_26
; %bb.27:                               ;   in Loop: Header=BB284_24 Depth=2
	s_or_b64 exec, exec, s[24:25]
	global_load_dword v9, v[6:7], off offset:4
	v_fma_f32 v20, v17, v20, v19
	s_mov_b64 s[24:25], 0
.LBB284_28:                             ;   Parent Loop BB284_21 Depth=1
                                        ;     Parent Loop BB284_24 Depth=2
                                        ; =>    This Inner Loop Header: Depth=3
	s_waitcnt vmcnt(0)
	v_add_f32_e32 v8, v9, v20
	global_atomic_cmpswap v8, v[6:7], v[8:9], off offset:4 glc
	s_waitcnt vmcnt(0)
	v_cmp_eq_u32_e32 vcc, v8, v9
	s_or_b64 s[24:25], vcc, s[24:25]
	v_mov_b32_e32 v9, v8
	s_andn2_b64 exec, exec, s[24:25]
	s_cbranch_execnz .LBB284_28
	s_branch .LBB284_23
.LBB284_29:
	s_endpgm
	.section	.rodata,"a",@progbits
	.p2align	6, 0x0
	.amdhsa_kernel _ZN9rocsparseL21csrmvt_general_kernelILj256ELj32Elif21rocsparse_complex_numIfES2_S2_EEvbbT2_NS_24const_host_device_scalarIT6_EEPKT1_S9_PKS3_PKT3_PKT4_PT5_21rocsparse_index_base_b
		.amdhsa_group_segment_fixed_size 0
		.amdhsa_private_segment_fixed_size 0
		.amdhsa_kernarg_size 328
		.amdhsa_user_sgpr_count 6
		.amdhsa_user_sgpr_private_segment_buffer 1
		.amdhsa_user_sgpr_dispatch_ptr 0
		.amdhsa_user_sgpr_queue_ptr 0
		.amdhsa_user_sgpr_kernarg_segment_ptr 1
		.amdhsa_user_sgpr_dispatch_id 0
		.amdhsa_user_sgpr_flat_scratch_init 0
		.amdhsa_user_sgpr_kernarg_preload_length 0
		.amdhsa_user_sgpr_kernarg_preload_offset 0
		.amdhsa_user_sgpr_private_segment_size 0
		.amdhsa_uses_dynamic_stack 0
		.amdhsa_system_sgpr_private_segment_wavefront_offset 0
		.amdhsa_system_sgpr_workgroup_id_x 1
		.amdhsa_system_sgpr_workgroup_id_y 0
		.amdhsa_system_sgpr_workgroup_id_z 0
		.amdhsa_system_sgpr_workgroup_info 0
		.amdhsa_system_vgpr_workitem_id 0
		.amdhsa_next_free_vgpr 24
		.amdhsa_next_free_sgpr 28
		.amdhsa_accum_offset 24
		.amdhsa_reserve_vcc 1
		.amdhsa_reserve_flat_scratch 0
		.amdhsa_float_round_mode_32 0
		.amdhsa_float_round_mode_16_64 0
		.amdhsa_float_denorm_mode_32 3
		.amdhsa_float_denorm_mode_16_64 3
		.amdhsa_dx10_clamp 1
		.amdhsa_ieee_mode 1
		.amdhsa_fp16_overflow 0
		.amdhsa_tg_split 0
		.amdhsa_exception_fp_ieee_invalid_op 0
		.amdhsa_exception_fp_denorm_src 0
		.amdhsa_exception_fp_ieee_div_zero 0
		.amdhsa_exception_fp_ieee_overflow 0
		.amdhsa_exception_fp_ieee_underflow 0
		.amdhsa_exception_fp_ieee_inexact 0
		.amdhsa_exception_int_div_zero 0
	.end_amdhsa_kernel
	.section	.text._ZN9rocsparseL21csrmvt_general_kernelILj256ELj32Elif21rocsparse_complex_numIfES2_S2_EEvbbT2_NS_24const_host_device_scalarIT6_EEPKT1_S9_PKS3_PKT3_PKT4_PT5_21rocsparse_index_base_b,"axG",@progbits,_ZN9rocsparseL21csrmvt_general_kernelILj256ELj32Elif21rocsparse_complex_numIfES2_S2_EEvbbT2_NS_24const_host_device_scalarIT6_EEPKT1_S9_PKS3_PKT3_PKT4_PT5_21rocsparse_index_base_b,comdat
.Lfunc_end284:
	.size	_ZN9rocsparseL21csrmvt_general_kernelILj256ELj32Elif21rocsparse_complex_numIfES2_S2_EEvbbT2_NS_24const_host_device_scalarIT6_EEPKT1_S9_PKS3_PKT3_PKT4_PT5_21rocsparse_index_base_b, .Lfunc_end284-_ZN9rocsparseL21csrmvt_general_kernelILj256ELj32Elif21rocsparse_complex_numIfES2_S2_EEvbbT2_NS_24const_host_device_scalarIT6_EEPKT1_S9_PKS3_PKT3_PKT4_PT5_21rocsparse_index_base_b
                                        ; -- End function
	.section	.AMDGPU.csdata,"",@progbits
; Kernel info:
; codeLenInByte = 1132
; NumSgprs: 32
; NumVgprs: 24
; NumAgprs: 0
; TotalNumVgprs: 24
; ScratchSize: 0
; MemoryBound: 0
; FloatMode: 240
; IeeeMode: 1
; LDSByteSize: 0 bytes/workgroup (compile time only)
; SGPRBlocks: 3
; VGPRBlocks: 2
; NumSGPRsForWavesPerEU: 32
; NumVGPRsForWavesPerEU: 24
; AccumOffset: 24
; Occupancy: 8
; WaveLimiterHint : 1
; COMPUTE_PGM_RSRC2:SCRATCH_EN: 0
; COMPUTE_PGM_RSRC2:USER_SGPR: 6
; COMPUTE_PGM_RSRC2:TRAP_HANDLER: 0
; COMPUTE_PGM_RSRC2:TGID_X_EN: 1
; COMPUTE_PGM_RSRC2:TGID_Y_EN: 0
; COMPUTE_PGM_RSRC2:TGID_Z_EN: 0
; COMPUTE_PGM_RSRC2:TIDIG_COMP_CNT: 0
; COMPUTE_PGM_RSRC3_GFX90A:ACCUM_OFFSET: 5
; COMPUTE_PGM_RSRC3_GFX90A:TG_SPLIT: 0
	.section	.text._ZN9rocsparseL21csrmvt_general_kernelILj256ELj64Elif21rocsparse_complex_numIfES2_S2_EEvbbT2_NS_24const_host_device_scalarIT6_EEPKT1_S9_PKS3_PKT3_PKT4_PT5_21rocsparse_index_base_b,"axG",@progbits,_ZN9rocsparseL21csrmvt_general_kernelILj256ELj64Elif21rocsparse_complex_numIfES2_S2_EEvbbT2_NS_24const_host_device_scalarIT6_EEPKT1_S9_PKS3_PKT3_PKT4_PT5_21rocsparse_index_base_b,comdat
	.globl	_ZN9rocsparseL21csrmvt_general_kernelILj256ELj64Elif21rocsparse_complex_numIfES2_S2_EEvbbT2_NS_24const_host_device_scalarIT6_EEPKT1_S9_PKS3_PKT3_PKT4_PT5_21rocsparse_index_base_b ; -- Begin function _ZN9rocsparseL21csrmvt_general_kernelILj256ELj64Elif21rocsparse_complex_numIfES2_S2_EEvbbT2_NS_24const_host_device_scalarIT6_EEPKT1_S9_PKS3_PKT3_PKT4_PT5_21rocsparse_index_base_b
	.p2align	8
	.type	_ZN9rocsparseL21csrmvt_general_kernelILj256ELj64Elif21rocsparse_complex_numIfES2_S2_EEvbbT2_NS_24const_host_device_scalarIT6_EEPKT1_S9_PKS3_PKT3_PKT4_PT5_21rocsparse_index_base_b,@function
_ZN9rocsparseL21csrmvt_general_kernelILj256ELj64Elif21rocsparse_complex_numIfES2_S2_EEvbbT2_NS_24const_host_device_scalarIT6_EEPKT1_S9_PKS3_PKT3_PKT4_PT5_21rocsparse_index_base_b: ; @_ZN9rocsparseL21csrmvt_general_kernelILj256ELj64Elif21rocsparse_complex_numIfES2_S2_EEvbbT2_NS_24const_host_device_scalarIT6_EEPKT1_S9_PKS3_PKT3_PKT4_PT5_21rocsparse_index_base_b
; %bb.0:
	s_load_dwordx2 s[20:21], s[4:5], 0x40
	s_load_dwordx4 s[16:19], s[4:5], 0x0
	s_load_dwordx4 s[0:3], s[4:5], 0x8
	s_waitcnt lgkmcnt(0)
	s_bitcmp1_b32 s21, 0
	s_cselect_b64 s[10:11], -1, 0
	s_xor_b64 s[8:9], s[10:11], -1
	s_and_b64 vcc, exec, s[10:11]
	v_mov_b32_e32 v12, s18
	s_cbranch_vccnz .LBB285_2
; %bb.1:
	v_pk_mov_b32 v[2:3], s[0:1], s[0:1] op_sel:[0,1]
	flat_load_dword v12, v[2:3]
.LBB285_2:
	s_andn2_b64 vcc, exec, s[8:9]
	v_mov_b32_e32 v13, s19
	s_cbranch_vccnz .LBB285_4
; %bb.3:
	v_pk_mov_b32 v[2:3], s[0:1], s[0:1] op_sel:[0,1]
	flat_load_dword v13, v[2:3] offset:4
.LBB285_4:
	s_waitcnt vmcnt(0) lgkmcnt(0)
	v_cmp_neq_f32_e32 vcc, 0, v12
	v_cmp_neq_f32_e64 s[0:1], 0, v13
	s_or_b64 s[0:1], vcc, s[0:1]
	s_and_saveexec_b64 s[8:9], s[0:1]
	s_cbranch_execz .LBB285_29
; %bb.5:
	s_load_dword s0, s[4:5], 0x48
	s_load_dwordx2 s[18:19], s[4:5], 0x38
	s_load_dwordx8 s[8:15], s[4:5], 0x18
	v_and_b32_e32 v1, 63, v0
	v_lshl_or_b32 v0, s6, 8, v0
	s_and_b32 s1, s16, 1
	s_waitcnt lgkmcnt(0)
	s_lshl_b32 s16, s0, 2
	v_lshrrev_b32_e32 v0, 6, v0
	s_cmp_eq_u32 s1, 0
	v_cmp_gt_i32_e64 s[0:1], s17, v0
	s_mov_b64 s[4:5], -1
	s_cbranch_scc0 .LBB285_17
; %bb.6:
	s_and_saveexec_b64 s[4:5], s[0:1]
	s_cbranch_execz .LBB285_16
; %bb.7:
	v_subrev_co_u32_e32 v14, vcc, s20, v1
	s_mov_b32 s21, 0
	v_subb_co_u32_e64 v15, s[6:7], 0, 0, vcc
	s_mov_b64 s[6:7], 0
	v_mov_b32_e32 v16, s3
	v_mov_b32_e32 v17, s9
	;; [unrolled: 1-line block ×4, first 2 shown]
	s_branch .LBB285_9
.LBB285_8:                              ;   in Loop: Header=BB285_9 Depth=1
	s_or_b64 exec, exec, s[22:23]
	v_add_u32_e32 v2, s16, v2
	v_cmp_le_i32_e32 vcc, s17, v2
	s_or_b64 s[6:7], vcc, s[6:7]
	s_andn2_b64 exec, exec, s[6:7]
	s_cbranch_execz .LBB285_16
.LBB285_9:                              ; =>This Loop Header: Depth=1
                                        ;     Child Loop BB285_11 Depth 2
                                        ;       Child Loop BB285_12 Depth 3
                                        ;       Child Loop BB285_14 Depth 3
	v_ashrrev_i32_e32 v3, 31, v2
	v_lshlrev_b64 v[8:9], 3, v[2:3]
	v_add_co_u32_e32 v4, vcc, s8, v8
	v_addc_co_u32_e32 v5, vcc, v17, v9, vcc
	global_load_dwordx2 v[4:5], v[4:5], off
	v_add_co_u32_e32 v6, vcc, s2, v8
	v_addc_co_u32_e32 v7, vcc, v16, v9, vcc
	global_load_dwordx2 v[6:7], v[6:7], off
	s_waitcnt vmcnt(1)
	v_subrev_co_u32_e32 v4, vcc, s20, v4
	v_subb_co_u32_e32 v5, vcc, v5, v18, vcc
	s_waitcnt vmcnt(0)
	v_add_co_u32_e32 v6, vcc, v6, v14
	v_addc_co_u32_e32 v7, vcc, v7, v15, vcc
	v_cmp_lt_i64_e32 vcc, v[6:7], v[4:5]
	s_and_saveexec_b64 s[22:23], vcc
	s_cbranch_execz .LBB285_8
; %bb.10:                               ;   in Loop: Header=BB285_9 Depth=1
	v_mov_b32_e32 v3, s15
	v_add_co_u32_e32 v8, vcc, s14, v8
	v_addc_co_u32_e32 v9, vcc, v3, v9, vcc
	global_load_dwordx2 v[8:9], v[8:9], off
	s_mov_b64 s[24:25], 0
	s_waitcnt vmcnt(0)
	v_mul_f32_e64 v3, v9, -v13
	v_mul_f32_e32 v19, v12, v9
	v_fmac_f32_e32 v3, v12, v8
	v_fmac_f32_e32 v19, v13, v8
	v_mul_f32_e32 v20, 0x80000000, v19
	v_mul_f32_e32 v21, 0, v3
.LBB285_11:                             ;   Parent Loop BB285_9 Depth=1
                                        ; =>  This Loop Header: Depth=2
                                        ;       Child Loop BB285_12 Depth 3
                                        ;       Child Loop BB285_14 Depth 3
	v_lshlrev_b64 v[8:9], 2, v[6:7]
	v_mov_b32_e32 v11, s11
	v_add_co_u32_e32 v10, vcc, s10, v8
	v_addc_co_u32_e32 v11, vcc, v11, v9, vcc
	global_load_dword v10, v[10:11], off
	v_mov_b32_e32 v11, s13
	v_add_co_u32_e32 v8, vcc, s12, v8
	v_addc_co_u32_e32 v9, vcc, v11, v9, vcc
	global_load_dword v22, v[8:9], off
	v_mov_b32_e32 v23, s19
	s_mov_b64 s[26:27], 0
	s_waitcnt vmcnt(1)
	v_subrev_u32_e32 v8, s20, v10
	v_ashrrev_i32_e32 v9, 31, v8
	v_lshlrev_b64 v[8:9], 3, v[8:9]
	v_add_co_u32_e32 v8, vcc, s18, v8
	v_addc_co_u32_e32 v9, vcc, v23, v9, vcc
	global_load_dword v11, v[8:9], off
	s_waitcnt vmcnt(1)
	v_fma_f32 v23, v3, v22, v20
.LBB285_12:                             ;   Parent Loop BB285_9 Depth=1
                                        ;     Parent Loop BB285_11 Depth=2
                                        ; =>    This Inner Loop Header: Depth=3
	s_waitcnt vmcnt(0)
	v_add_f32_e32 v10, v11, v23
	global_atomic_cmpswap v10, v[8:9], v[10:11], off glc
	s_waitcnt vmcnt(0)
	v_cmp_eq_u32_e32 vcc, v10, v11
	s_or_b64 s[26:27], vcc, s[26:27]
	v_mov_b32_e32 v11, v10
	s_andn2_b64 exec, exec, s[26:27]
	s_cbranch_execnz .LBB285_12
; %bb.13:                               ;   in Loop: Header=BB285_11 Depth=2
	s_or_b64 exec, exec, s[26:27]
	global_load_dword v11, v[8:9], off offset:4
	v_fma_f32 v22, v19, v22, v21
	s_mov_b64 s[26:27], 0
.LBB285_14:                             ;   Parent Loop BB285_9 Depth=1
                                        ;     Parent Loop BB285_11 Depth=2
                                        ; =>    This Inner Loop Header: Depth=3
	s_waitcnt vmcnt(0)
	v_add_f32_e32 v10, v11, v22
	global_atomic_cmpswap v10, v[8:9], v[10:11], off offset:4 glc
	s_waitcnt vmcnt(0)
	v_cmp_eq_u32_e32 vcc, v10, v11
	s_or_b64 s[26:27], vcc, s[26:27]
	v_mov_b32_e32 v11, v10
	s_andn2_b64 exec, exec, s[26:27]
	s_cbranch_execnz .LBB285_14
; %bb.15:                               ;   in Loop: Header=BB285_11 Depth=2
	s_or_b64 exec, exec, s[26:27]
	v_add_co_u32_e32 v6, vcc, 64, v6
	v_addc_co_u32_e32 v7, vcc, 0, v7, vcc
	v_cmp_ge_i64_e32 vcc, v[6:7], v[4:5]
	s_or_b64 s[24:25], vcc, s[24:25]
	s_andn2_b64 exec, exec, s[24:25]
	s_cbranch_execnz .LBB285_11
	s_branch .LBB285_8
.LBB285_16:
	s_or_b64 exec, exec, s[4:5]
	s_mov_b64 s[4:5], 0
.LBB285_17:
	s_andn2_b64 vcc, exec, s[4:5]
	s_cbranch_vccnz .LBB285_29
; %bb.18:
	s_and_b64 exec, exec, s[0:1]
	s_cbranch_execz .LBB285_29
; %bb.19:
	v_subrev_co_u32_e32 v10, vcc, s20, v1
	s_mov_b32 s4, 0
	v_subb_co_u32_e64 v11, s[0:1], 0, 0, vcc
	s_mov_b64 s[0:1], 0
	v_mov_b32_e32 v14, s3
	v_mov_b32_e32 v15, s9
	v_mov_b32_e32 v16, s4
	s_branch .LBB285_21
.LBB285_20:                             ;   in Loop: Header=BB285_21 Depth=1
	s_or_b64 exec, exec, s[4:5]
	v_add_u32_e32 v0, s16, v0
	v_cmp_le_i32_e32 vcc, s17, v0
	s_or_b64 s[0:1], vcc, s[0:1]
	s_andn2_b64 exec, exec, s[0:1]
	s_cbranch_execz .LBB285_29
.LBB285_21:                             ; =>This Loop Header: Depth=1
                                        ;     Child Loop BB285_24 Depth 2
                                        ;       Child Loop BB285_26 Depth 3
                                        ;       Child Loop BB285_28 Depth 3
	v_ashrrev_i32_e32 v1, 31, v0
	v_lshlrev_b64 v[6:7], 3, v[0:1]
	v_add_co_u32_e32 v2, vcc, s8, v6
	v_addc_co_u32_e32 v3, vcc, v15, v7, vcc
	global_load_dwordx2 v[2:3], v[2:3], off
	v_add_co_u32_e32 v4, vcc, s2, v6
	v_addc_co_u32_e32 v5, vcc, v14, v7, vcc
	global_load_dwordx2 v[4:5], v[4:5], off
	s_waitcnt vmcnt(1)
	v_subrev_co_u32_e32 v2, vcc, s20, v2
	v_subb_co_u32_e32 v3, vcc, v3, v16, vcc
	s_waitcnt vmcnt(0)
	v_add_co_u32_e32 v4, vcc, v4, v10
	v_addc_co_u32_e32 v5, vcc, v5, v11, vcc
	v_cmp_lt_i64_e32 vcc, v[4:5], v[2:3]
	s_and_saveexec_b64 s[4:5], vcc
	s_cbranch_execz .LBB285_20
; %bb.22:                               ;   in Loop: Header=BB285_21 Depth=1
	v_mov_b32_e32 v1, s15
	v_add_co_u32_e32 v6, vcc, s14, v6
	v_addc_co_u32_e32 v7, vcc, v1, v7, vcc
	global_load_dwordx2 v[6:7], v[6:7], off
	s_mov_b64 s[6:7], 0
	s_waitcnt vmcnt(0)
	v_mul_f32_e64 v1, v7, -v13
	v_mul_f32_e32 v17, v12, v7
	v_fmac_f32_e32 v1, v12, v6
	v_fmac_f32_e32 v17, v13, v6
	v_mul_f32_e32 v18, 0x80000000, v17
	v_mul_f32_e32 v19, 0, v1
	s_branch .LBB285_24
.LBB285_23:                             ;   in Loop: Header=BB285_24 Depth=2
	s_or_b64 exec, exec, s[22:23]
	v_add_co_u32_e32 v4, vcc, 64, v4
	v_addc_co_u32_e32 v5, vcc, 0, v5, vcc
	v_cmp_ge_i64_e32 vcc, v[4:5], v[2:3]
	s_or_b64 s[6:7], vcc, s[6:7]
	s_andn2_b64 exec, exec, s[6:7]
	s_cbranch_execz .LBB285_20
.LBB285_24:                             ;   Parent Loop BB285_21 Depth=1
                                        ; =>  This Loop Header: Depth=2
                                        ;       Child Loop BB285_26 Depth 3
                                        ;       Child Loop BB285_28 Depth 3
	v_lshlrev_b64 v[6:7], 2, v[4:5]
	v_mov_b32_e32 v9, s11
	v_add_co_u32_e32 v8, vcc, s10, v6
	v_addc_co_u32_e32 v9, vcc, v9, v7, vcc
	global_load_dword v8, v[8:9], off
	s_waitcnt vmcnt(0)
	v_subrev_u32_e32 v8, s20, v8
	v_cmp_ne_u32_e32 vcc, v8, v0
	s_and_saveexec_b64 s[22:23], vcc
	s_cbranch_execz .LBB285_23
; %bb.25:                               ;   in Loop: Header=BB285_24 Depth=2
	v_mov_b32_e32 v9, s13
	v_add_co_u32_e32 v6, vcc, s12, v6
	v_addc_co_u32_e32 v7, vcc, v9, v7, vcc
	v_ashrrev_i32_e32 v9, 31, v8
	global_load_dword v20, v[6:7], off
	v_lshlrev_b64 v[6:7], 3, v[8:9]
	v_mov_b32_e32 v8, s19
	v_add_co_u32_e32 v6, vcc, s18, v6
	v_addc_co_u32_e32 v7, vcc, v8, v7, vcc
	global_load_dword v9, v[6:7], off
	s_mov_b64 s[24:25], 0
	s_waitcnt vmcnt(1)
	v_fma_f32 v21, v1, v20, v18
.LBB285_26:                             ;   Parent Loop BB285_21 Depth=1
                                        ;     Parent Loop BB285_24 Depth=2
                                        ; =>    This Inner Loop Header: Depth=3
	s_waitcnt vmcnt(0)
	v_add_f32_e32 v8, v9, v21
	global_atomic_cmpswap v8, v[6:7], v[8:9], off glc
	s_waitcnt vmcnt(0)
	v_cmp_eq_u32_e32 vcc, v8, v9
	s_or_b64 s[24:25], vcc, s[24:25]
	v_mov_b32_e32 v9, v8
	s_andn2_b64 exec, exec, s[24:25]
	s_cbranch_execnz .LBB285_26
; %bb.27:                               ;   in Loop: Header=BB285_24 Depth=2
	s_or_b64 exec, exec, s[24:25]
	global_load_dword v9, v[6:7], off offset:4
	v_fma_f32 v20, v17, v20, v19
	s_mov_b64 s[24:25], 0
.LBB285_28:                             ;   Parent Loop BB285_21 Depth=1
                                        ;     Parent Loop BB285_24 Depth=2
                                        ; =>    This Inner Loop Header: Depth=3
	s_waitcnt vmcnt(0)
	v_add_f32_e32 v8, v9, v20
	global_atomic_cmpswap v8, v[6:7], v[8:9], off offset:4 glc
	s_waitcnt vmcnt(0)
	v_cmp_eq_u32_e32 vcc, v8, v9
	s_or_b64 s[24:25], vcc, s[24:25]
	v_mov_b32_e32 v9, v8
	s_andn2_b64 exec, exec, s[24:25]
	s_cbranch_execnz .LBB285_28
	s_branch .LBB285_23
.LBB285_29:
	s_endpgm
	.section	.rodata,"a",@progbits
	.p2align	6, 0x0
	.amdhsa_kernel _ZN9rocsparseL21csrmvt_general_kernelILj256ELj64Elif21rocsparse_complex_numIfES2_S2_EEvbbT2_NS_24const_host_device_scalarIT6_EEPKT1_S9_PKS3_PKT3_PKT4_PT5_21rocsparse_index_base_b
		.amdhsa_group_segment_fixed_size 0
		.amdhsa_private_segment_fixed_size 0
		.amdhsa_kernarg_size 328
		.amdhsa_user_sgpr_count 6
		.amdhsa_user_sgpr_private_segment_buffer 1
		.amdhsa_user_sgpr_dispatch_ptr 0
		.amdhsa_user_sgpr_queue_ptr 0
		.amdhsa_user_sgpr_kernarg_segment_ptr 1
		.amdhsa_user_sgpr_dispatch_id 0
		.amdhsa_user_sgpr_flat_scratch_init 0
		.amdhsa_user_sgpr_kernarg_preload_length 0
		.amdhsa_user_sgpr_kernarg_preload_offset 0
		.amdhsa_user_sgpr_private_segment_size 0
		.amdhsa_uses_dynamic_stack 0
		.amdhsa_system_sgpr_private_segment_wavefront_offset 0
		.amdhsa_system_sgpr_workgroup_id_x 1
		.amdhsa_system_sgpr_workgroup_id_y 0
		.amdhsa_system_sgpr_workgroup_id_z 0
		.amdhsa_system_sgpr_workgroup_info 0
		.amdhsa_system_vgpr_workitem_id 0
		.amdhsa_next_free_vgpr 24
		.amdhsa_next_free_sgpr 28
		.amdhsa_accum_offset 24
		.amdhsa_reserve_vcc 1
		.amdhsa_reserve_flat_scratch 0
		.amdhsa_float_round_mode_32 0
		.amdhsa_float_round_mode_16_64 0
		.amdhsa_float_denorm_mode_32 3
		.amdhsa_float_denorm_mode_16_64 3
		.amdhsa_dx10_clamp 1
		.amdhsa_ieee_mode 1
		.amdhsa_fp16_overflow 0
		.amdhsa_tg_split 0
		.amdhsa_exception_fp_ieee_invalid_op 0
		.amdhsa_exception_fp_denorm_src 0
		.amdhsa_exception_fp_ieee_div_zero 0
		.amdhsa_exception_fp_ieee_overflow 0
		.amdhsa_exception_fp_ieee_underflow 0
		.amdhsa_exception_fp_ieee_inexact 0
		.amdhsa_exception_int_div_zero 0
	.end_amdhsa_kernel
	.section	.text._ZN9rocsparseL21csrmvt_general_kernelILj256ELj64Elif21rocsparse_complex_numIfES2_S2_EEvbbT2_NS_24const_host_device_scalarIT6_EEPKT1_S9_PKS3_PKT3_PKT4_PT5_21rocsparse_index_base_b,"axG",@progbits,_ZN9rocsparseL21csrmvt_general_kernelILj256ELj64Elif21rocsparse_complex_numIfES2_S2_EEvbbT2_NS_24const_host_device_scalarIT6_EEPKT1_S9_PKS3_PKT3_PKT4_PT5_21rocsparse_index_base_b,comdat
.Lfunc_end285:
	.size	_ZN9rocsparseL21csrmvt_general_kernelILj256ELj64Elif21rocsparse_complex_numIfES2_S2_EEvbbT2_NS_24const_host_device_scalarIT6_EEPKT1_S9_PKS3_PKT3_PKT4_PT5_21rocsparse_index_base_b, .Lfunc_end285-_ZN9rocsparseL21csrmvt_general_kernelILj256ELj64Elif21rocsparse_complex_numIfES2_S2_EEvbbT2_NS_24const_host_device_scalarIT6_EEPKT1_S9_PKS3_PKT3_PKT4_PT5_21rocsparse_index_base_b
                                        ; -- End function
	.section	.AMDGPU.csdata,"",@progbits
; Kernel info:
; codeLenInByte = 1132
; NumSgprs: 32
; NumVgprs: 24
; NumAgprs: 0
; TotalNumVgprs: 24
; ScratchSize: 0
; MemoryBound: 0
; FloatMode: 240
; IeeeMode: 1
; LDSByteSize: 0 bytes/workgroup (compile time only)
; SGPRBlocks: 3
; VGPRBlocks: 2
; NumSGPRsForWavesPerEU: 32
; NumVGPRsForWavesPerEU: 24
; AccumOffset: 24
; Occupancy: 8
; WaveLimiterHint : 1
; COMPUTE_PGM_RSRC2:SCRATCH_EN: 0
; COMPUTE_PGM_RSRC2:USER_SGPR: 6
; COMPUTE_PGM_RSRC2:TRAP_HANDLER: 0
; COMPUTE_PGM_RSRC2:TGID_X_EN: 1
; COMPUTE_PGM_RSRC2:TGID_Y_EN: 0
; COMPUTE_PGM_RSRC2:TGID_Z_EN: 0
; COMPUTE_PGM_RSRC2:TIDIG_COMP_CNT: 0
; COMPUTE_PGM_RSRC3_GFX90A:ACCUM_OFFSET: 5
; COMPUTE_PGM_RSRC3_GFX90A:TG_SPLIT: 0
	.section	.text._ZN9rocsparseL21csrmvn_general_kernelILj256ELj2Ellf21rocsparse_complex_numIfES2_S2_EEvbT2_NS_24const_host_device_scalarIT6_EEPKT1_S9_PKS3_PKT3_PKT4_S6_PT5_21rocsparse_index_base_b,"axG",@progbits,_ZN9rocsparseL21csrmvn_general_kernelILj256ELj2Ellf21rocsparse_complex_numIfES2_S2_EEvbT2_NS_24const_host_device_scalarIT6_EEPKT1_S9_PKS3_PKT3_PKT4_S6_PT5_21rocsparse_index_base_b,comdat
	.globl	_ZN9rocsparseL21csrmvn_general_kernelILj256ELj2Ellf21rocsparse_complex_numIfES2_S2_EEvbT2_NS_24const_host_device_scalarIT6_EEPKT1_S9_PKS3_PKT3_PKT4_S6_PT5_21rocsparse_index_base_b ; -- Begin function _ZN9rocsparseL21csrmvn_general_kernelILj256ELj2Ellf21rocsparse_complex_numIfES2_S2_EEvbT2_NS_24const_host_device_scalarIT6_EEPKT1_S9_PKS3_PKT3_PKT4_S6_PT5_21rocsparse_index_base_b
	.p2align	8
	.type	_ZN9rocsparseL21csrmvn_general_kernelILj256ELj2Ellf21rocsparse_complex_numIfES2_S2_EEvbT2_NS_24const_host_device_scalarIT6_EEPKT1_S9_PKS3_PKT3_PKT4_S6_PT5_21rocsparse_index_base_b,@function
_ZN9rocsparseL21csrmvn_general_kernelILj256ELj2Ellf21rocsparse_complex_numIfES2_S2_EEvbT2_NS_24const_host_device_scalarIT6_EEPKT1_S9_PKS3_PKT3_PKT4_S6_PT5_21rocsparse_index_base_b: ; @_ZN9rocsparseL21csrmvn_general_kernelILj256ELj2Ellf21rocsparse_complex_numIfES2_S2_EEvbT2_NS_24const_host_device_scalarIT6_EEPKT1_S9_PKS3_PKT3_PKT4_S6_PT5_21rocsparse_index_base_b
; %bb.0:
	s_load_dwordx2 s[20:21], s[4:5], 0x50
	s_load_dwordx2 s[2:3], s[4:5], 0x40
	s_load_dwordx8 s[8:15], s[4:5], 0x8
	s_waitcnt lgkmcnt(0)
	s_bitcmp1_b32 s21, 0
	s_cselect_b64 s[0:1], -1, 0
	s_xor_b64 s[16:17], s[0:1], -1
	s_and_b64 vcc, exec, s[0:1]
	v_mov_b32_e32 v2, s10
	s_cbranch_vccnz .LBB286_2
; %bb.1:
	v_pk_mov_b32 v[2:3], s[10:11], s[10:11] op_sel:[0,1]
	flat_load_dword v2, v[2:3]
.LBB286_2:
	v_cndmask_b32_e64 v1, 0, 1, s[16:17]
	v_cmp_ne_u32_e64 s[0:1], 1, v1
	s_andn2_b64 vcc, exec, s[16:17]
	v_mov_b32_e32 v3, s11
	s_cbranch_vccz .LBB286_21
; %bb.3:
	s_and_b64 vcc, exec, s[0:1]
	v_mov_b32_e32 v4, s2
	s_cbranch_vccz .LBB286_22
.LBB286_4:
	s_and_b64 vcc, exec, s[0:1]
	v_mov_b32_e32 v5, s3
	s_cbranch_vccnz .LBB286_6
.LBB286_5:
	v_pk_mov_b32 v[6:7], s[2:3], s[2:3] op_sel:[0,1]
	flat_load_dword v5, v[6:7] offset:4
.LBB286_6:
	s_waitcnt vmcnt(0) lgkmcnt(0)
	v_or_b32_e32 v1, v2, v3
	v_and_b32_e32 v1, 0x7fffffff, v1
	v_cmp_eq_u32_e32 vcc, 0, v1
	s_mov_b64 s[0:1], -1
	s_and_saveexec_b64 s[2:3], vcc
; %bb.7:
	v_and_b32_e32 v1, 0x7fffffff, v5
	v_cmp_neq_f32_e32 vcc, 1.0, v4
	v_cmp_ne_u32_e64 s[0:1], 0, v1
	s_or_b64 s[0:1], vcc, s[0:1]
	s_orn2_b64 s[0:1], s[0:1], exec
; %bb.8:
	s_or_b64 exec, exec, s[2:3]
	s_and_saveexec_b64 s[2:3], s[0:1]
	s_cbranch_execz .LBB286_20
; %bb.9:
	v_lshl_or_b32 v1, s6, 8, v0
	v_lshrrev_b32_e32 v6, 1, v1
	v_mov_b32_e32 v7, 0
	v_cmp_gt_i64_e32 vcc, s[8:9], v[6:7]
	s_and_b64 exec, exec, vcc
	s_cbranch_execz .LBB286_20
; %bb.10:
	s_load_dword s2, s[4:5], 0x58
	s_load_dwordx2 s[6:7], s[4:5], 0x48
	s_load_dwordx4 s[16:19], s[4:5], 0x28
	s_load_dwordx2 s[0:1], s[4:5], 0x38
	v_and_b32_e32 v10, 1, v0
	v_subrev_co_u32_e32 v22, vcc, s20, v10
	s_mov_b32 s21, 0
	s_waitcnt lgkmcnt(0)
	s_lshl_b32 s24, s2, 7
	v_subb_co_u32_e64 v23, s[2:3], 0, 0, vcc
	s_brev_b32 s3, 1
	s_mov_b32 s2, s21
	v_pk_mul_f32 v[8:9], v[2:3], s[2:3]
	s_ashr_i32 s3, s20, 31
	s_mov_b32 s2, s20
	s_lshl_b64 s[2:3], s[2:3], 3
	v_mov_b32_e32 v1, v8
	s_sub_u32 s25, s0, s2
	v_and_b32_e32 v8, 0x7fffffff, v4
	s_subb_u32 s11, s1, s3
	v_cmp_ne_u32_e64 s[0:1], 0, v8
	v_cmp_neq_f32_e64 s[2:3], 0, v5
	v_mov_b32_e32 v0, v9
	v_cmp_eq_u32_e32 vcc, 1, v10
	s_or_b64 s[2:3], s[0:1], s[2:3]
	v_xor_b32_e32 v8, 0x80000000, v5
	v_mov_b32_e32 v9, v4
	s_mov_b64 s[4:5], 0
	v_mov_b32_e32 v24, s13
	v_mov_b32_e32 v25, s15
	;; [unrolled: 1-line block ×4, first 2 shown]
	s_mov_b32 s10, s21
	s_branch .LBB286_13
.LBB286_11:                             ;   in Loop: Header=BB286_13 Depth=1
	s_or_b64 exec, exec, s[0:1]
	global_store_dwordx2 v[10:11], v[12:13], off
.LBB286_12:                             ;   in Loop: Header=BB286_13 Depth=1
	s_or_b64 exec, exec, s[10:11]
	v_mov_b32_e32 v10, s21
	v_add_co_u32_e64 v6, s[0:1], s24, v6
	v_addc_co_u32_e64 v7, s[0:1], v7, v10, s[0:1]
	v_cmp_le_i64_e64 s[0:1], s[8:9], v[6:7]
	s_or_b64 s[4:5], s[0:1], s[4:5]
	s_andn2_b64 exec, exec, s[4:5]
	s_cbranch_execz .LBB286_20
.LBB286_13:                             ; =>This Loop Header: Depth=1
                                        ;     Child Loop BB286_15 Depth 2
	v_lshlrev_b64 v[10:11], 3, v[6:7]
	v_add_co_u32_e64 v12, s[0:1], s14, v10
	v_addc_co_u32_e64 v13, s[0:1], v25, v11, s[0:1]
	global_load_dwordx2 v[14:15], v[12:13], off
	v_add_co_u32_e64 v12, s[0:1], s12, v10
	v_addc_co_u32_e64 v13, s[0:1], v24, v11, s[0:1]
	global_load_dwordx2 v[16:17], v[12:13], off
	v_mov_b32_e32 v13, 0
	v_mov_b32_e32 v12, v13
	s_waitcnt vmcnt(1)
	v_subrev_co_u32_e64 v14, s[0:1], s20, v14
	v_subb_co_u32_e64 v15, s[0:1], v15, v26, s[0:1]
	s_waitcnt vmcnt(0)
	v_add_co_u32_e64 v16, s[0:1], v16, v22
	v_addc_co_u32_e64 v17, s[0:1], v17, v23, s[0:1]
	v_cmp_lt_i64_e64 s[0:1], v[16:17], v[14:15]
	s_and_saveexec_b64 s[10:11], s[0:1]
	s_cbranch_execz .LBB286_17
; %bb.14:                               ;   in Loop: Header=BB286_13 Depth=1
	v_lshlrev_b64 v[12:13], 2, v[16:17]
	v_mov_b32_e32 v19, s19
	v_add_co_u32_e64 v18, s[0:1], s18, v12
	v_addc_co_u32_e64 v19, s[0:1], v19, v13, s[0:1]
	v_lshlrev_b64 v[12:13], 3, v[16:17]
	v_mov_b32_e32 v21, s17
	v_add_co_u32_e64 v20, s[0:1], s16, v12
	v_mov_b32_e32 v12, 0
	v_addc_co_u32_e64 v21, s[0:1], v21, v13, s[0:1]
	s_mov_b64 s[22:23], 0
	v_mov_b32_e32 v13, v12
.LBB286_15:                             ;   Parent Loop BB286_13 Depth=1
                                        ; =>  This Inner Loop Header: Depth=2
	global_load_dwordx2 v[28:29], v[20:21], off
	global_load_dword v30, v[18:19], off
	s_waitcnt vmcnt(1)
	v_lshlrev_b64 v[28:29], 3, v[28:29]
	v_add_co_u32_e64 v28, s[0:1], s25, v28
	v_addc_co_u32_e64 v29, s[0:1], v27, v29, s[0:1]
	global_load_dwordx2 v[28:29], v[28:29], off
	v_add_co_u32_e64 v16, s[0:1], 2, v16
	v_addc_co_u32_e64 v17, s[0:1], 0, v17, s[0:1]
	v_add_co_u32_e64 v18, s[0:1], 8, v18
	v_addc_co_u32_e64 v19, s[0:1], 0, v19, s[0:1]
	;; [unrolled: 2-line block ×3, first 2 shown]
	s_waitcnt vmcnt(1)
	v_pk_fma_f32 v[30:31], v[2:3], v[30:31], v[0:1] op_sel_hi:[1,0,1]
	v_cmp_ge_i64_e64 s[0:1], v[16:17], v[14:15]
	s_or_b64 s[22:23], s[0:1], s[22:23]
	s_waitcnt vmcnt(0)
	v_pk_fma_f32 v[12:13], v[30:31], v[28:29], v[12:13] op_sel_hi:[1,0,1]
	v_pk_fma_f32 v[12:13], v[30:31], v[28:29], v[12:13] op_sel:[1,1,0] op_sel_hi:[0,1,1] neg_lo:[1,0,0]
	s_andn2_b64 exec, exec, s[22:23]
	s_cbranch_execnz .LBB286_15
; %bb.16:                               ;   in Loop: Header=BB286_13 Depth=1
	s_or_b64 exec, exec, s[22:23]
.LBB286_17:                             ;   in Loop: Header=BB286_13 Depth=1
	s_or_b64 exec, exec, s[10:11]
	v_mov_b32_dpp v14, v12 row_shr:1 row_mask:0xf bank_mask:0xf
	v_mov_b32_dpp v15, v13 row_shr:1 row_mask:0xf bank_mask:0xf
	s_and_saveexec_b64 s[10:11], vcc
	s_cbranch_execz .LBB286_12
; %bb.18:                               ;   in Loop: Header=BB286_13 Depth=1
	v_pk_add_f32 v[12:13], v[12:13], v[14:15]
	v_mov_b32_e32 v14, s7
	v_add_co_u32_e64 v10, s[0:1], s6, v10
	v_addc_co_u32_e64 v11, s[0:1], v14, v11, s[0:1]
	s_and_saveexec_b64 s[0:1], s[2:3]
	s_cbranch_execz .LBB286_11
; %bb.19:                               ;   in Loop: Header=BB286_13 Depth=1
	global_load_dwordx2 v[14:15], v[10:11], off
	s_waitcnt vmcnt(0)
	v_pk_fma_f32 v[12:13], v[4:5], v[14:15], v[12:13] op_sel_hi:[1,0,1]
	v_pk_fma_f32 v[12:13], v[8:9], v[14:15], v[12:13] op_sel:[0,1,0]
	s_branch .LBB286_11
.LBB286_20:
	s_endpgm
.LBB286_21:
	v_pk_mov_b32 v[4:5], s[10:11], s[10:11] op_sel:[0,1]
	flat_load_dword v3, v[4:5] offset:4
	s_and_b64 vcc, exec, s[0:1]
	v_mov_b32_e32 v4, s2
	s_cbranch_vccnz .LBB286_4
.LBB286_22:
	v_pk_mov_b32 v[4:5], s[2:3], s[2:3] op_sel:[0,1]
	flat_load_dword v4, v[4:5]
	s_and_b64 vcc, exec, s[0:1]
	v_mov_b32_e32 v5, s3
	s_cbranch_vccz .LBB286_5
	s_branch .LBB286_6
	.section	.rodata,"a",@progbits
	.p2align	6, 0x0
	.amdhsa_kernel _ZN9rocsparseL21csrmvn_general_kernelILj256ELj2Ellf21rocsparse_complex_numIfES2_S2_EEvbT2_NS_24const_host_device_scalarIT6_EEPKT1_S9_PKS3_PKT3_PKT4_S6_PT5_21rocsparse_index_base_b
		.amdhsa_group_segment_fixed_size 0
		.amdhsa_private_segment_fixed_size 0
		.amdhsa_kernarg_size 344
		.amdhsa_user_sgpr_count 6
		.amdhsa_user_sgpr_private_segment_buffer 1
		.amdhsa_user_sgpr_dispatch_ptr 0
		.amdhsa_user_sgpr_queue_ptr 0
		.amdhsa_user_sgpr_kernarg_segment_ptr 1
		.amdhsa_user_sgpr_dispatch_id 0
		.amdhsa_user_sgpr_flat_scratch_init 0
		.amdhsa_user_sgpr_kernarg_preload_length 0
		.amdhsa_user_sgpr_kernarg_preload_offset 0
		.amdhsa_user_sgpr_private_segment_size 0
		.amdhsa_uses_dynamic_stack 0
		.amdhsa_system_sgpr_private_segment_wavefront_offset 0
		.amdhsa_system_sgpr_workgroup_id_x 1
		.amdhsa_system_sgpr_workgroup_id_y 0
		.amdhsa_system_sgpr_workgroup_id_z 0
		.amdhsa_system_sgpr_workgroup_info 0
		.amdhsa_system_vgpr_workitem_id 0
		.amdhsa_next_free_vgpr 32
		.amdhsa_next_free_sgpr 26
		.amdhsa_accum_offset 32
		.amdhsa_reserve_vcc 1
		.amdhsa_reserve_flat_scratch 0
		.amdhsa_float_round_mode_32 0
		.amdhsa_float_round_mode_16_64 0
		.amdhsa_float_denorm_mode_32 3
		.amdhsa_float_denorm_mode_16_64 3
		.amdhsa_dx10_clamp 1
		.amdhsa_ieee_mode 1
		.amdhsa_fp16_overflow 0
		.amdhsa_tg_split 0
		.amdhsa_exception_fp_ieee_invalid_op 0
		.amdhsa_exception_fp_denorm_src 0
		.amdhsa_exception_fp_ieee_div_zero 0
		.amdhsa_exception_fp_ieee_overflow 0
		.amdhsa_exception_fp_ieee_underflow 0
		.amdhsa_exception_fp_ieee_inexact 0
		.amdhsa_exception_int_div_zero 0
	.end_amdhsa_kernel
	.section	.text._ZN9rocsparseL21csrmvn_general_kernelILj256ELj2Ellf21rocsparse_complex_numIfES2_S2_EEvbT2_NS_24const_host_device_scalarIT6_EEPKT1_S9_PKS3_PKT3_PKT4_S6_PT5_21rocsparse_index_base_b,"axG",@progbits,_ZN9rocsparseL21csrmvn_general_kernelILj256ELj2Ellf21rocsparse_complex_numIfES2_S2_EEvbT2_NS_24const_host_device_scalarIT6_EEPKT1_S9_PKS3_PKT3_PKT4_S6_PT5_21rocsparse_index_base_b,comdat
.Lfunc_end286:
	.size	_ZN9rocsparseL21csrmvn_general_kernelILj256ELj2Ellf21rocsparse_complex_numIfES2_S2_EEvbT2_NS_24const_host_device_scalarIT6_EEPKT1_S9_PKS3_PKT3_PKT4_S6_PT5_21rocsparse_index_base_b, .Lfunc_end286-_ZN9rocsparseL21csrmvn_general_kernelILj256ELj2Ellf21rocsparse_complex_numIfES2_S2_EEvbT2_NS_24const_host_device_scalarIT6_EEPKT1_S9_PKS3_PKT3_PKT4_S6_PT5_21rocsparse_index_base_b
                                        ; -- End function
	.section	.AMDGPU.csdata,"",@progbits
; Kernel info:
; codeLenInByte = 968
; NumSgprs: 30
; NumVgprs: 32
; NumAgprs: 0
; TotalNumVgprs: 32
; ScratchSize: 0
; MemoryBound: 0
; FloatMode: 240
; IeeeMode: 1
; LDSByteSize: 0 bytes/workgroup (compile time only)
; SGPRBlocks: 3
; VGPRBlocks: 3
; NumSGPRsForWavesPerEU: 30
; NumVGPRsForWavesPerEU: 32
; AccumOffset: 32
; Occupancy: 8
; WaveLimiterHint : 1
; COMPUTE_PGM_RSRC2:SCRATCH_EN: 0
; COMPUTE_PGM_RSRC2:USER_SGPR: 6
; COMPUTE_PGM_RSRC2:TRAP_HANDLER: 0
; COMPUTE_PGM_RSRC2:TGID_X_EN: 1
; COMPUTE_PGM_RSRC2:TGID_Y_EN: 0
; COMPUTE_PGM_RSRC2:TGID_Z_EN: 0
; COMPUTE_PGM_RSRC2:TIDIG_COMP_CNT: 0
; COMPUTE_PGM_RSRC3_GFX90A:ACCUM_OFFSET: 7
; COMPUTE_PGM_RSRC3_GFX90A:TG_SPLIT: 0
	.section	.text._ZN9rocsparseL21csrmvn_general_kernelILj256ELj4Ellf21rocsparse_complex_numIfES2_S2_EEvbT2_NS_24const_host_device_scalarIT6_EEPKT1_S9_PKS3_PKT3_PKT4_S6_PT5_21rocsparse_index_base_b,"axG",@progbits,_ZN9rocsparseL21csrmvn_general_kernelILj256ELj4Ellf21rocsparse_complex_numIfES2_S2_EEvbT2_NS_24const_host_device_scalarIT6_EEPKT1_S9_PKS3_PKT3_PKT4_S6_PT5_21rocsparse_index_base_b,comdat
	.globl	_ZN9rocsparseL21csrmvn_general_kernelILj256ELj4Ellf21rocsparse_complex_numIfES2_S2_EEvbT2_NS_24const_host_device_scalarIT6_EEPKT1_S9_PKS3_PKT3_PKT4_S6_PT5_21rocsparse_index_base_b ; -- Begin function _ZN9rocsparseL21csrmvn_general_kernelILj256ELj4Ellf21rocsparse_complex_numIfES2_S2_EEvbT2_NS_24const_host_device_scalarIT6_EEPKT1_S9_PKS3_PKT3_PKT4_S6_PT5_21rocsparse_index_base_b
	.p2align	8
	.type	_ZN9rocsparseL21csrmvn_general_kernelILj256ELj4Ellf21rocsparse_complex_numIfES2_S2_EEvbT2_NS_24const_host_device_scalarIT6_EEPKT1_S9_PKS3_PKT3_PKT4_S6_PT5_21rocsparse_index_base_b,@function
_ZN9rocsparseL21csrmvn_general_kernelILj256ELj4Ellf21rocsparse_complex_numIfES2_S2_EEvbT2_NS_24const_host_device_scalarIT6_EEPKT1_S9_PKS3_PKT3_PKT4_S6_PT5_21rocsparse_index_base_b: ; @_ZN9rocsparseL21csrmvn_general_kernelILj256ELj4Ellf21rocsparse_complex_numIfES2_S2_EEvbT2_NS_24const_host_device_scalarIT6_EEPKT1_S9_PKS3_PKT3_PKT4_S6_PT5_21rocsparse_index_base_b
; %bb.0:
	s_load_dwordx2 s[20:21], s[4:5], 0x50
	s_load_dwordx2 s[2:3], s[4:5], 0x40
	s_load_dwordx8 s[8:15], s[4:5], 0x8
	s_waitcnt lgkmcnt(0)
	s_bitcmp1_b32 s21, 0
	s_cselect_b64 s[0:1], -1, 0
	s_xor_b64 s[16:17], s[0:1], -1
	s_and_b64 vcc, exec, s[0:1]
	v_mov_b32_e32 v2, s10
	s_cbranch_vccnz .LBB287_2
; %bb.1:
	v_pk_mov_b32 v[2:3], s[10:11], s[10:11] op_sel:[0,1]
	flat_load_dword v2, v[2:3]
.LBB287_2:
	v_cndmask_b32_e64 v1, 0, 1, s[16:17]
	v_cmp_ne_u32_e64 s[0:1], 1, v1
	s_andn2_b64 vcc, exec, s[16:17]
	v_mov_b32_e32 v3, s11
	s_cbranch_vccz .LBB287_21
; %bb.3:
	s_and_b64 vcc, exec, s[0:1]
	v_mov_b32_e32 v4, s2
	s_cbranch_vccz .LBB287_22
.LBB287_4:
	s_and_b64 vcc, exec, s[0:1]
	v_mov_b32_e32 v5, s3
	s_cbranch_vccnz .LBB287_6
.LBB287_5:
	v_pk_mov_b32 v[6:7], s[2:3], s[2:3] op_sel:[0,1]
	flat_load_dword v5, v[6:7] offset:4
.LBB287_6:
	s_waitcnt vmcnt(0) lgkmcnt(0)
	v_or_b32_e32 v1, v2, v3
	v_and_b32_e32 v1, 0x7fffffff, v1
	v_cmp_eq_u32_e32 vcc, 0, v1
	s_mov_b64 s[0:1], -1
	s_and_saveexec_b64 s[2:3], vcc
; %bb.7:
	v_and_b32_e32 v1, 0x7fffffff, v5
	v_cmp_neq_f32_e32 vcc, 1.0, v4
	v_cmp_ne_u32_e64 s[0:1], 0, v1
	s_or_b64 s[0:1], vcc, s[0:1]
	s_orn2_b64 s[0:1], s[0:1], exec
; %bb.8:
	s_or_b64 exec, exec, s[2:3]
	s_and_saveexec_b64 s[2:3], s[0:1]
	s_cbranch_execz .LBB287_20
; %bb.9:
	v_lshl_or_b32 v1, s6, 8, v0
	v_lshrrev_b32_e32 v6, 2, v1
	v_mov_b32_e32 v7, 0
	v_cmp_gt_i64_e32 vcc, s[8:9], v[6:7]
	s_and_b64 exec, exec, vcc
	s_cbranch_execz .LBB287_20
; %bb.10:
	s_load_dword s2, s[4:5], 0x58
	s_load_dwordx2 s[6:7], s[4:5], 0x48
	s_load_dwordx4 s[16:19], s[4:5], 0x28
	s_load_dwordx2 s[0:1], s[4:5], 0x38
	v_and_b32_e32 v10, 3, v0
	v_subrev_co_u32_e32 v22, vcc, s20, v10
	s_mov_b32 s21, 0
	s_waitcnt lgkmcnt(0)
	s_lshl_b32 s24, s2, 6
	v_subb_co_u32_e64 v23, s[2:3], 0, 0, vcc
	s_brev_b32 s3, 1
	s_mov_b32 s2, s21
	v_pk_mul_f32 v[8:9], v[2:3], s[2:3]
	s_ashr_i32 s3, s20, 31
	s_mov_b32 s2, s20
	s_lshl_b64 s[2:3], s[2:3], 3
	v_mov_b32_e32 v1, v8
	s_sub_u32 s25, s0, s2
	v_and_b32_e32 v8, 0x7fffffff, v4
	s_subb_u32 s11, s1, s3
	v_cmp_ne_u32_e64 s[0:1], 0, v8
	v_cmp_neq_f32_e64 s[2:3], 0, v5
	v_mov_b32_e32 v0, v9
	v_cmp_eq_u32_e32 vcc, 3, v10
	s_or_b64 s[2:3], s[0:1], s[2:3]
	v_xor_b32_e32 v8, 0x80000000, v5
	v_mov_b32_e32 v9, v4
	s_mov_b64 s[4:5], 0
	v_mov_b32_e32 v24, s13
	v_mov_b32_e32 v25, s15
	;; [unrolled: 1-line block ×4, first 2 shown]
	s_mov_b32 s10, s21
	s_branch .LBB287_13
.LBB287_11:                             ;   in Loop: Header=BB287_13 Depth=1
	s_or_b64 exec, exec, s[0:1]
	global_store_dwordx2 v[10:11], v[12:13], off
.LBB287_12:                             ;   in Loop: Header=BB287_13 Depth=1
	s_or_b64 exec, exec, s[10:11]
	v_mov_b32_e32 v10, s21
	v_add_co_u32_e64 v6, s[0:1], s24, v6
	v_addc_co_u32_e64 v7, s[0:1], v7, v10, s[0:1]
	v_cmp_le_i64_e64 s[0:1], s[8:9], v[6:7]
	s_or_b64 s[4:5], s[0:1], s[4:5]
	s_andn2_b64 exec, exec, s[4:5]
	s_cbranch_execz .LBB287_20
.LBB287_13:                             ; =>This Loop Header: Depth=1
                                        ;     Child Loop BB287_15 Depth 2
	v_lshlrev_b64 v[10:11], 3, v[6:7]
	v_add_co_u32_e64 v12, s[0:1], s14, v10
	v_addc_co_u32_e64 v13, s[0:1], v25, v11, s[0:1]
	global_load_dwordx2 v[14:15], v[12:13], off
	v_add_co_u32_e64 v12, s[0:1], s12, v10
	v_addc_co_u32_e64 v13, s[0:1], v24, v11, s[0:1]
	global_load_dwordx2 v[16:17], v[12:13], off
	v_mov_b32_e32 v13, 0
	v_mov_b32_e32 v12, v13
	s_waitcnt vmcnt(1)
	v_subrev_co_u32_e64 v14, s[0:1], s20, v14
	v_subb_co_u32_e64 v15, s[0:1], v15, v26, s[0:1]
	s_waitcnt vmcnt(0)
	v_add_co_u32_e64 v16, s[0:1], v16, v22
	v_addc_co_u32_e64 v17, s[0:1], v17, v23, s[0:1]
	v_cmp_lt_i64_e64 s[0:1], v[16:17], v[14:15]
	s_and_saveexec_b64 s[10:11], s[0:1]
	s_cbranch_execz .LBB287_17
; %bb.14:                               ;   in Loop: Header=BB287_13 Depth=1
	v_lshlrev_b64 v[12:13], 2, v[16:17]
	v_mov_b32_e32 v19, s19
	v_add_co_u32_e64 v18, s[0:1], s18, v12
	v_addc_co_u32_e64 v19, s[0:1], v19, v13, s[0:1]
	v_lshlrev_b64 v[12:13], 3, v[16:17]
	v_mov_b32_e32 v21, s17
	v_add_co_u32_e64 v20, s[0:1], s16, v12
	v_mov_b32_e32 v12, 0
	v_addc_co_u32_e64 v21, s[0:1], v21, v13, s[0:1]
	s_mov_b64 s[22:23], 0
	v_mov_b32_e32 v13, v12
.LBB287_15:                             ;   Parent Loop BB287_13 Depth=1
                                        ; =>  This Inner Loop Header: Depth=2
	global_load_dwordx2 v[28:29], v[20:21], off
	global_load_dword v30, v[18:19], off
	s_waitcnt vmcnt(1)
	v_lshlrev_b64 v[28:29], 3, v[28:29]
	v_add_co_u32_e64 v28, s[0:1], s25, v28
	v_addc_co_u32_e64 v29, s[0:1], v27, v29, s[0:1]
	global_load_dwordx2 v[28:29], v[28:29], off
	v_add_co_u32_e64 v16, s[0:1], 4, v16
	v_addc_co_u32_e64 v17, s[0:1], 0, v17, s[0:1]
	v_add_co_u32_e64 v18, s[0:1], 16, v18
	v_addc_co_u32_e64 v19, s[0:1], 0, v19, s[0:1]
	;; [unrolled: 2-line block ×3, first 2 shown]
	s_waitcnt vmcnt(1)
	v_pk_fma_f32 v[30:31], v[2:3], v[30:31], v[0:1] op_sel_hi:[1,0,1]
	v_cmp_ge_i64_e64 s[0:1], v[16:17], v[14:15]
	s_or_b64 s[22:23], s[0:1], s[22:23]
	s_waitcnt vmcnt(0)
	v_pk_fma_f32 v[12:13], v[30:31], v[28:29], v[12:13] op_sel_hi:[1,0,1]
	v_pk_fma_f32 v[12:13], v[30:31], v[28:29], v[12:13] op_sel:[1,1,0] op_sel_hi:[0,1,1] neg_lo:[1,0,0]
	s_andn2_b64 exec, exec, s[22:23]
	s_cbranch_execnz .LBB287_15
; %bb.16:                               ;   in Loop: Header=BB287_13 Depth=1
	s_or_b64 exec, exec, s[22:23]
.LBB287_17:                             ;   in Loop: Header=BB287_13 Depth=1
	s_or_b64 exec, exec, s[10:11]
	v_mov_b32_dpp v14, v12 row_shr:1 row_mask:0xf bank_mask:0xf
	v_mov_b32_dpp v15, v13 row_shr:1 row_mask:0xf bank_mask:0xf
	v_pk_add_f32 v[12:13], v[12:13], v[14:15]
	s_nop 1
	v_mov_b32_dpp v14, v12 row_shr:2 row_mask:0xf bank_mask:0xf
	v_mov_b32_dpp v15, v13 row_shr:2 row_mask:0xf bank_mask:0xf
	s_and_saveexec_b64 s[10:11], vcc
	s_cbranch_execz .LBB287_12
; %bb.18:                               ;   in Loop: Header=BB287_13 Depth=1
	v_pk_add_f32 v[12:13], v[12:13], v[14:15]
	v_mov_b32_e32 v14, s7
	v_add_co_u32_e64 v10, s[0:1], s6, v10
	v_addc_co_u32_e64 v11, s[0:1], v14, v11, s[0:1]
	s_and_saveexec_b64 s[0:1], s[2:3]
	s_cbranch_execz .LBB287_11
; %bb.19:                               ;   in Loop: Header=BB287_13 Depth=1
	global_load_dwordx2 v[14:15], v[10:11], off
	s_waitcnt vmcnt(0)
	v_pk_fma_f32 v[12:13], v[4:5], v[14:15], v[12:13] op_sel_hi:[1,0,1]
	v_pk_fma_f32 v[12:13], v[8:9], v[14:15], v[12:13] op_sel:[0,1,0]
	s_branch .LBB287_11
.LBB287_20:
	s_endpgm
.LBB287_21:
	v_pk_mov_b32 v[4:5], s[10:11], s[10:11] op_sel:[0,1]
	flat_load_dword v3, v[4:5] offset:4
	s_and_b64 vcc, exec, s[0:1]
	v_mov_b32_e32 v4, s2
	s_cbranch_vccnz .LBB287_4
.LBB287_22:
	v_pk_mov_b32 v[4:5], s[2:3], s[2:3] op_sel:[0,1]
	flat_load_dword v4, v[4:5]
	s_and_b64 vcc, exec, s[0:1]
	v_mov_b32_e32 v5, s3
	s_cbranch_vccz .LBB287_5
	s_branch .LBB287_6
	.section	.rodata,"a",@progbits
	.p2align	6, 0x0
	.amdhsa_kernel _ZN9rocsparseL21csrmvn_general_kernelILj256ELj4Ellf21rocsparse_complex_numIfES2_S2_EEvbT2_NS_24const_host_device_scalarIT6_EEPKT1_S9_PKS3_PKT3_PKT4_S6_PT5_21rocsparse_index_base_b
		.amdhsa_group_segment_fixed_size 0
		.amdhsa_private_segment_fixed_size 0
		.amdhsa_kernarg_size 344
		.amdhsa_user_sgpr_count 6
		.amdhsa_user_sgpr_private_segment_buffer 1
		.amdhsa_user_sgpr_dispatch_ptr 0
		.amdhsa_user_sgpr_queue_ptr 0
		.amdhsa_user_sgpr_kernarg_segment_ptr 1
		.amdhsa_user_sgpr_dispatch_id 0
		.amdhsa_user_sgpr_flat_scratch_init 0
		.amdhsa_user_sgpr_kernarg_preload_length 0
		.amdhsa_user_sgpr_kernarg_preload_offset 0
		.amdhsa_user_sgpr_private_segment_size 0
		.amdhsa_uses_dynamic_stack 0
		.amdhsa_system_sgpr_private_segment_wavefront_offset 0
		.amdhsa_system_sgpr_workgroup_id_x 1
		.amdhsa_system_sgpr_workgroup_id_y 0
		.amdhsa_system_sgpr_workgroup_id_z 0
		.amdhsa_system_sgpr_workgroup_info 0
		.amdhsa_system_vgpr_workitem_id 0
		.amdhsa_next_free_vgpr 32
		.amdhsa_next_free_sgpr 26
		.amdhsa_accum_offset 32
		.amdhsa_reserve_vcc 1
		.amdhsa_reserve_flat_scratch 0
		.amdhsa_float_round_mode_32 0
		.amdhsa_float_round_mode_16_64 0
		.amdhsa_float_denorm_mode_32 3
		.amdhsa_float_denorm_mode_16_64 3
		.amdhsa_dx10_clamp 1
		.amdhsa_ieee_mode 1
		.amdhsa_fp16_overflow 0
		.amdhsa_tg_split 0
		.amdhsa_exception_fp_ieee_invalid_op 0
		.amdhsa_exception_fp_denorm_src 0
		.amdhsa_exception_fp_ieee_div_zero 0
		.amdhsa_exception_fp_ieee_overflow 0
		.amdhsa_exception_fp_ieee_underflow 0
		.amdhsa_exception_fp_ieee_inexact 0
		.amdhsa_exception_int_div_zero 0
	.end_amdhsa_kernel
	.section	.text._ZN9rocsparseL21csrmvn_general_kernelILj256ELj4Ellf21rocsparse_complex_numIfES2_S2_EEvbT2_NS_24const_host_device_scalarIT6_EEPKT1_S9_PKS3_PKT3_PKT4_S6_PT5_21rocsparse_index_base_b,"axG",@progbits,_ZN9rocsparseL21csrmvn_general_kernelILj256ELj4Ellf21rocsparse_complex_numIfES2_S2_EEvbT2_NS_24const_host_device_scalarIT6_EEPKT1_S9_PKS3_PKT3_PKT4_S6_PT5_21rocsparse_index_base_b,comdat
.Lfunc_end287:
	.size	_ZN9rocsparseL21csrmvn_general_kernelILj256ELj4Ellf21rocsparse_complex_numIfES2_S2_EEvbT2_NS_24const_host_device_scalarIT6_EEPKT1_S9_PKS3_PKT3_PKT4_S6_PT5_21rocsparse_index_base_b, .Lfunc_end287-_ZN9rocsparseL21csrmvn_general_kernelILj256ELj4Ellf21rocsparse_complex_numIfES2_S2_EEvbT2_NS_24const_host_device_scalarIT6_EEPKT1_S9_PKS3_PKT3_PKT4_S6_PT5_21rocsparse_index_base_b
                                        ; -- End function
	.section	.AMDGPU.csdata,"",@progbits
; Kernel info:
; codeLenInByte = 996
; NumSgprs: 30
; NumVgprs: 32
; NumAgprs: 0
; TotalNumVgprs: 32
; ScratchSize: 0
; MemoryBound: 0
; FloatMode: 240
; IeeeMode: 1
; LDSByteSize: 0 bytes/workgroup (compile time only)
; SGPRBlocks: 3
; VGPRBlocks: 3
; NumSGPRsForWavesPerEU: 30
; NumVGPRsForWavesPerEU: 32
; AccumOffset: 32
; Occupancy: 8
; WaveLimiterHint : 1
; COMPUTE_PGM_RSRC2:SCRATCH_EN: 0
; COMPUTE_PGM_RSRC2:USER_SGPR: 6
; COMPUTE_PGM_RSRC2:TRAP_HANDLER: 0
; COMPUTE_PGM_RSRC2:TGID_X_EN: 1
; COMPUTE_PGM_RSRC2:TGID_Y_EN: 0
; COMPUTE_PGM_RSRC2:TGID_Z_EN: 0
; COMPUTE_PGM_RSRC2:TIDIG_COMP_CNT: 0
; COMPUTE_PGM_RSRC3_GFX90A:ACCUM_OFFSET: 7
; COMPUTE_PGM_RSRC3_GFX90A:TG_SPLIT: 0
	.section	.text._ZN9rocsparseL21csrmvn_general_kernelILj256ELj8Ellf21rocsparse_complex_numIfES2_S2_EEvbT2_NS_24const_host_device_scalarIT6_EEPKT1_S9_PKS3_PKT3_PKT4_S6_PT5_21rocsparse_index_base_b,"axG",@progbits,_ZN9rocsparseL21csrmvn_general_kernelILj256ELj8Ellf21rocsparse_complex_numIfES2_S2_EEvbT2_NS_24const_host_device_scalarIT6_EEPKT1_S9_PKS3_PKT3_PKT4_S6_PT5_21rocsparse_index_base_b,comdat
	.globl	_ZN9rocsparseL21csrmvn_general_kernelILj256ELj8Ellf21rocsparse_complex_numIfES2_S2_EEvbT2_NS_24const_host_device_scalarIT6_EEPKT1_S9_PKS3_PKT3_PKT4_S6_PT5_21rocsparse_index_base_b ; -- Begin function _ZN9rocsparseL21csrmvn_general_kernelILj256ELj8Ellf21rocsparse_complex_numIfES2_S2_EEvbT2_NS_24const_host_device_scalarIT6_EEPKT1_S9_PKS3_PKT3_PKT4_S6_PT5_21rocsparse_index_base_b
	.p2align	8
	.type	_ZN9rocsparseL21csrmvn_general_kernelILj256ELj8Ellf21rocsparse_complex_numIfES2_S2_EEvbT2_NS_24const_host_device_scalarIT6_EEPKT1_S9_PKS3_PKT3_PKT4_S6_PT5_21rocsparse_index_base_b,@function
_ZN9rocsparseL21csrmvn_general_kernelILj256ELj8Ellf21rocsparse_complex_numIfES2_S2_EEvbT2_NS_24const_host_device_scalarIT6_EEPKT1_S9_PKS3_PKT3_PKT4_S6_PT5_21rocsparse_index_base_b: ; @_ZN9rocsparseL21csrmvn_general_kernelILj256ELj8Ellf21rocsparse_complex_numIfES2_S2_EEvbT2_NS_24const_host_device_scalarIT6_EEPKT1_S9_PKS3_PKT3_PKT4_S6_PT5_21rocsparse_index_base_b
; %bb.0:
	s_load_dwordx2 s[20:21], s[4:5], 0x50
	s_load_dwordx2 s[2:3], s[4:5], 0x40
	s_load_dwordx8 s[8:15], s[4:5], 0x8
	s_waitcnt lgkmcnt(0)
	s_bitcmp1_b32 s21, 0
	s_cselect_b64 s[0:1], -1, 0
	s_xor_b64 s[16:17], s[0:1], -1
	s_and_b64 vcc, exec, s[0:1]
	v_mov_b32_e32 v2, s10
	s_cbranch_vccnz .LBB288_2
; %bb.1:
	v_pk_mov_b32 v[2:3], s[10:11], s[10:11] op_sel:[0,1]
	flat_load_dword v2, v[2:3]
.LBB288_2:
	v_cndmask_b32_e64 v1, 0, 1, s[16:17]
	v_cmp_ne_u32_e64 s[0:1], 1, v1
	s_andn2_b64 vcc, exec, s[16:17]
	v_mov_b32_e32 v3, s11
	s_cbranch_vccz .LBB288_21
; %bb.3:
	s_and_b64 vcc, exec, s[0:1]
	v_mov_b32_e32 v4, s2
	s_cbranch_vccz .LBB288_22
.LBB288_4:
	s_and_b64 vcc, exec, s[0:1]
	v_mov_b32_e32 v5, s3
	s_cbranch_vccnz .LBB288_6
.LBB288_5:
	v_pk_mov_b32 v[6:7], s[2:3], s[2:3] op_sel:[0,1]
	flat_load_dword v5, v[6:7] offset:4
.LBB288_6:
	s_waitcnt vmcnt(0) lgkmcnt(0)
	v_or_b32_e32 v1, v2, v3
	v_and_b32_e32 v1, 0x7fffffff, v1
	v_cmp_eq_u32_e32 vcc, 0, v1
	s_mov_b64 s[0:1], -1
	s_and_saveexec_b64 s[2:3], vcc
; %bb.7:
	v_and_b32_e32 v1, 0x7fffffff, v5
	v_cmp_neq_f32_e32 vcc, 1.0, v4
	v_cmp_ne_u32_e64 s[0:1], 0, v1
	s_or_b64 s[0:1], vcc, s[0:1]
	s_orn2_b64 s[0:1], s[0:1], exec
; %bb.8:
	s_or_b64 exec, exec, s[2:3]
	s_and_saveexec_b64 s[2:3], s[0:1]
	s_cbranch_execz .LBB288_20
; %bb.9:
	v_lshl_or_b32 v1, s6, 8, v0
	v_lshrrev_b32_e32 v6, 3, v1
	v_mov_b32_e32 v7, 0
	v_cmp_gt_i64_e32 vcc, s[8:9], v[6:7]
	s_and_b64 exec, exec, vcc
	s_cbranch_execz .LBB288_20
; %bb.10:
	s_load_dword s2, s[4:5], 0x58
	s_load_dwordx2 s[6:7], s[4:5], 0x48
	s_load_dwordx4 s[16:19], s[4:5], 0x28
	s_load_dwordx2 s[0:1], s[4:5], 0x38
	v_and_b32_e32 v10, 7, v0
	v_subrev_co_u32_e32 v22, vcc, s20, v10
	s_mov_b32 s21, 0
	s_waitcnt lgkmcnt(0)
	s_lshl_b32 s24, s2, 5
	v_subb_co_u32_e64 v23, s[2:3], 0, 0, vcc
	s_brev_b32 s3, 1
	s_mov_b32 s2, s21
	v_pk_mul_f32 v[8:9], v[2:3], s[2:3]
	s_ashr_i32 s3, s20, 31
	s_mov_b32 s2, s20
	s_lshl_b64 s[2:3], s[2:3], 3
	v_mov_b32_e32 v1, v8
	s_sub_u32 s25, s0, s2
	v_and_b32_e32 v8, 0x7fffffff, v4
	s_subb_u32 s11, s1, s3
	v_cmp_ne_u32_e64 s[0:1], 0, v8
	v_cmp_neq_f32_e64 s[2:3], 0, v5
	v_mov_b32_e32 v0, v9
	v_cmp_eq_u32_e32 vcc, 7, v10
	s_or_b64 s[2:3], s[0:1], s[2:3]
	v_xor_b32_e32 v8, 0x80000000, v5
	v_mov_b32_e32 v9, v4
	s_mov_b64 s[4:5], 0
	v_mov_b32_e32 v24, s13
	v_mov_b32_e32 v25, s15
	;; [unrolled: 1-line block ×4, first 2 shown]
	s_mov_b32 s10, s21
	s_branch .LBB288_13
.LBB288_11:                             ;   in Loop: Header=BB288_13 Depth=1
	s_or_b64 exec, exec, s[0:1]
	global_store_dwordx2 v[10:11], v[12:13], off
.LBB288_12:                             ;   in Loop: Header=BB288_13 Depth=1
	s_or_b64 exec, exec, s[10:11]
	v_mov_b32_e32 v10, s21
	v_add_co_u32_e64 v6, s[0:1], s24, v6
	v_addc_co_u32_e64 v7, s[0:1], v7, v10, s[0:1]
	v_cmp_le_i64_e64 s[0:1], s[8:9], v[6:7]
	s_or_b64 s[4:5], s[0:1], s[4:5]
	s_andn2_b64 exec, exec, s[4:5]
	s_cbranch_execz .LBB288_20
.LBB288_13:                             ; =>This Loop Header: Depth=1
                                        ;     Child Loop BB288_15 Depth 2
	v_lshlrev_b64 v[10:11], 3, v[6:7]
	v_add_co_u32_e64 v12, s[0:1], s14, v10
	v_addc_co_u32_e64 v13, s[0:1], v25, v11, s[0:1]
	global_load_dwordx2 v[14:15], v[12:13], off
	v_add_co_u32_e64 v12, s[0:1], s12, v10
	v_addc_co_u32_e64 v13, s[0:1], v24, v11, s[0:1]
	global_load_dwordx2 v[16:17], v[12:13], off
	v_mov_b32_e32 v13, 0
	v_mov_b32_e32 v12, v13
	s_waitcnt vmcnt(1)
	v_subrev_co_u32_e64 v14, s[0:1], s20, v14
	v_subb_co_u32_e64 v15, s[0:1], v15, v26, s[0:1]
	s_waitcnt vmcnt(0)
	v_add_co_u32_e64 v16, s[0:1], v16, v22
	v_addc_co_u32_e64 v17, s[0:1], v17, v23, s[0:1]
	v_cmp_lt_i64_e64 s[0:1], v[16:17], v[14:15]
	s_and_saveexec_b64 s[10:11], s[0:1]
	s_cbranch_execz .LBB288_17
; %bb.14:                               ;   in Loop: Header=BB288_13 Depth=1
	v_lshlrev_b64 v[12:13], 2, v[16:17]
	v_mov_b32_e32 v19, s19
	v_add_co_u32_e64 v18, s[0:1], s18, v12
	v_addc_co_u32_e64 v19, s[0:1], v19, v13, s[0:1]
	v_lshlrev_b64 v[12:13], 3, v[16:17]
	v_mov_b32_e32 v21, s17
	v_add_co_u32_e64 v20, s[0:1], s16, v12
	v_mov_b32_e32 v12, 0
	v_addc_co_u32_e64 v21, s[0:1], v21, v13, s[0:1]
	s_mov_b64 s[22:23], 0
	v_mov_b32_e32 v13, v12
.LBB288_15:                             ;   Parent Loop BB288_13 Depth=1
                                        ; =>  This Inner Loop Header: Depth=2
	global_load_dwordx2 v[28:29], v[20:21], off
	global_load_dword v30, v[18:19], off
	s_waitcnt vmcnt(1)
	v_lshlrev_b64 v[28:29], 3, v[28:29]
	v_add_co_u32_e64 v28, s[0:1], s25, v28
	v_addc_co_u32_e64 v29, s[0:1], v27, v29, s[0:1]
	global_load_dwordx2 v[28:29], v[28:29], off
	v_add_co_u32_e64 v16, s[0:1], 8, v16
	v_addc_co_u32_e64 v17, s[0:1], 0, v17, s[0:1]
	v_add_co_u32_e64 v18, s[0:1], 32, v18
	v_addc_co_u32_e64 v19, s[0:1], 0, v19, s[0:1]
	;; [unrolled: 2-line block ×3, first 2 shown]
	s_waitcnt vmcnt(1)
	v_pk_fma_f32 v[30:31], v[2:3], v[30:31], v[0:1] op_sel_hi:[1,0,1]
	v_cmp_ge_i64_e64 s[0:1], v[16:17], v[14:15]
	s_or_b64 s[22:23], s[0:1], s[22:23]
	s_waitcnt vmcnt(0)
	v_pk_fma_f32 v[12:13], v[30:31], v[28:29], v[12:13] op_sel_hi:[1,0,1]
	v_pk_fma_f32 v[12:13], v[30:31], v[28:29], v[12:13] op_sel:[1,1,0] op_sel_hi:[0,1,1] neg_lo:[1,0,0]
	s_andn2_b64 exec, exec, s[22:23]
	s_cbranch_execnz .LBB288_15
; %bb.16:                               ;   in Loop: Header=BB288_13 Depth=1
	s_or_b64 exec, exec, s[22:23]
.LBB288_17:                             ;   in Loop: Header=BB288_13 Depth=1
	s_or_b64 exec, exec, s[10:11]
	v_mov_b32_dpp v14, v12 row_shr:1 row_mask:0xf bank_mask:0xf
	v_mov_b32_dpp v15, v13 row_shr:1 row_mask:0xf bank_mask:0xf
	v_pk_add_f32 v[12:13], v[12:13], v[14:15]
	s_nop 1
	v_mov_b32_dpp v14, v12 row_shr:2 row_mask:0xf bank_mask:0xf
	v_mov_b32_dpp v15, v13 row_shr:2 row_mask:0xf bank_mask:0xf
	v_pk_add_f32 v[12:13], v[12:13], v[14:15]
	s_nop 1
	v_mov_b32_dpp v14, v12 row_shr:4 row_mask:0xf bank_mask:0xe
	v_mov_b32_dpp v15, v13 row_shr:4 row_mask:0xf bank_mask:0xe
	s_and_saveexec_b64 s[10:11], vcc
	s_cbranch_execz .LBB288_12
; %bb.18:                               ;   in Loop: Header=BB288_13 Depth=1
	v_pk_add_f32 v[12:13], v[12:13], v[14:15]
	v_mov_b32_e32 v14, s7
	v_add_co_u32_e64 v10, s[0:1], s6, v10
	v_addc_co_u32_e64 v11, s[0:1], v14, v11, s[0:1]
	s_and_saveexec_b64 s[0:1], s[2:3]
	s_cbranch_execz .LBB288_11
; %bb.19:                               ;   in Loop: Header=BB288_13 Depth=1
	global_load_dwordx2 v[14:15], v[10:11], off
	s_waitcnt vmcnt(0)
	v_pk_fma_f32 v[12:13], v[4:5], v[14:15], v[12:13] op_sel_hi:[1,0,1]
	v_pk_fma_f32 v[12:13], v[8:9], v[14:15], v[12:13] op_sel:[0,1,0]
	s_branch .LBB288_11
.LBB288_20:
	s_endpgm
.LBB288_21:
	v_pk_mov_b32 v[4:5], s[10:11], s[10:11] op_sel:[0,1]
	flat_load_dword v3, v[4:5] offset:4
	s_and_b64 vcc, exec, s[0:1]
	v_mov_b32_e32 v4, s2
	s_cbranch_vccnz .LBB288_4
.LBB288_22:
	v_pk_mov_b32 v[4:5], s[2:3], s[2:3] op_sel:[0,1]
	flat_load_dword v4, v[4:5]
	s_and_b64 vcc, exec, s[0:1]
	v_mov_b32_e32 v5, s3
	s_cbranch_vccz .LBB288_5
	s_branch .LBB288_6
	.section	.rodata,"a",@progbits
	.p2align	6, 0x0
	.amdhsa_kernel _ZN9rocsparseL21csrmvn_general_kernelILj256ELj8Ellf21rocsparse_complex_numIfES2_S2_EEvbT2_NS_24const_host_device_scalarIT6_EEPKT1_S9_PKS3_PKT3_PKT4_S6_PT5_21rocsparse_index_base_b
		.amdhsa_group_segment_fixed_size 0
		.amdhsa_private_segment_fixed_size 0
		.amdhsa_kernarg_size 344
		.amdhsa_user_sgpr_count 6
		.amdhsa_user_sgpr_private_segment_buffer 1
		.amdhsa_user_sgpr_dispatch_ptr 0
		.amdhsa_user_sgpr_queue_ptr 0
		.amdhsa_user_sgpr_kernarg_segment_ptr 1
		.amdhsa_user_sgpr_dispatch_id 0
		.amdhsa_user_sgpr_flat_scratch_init 0
		.amdhsa_user_sgpr_kernarg_preload_length 0
		.amdhsa_user_sgpr_kernarg_preload_offset 0
		.amdhsa_user_sgpr_private_segment_size 0
		.amdhsa_uses_dynamic_stack 0
		.amdhsa_system_sgpr_private_segment_wavefront_offset 0
		.amdhsa_system_sgpr_workgroup_id_x 1
		.amdhsa_system_sgpr_workgroup_id_y 0
		.amdhsa_system_sgpr_workgroup_id_z 0
		.amdhsa_system_sgpr_workgroup_info 0
		.amdhsa_system_vgpr_workitem_id 0
		.amdhsa_next_free_vgpr 32
		.amdhsa_next_free_sgpr 26
		.amdhsa_accum_offset 32
		.amdhsa_reserve_vcc 1
		.amdhsa_reserve_flat_scratch 0
		.amdhsa_float_round_mode_32 0
		.amdhsa_float_round_mode_16_64 0
		.amdhsa_float_denorm_mode_32 3
		.amdhsa_float_denorm_mode_16_64 3
		.amdhsa_dx10_clamp 1
		.amdhsa_ieee_mode 1
		.amdhsa_fp16_overflow 0
		.amdhsa_tg_split 0
		.amdhsa_exception_fp_ieee_invalid_op 0
		.amdhsa_exception_fp_denorm_src 0
		.amdhsa_exception_fp_ieee_div_zero 0
		.amdhsa_exception_fp_ieee_overflow 0
		.amdhsa_exception_fp_ieee_underflow 0
		.amdhsa_exception_fp_ieee_inexact 0
		.amdhsa_exception_int_div_zero 0
	.end_amdhsa_kernel
	.section	.text._ZN9rocsparseL21csrmvn_general_kernelILj256ELj8Ellf21rocsparse_complex_numIfES2_S2_EEvbT2_NS_24const_host_device_scalarIT6_EEPKT1_S9_PKS3_PKT3_PKT4_S6_PT5_21rocsparse_index_base_b,"axG",@progbits,_ZN9rocsparseL21csrmvn_general_kernelILj256ELj8Ellf21rocsparse_complex_numIfES2_S2_EEvbT2_NS_24const_host_device_scalarIT6_EEPKT1_S9_PKS3_PKT3_PKT4_S6_PT5_21rocsparse_index_base_b,comdat
.Lfunc_end288:
	.size	_ZN9rocsparseL21csrmvn_general_kernelILj256ELj8Ellf21rocsparse_complex_numIfES2_S2_EEvbT2_NS_24const_host_device_scalarIT6_EEPKT1_S9_PKS3_PKT3_PKT4_S6_PT5_21rocsparse_index_base_b, .Lfunc_end288-_ZN9rocsparseL21csrmvn_general_kernelILj256ELj8Ellf21rocsparse_complex_numIfES2_S2_EEvbT2_NS_24const_host_device_scalarIT6_EEPKT1_S9_PKS3_PKT3_PKT4_S6_PT5_21rocsparse_index_base_b
                                        ; -- End function
	.section	.AMDGPU.csdata,"",@progbits
; Kernel info:
; codeLenInByte = 1024
; NumSgprs: 30
; NumVgprs: 32
; NumAgprs: 0
; TotalNumVgprs: 32
; ScratchSize: 0
; MemoryBound: 0
; FloatMode: 240
; IeeeMode: 1
; LDSByteSize: 0 bytes/workgroup (compile time only)
; SGPRBlocks: 3
; VGPRBlocks: 3
; NumSGPRsForWavesPerEU: 30
; NumVGPRsForWavesPerEU: 32
; AccumOffset: 32
; Occupancy: 8
; WaveLimiterHint : 1
; COMPUTE_PGM_RSRC2:SCRATCH_EN: 0
; COMPUTE_PGM_RSRC2:USER_SGPR: 6
; COMPUTE_PGM_RSRC2:TRAP_HANDLER: 0
; COMPUTE_PGM_RSRC2:TGID_X_EN: 1
; COMPUTE_PGM_RSRC2:TGID_Y_EN: 0
; COMPUTE_PGM_RSRC2:TGID_Z_EN: 0
; COMPUTE_PGM_RSRC2:TIDIG_COMP_CNT: 0
; COMPUTE_PGM_RSRC3_GFX90A:ACCUM_OFFSET: 7
; COMPUTE_PGM_RSRC3_GFX90A:TG_SPLIT: 0
	.section	.text._ZN9rocsparseL21csrmvn_general_kernelILj256ELj16Ellf21rocsparse_complex_numIfES2_S2_EEvbT2_NS_24const_host_device_scalarIT6_EEPKT1_S9_PKS3_PKT3_PKT4_S6_PT5_21rocsparse_index_base_b,"axG",@progbits,_ZN9rocsparseL21csrmvn_general_kernelILj256ELj16Ellf21rocsparse_complex_numIfES2_S2_EEvbT2_NS_24const_host_device_scalarIT6_EEPKT1_S9_PKS3_PKT3_PKT4_S6_PT5_21rocsparse_index_base_b,comdat
	.globl	_ZN9rocsparseL21csrmvn_general_kernelILj256ELj16Ellf21rocsparse_complex_numIfES2_S2_EEvbT2_NS_24const_host_device_scalarIT6_EEPKT1_S9_PKS3_PKT3_PKT4_S6_PT5_21rocsparse_index_base_b ; -- Begin function _ZN9rocsparseL21csrmvn_general_kernelILj256ELj16Ellf21rocsparse_complex_numIfES2_S2_EEvbT2_NS_24const_host_device_scalarIT6_EEPKT1_S9_PKS3_PKT3_PKT4_S6_PT5_21rocsparse_index_base_b
	.p2align	8
	.type	_ZN9rocsparseL21csrmvn_general_kernelILj256ELj16Ellf21rocsparse_complex_numIfES2_S2_EEvbT2_NS_24const_host_device_scalarIT6_EEPKT1_S9_PKS3_PKT3_PKT4_S6_PT5_21rocsparse_index_base_b,@function
_ZN9rocsparseL21csrmvn_general_kernelILj256ELj16Ellf21rocsparse_complex_numIfES2_S2_EEvbT2_NS_24const_host_device_scalarIT6_EEPKT1_S9_PKS3_PKT3_PKT4_S6_PT5_21rocsparse_index_base_b: ; @_ZN9rocsparseL21csrmvn_general_kernelILj256ELj16Ellf21rocsparse_complex_numIfES2_S2_EEvbT2_NS_24const_host_device_scalarIT6_EEPKT1_S9_PKS3_PKT3_PKT4_S6_PT5_21rocsparse_index_base_b
; %bb.0:
	s_load_dwordx2 s[20:21], s[4:5], 0x50
	s_load_dwordx2 s[2:3], s[4:5], 0x40
	s_load_dwordx8 s[8:15], s[4:5], 0x8
	s_waitcnt lgkmcnt(0)
	s_bitcmp1_b32 s21, 0
	s_cselect_b64 s[0:1], -1, 0
	s_xor_b64 s[16:17], s[0:1], -1
	s_and_b64 vcc, exec, s[0:1]
	v_mov_b32_e32 v2, s10
	s_cbranch_vccnz .LBB289_2
; %bb.1:
	v_pk_mov_b32 v[2:3], s[10:11], s[10:11] op_sel:[0,1]
	flat_load_dword v2, v[2:3]
.LBB289_2:
	v_cndmask_b32_e64 v1, 0, 1, s[16:17]
	v_cmp_ne_u32_e64 s[0:1], 1, v1
	s_andn2_b64 vcc, exec, s[16:17]
	v_mov_b32_e32 v3, s11
	s_cbranch_vccz .LBB289_21
; %bb.3:
	s_and_b64 vcc, exec, s[0:1]
	v_mov_b32_e32 v4, s2
	s_cbranch_vccz .LBB289_22
.LBB289_4:
	s_and_b64 vcc, exec, s[0:1]
	v_mov_b32_e32 v5, s3
	s_cbranch_vccnz .LBB289_6
.LBB289_5:
	v_pk_mov_b32 v[6:7], s[2:3], s[2:3] op_sel:[0,1]
	flat_load_dword v5, v[6:7] offset:4
.LBB289_6:
	s_waitcnt vmcnt(0) lgkmcnt(0)
	v_or_b32_e32 v1, v2, v3
	v_and_b32_e32 v1, 0x7fffffff, v1
	v_cmp_eq_u32_e32 vcc, 0, v1
	s_mov_b64 s[0:1], -1
	s_and_saveexec_b64 s[2:3], vcc
; %bb.7:
	v_and_b32_e32 v1, 0x7fffffff, v5
	v_cmp_neq_f32_e32 vcc, 1.0, v4
	v_cmp_ne_u32_e64 s[0:1], 0, v1
	s_or_b64 s[0:1], vcc, s[0:1]
	s_orn2_b64 s[0:1], s[0:1], exec
; %bb.8:
	s_or_b64 exec, exec, s[2:3]
	s_and_saveexec_b64 s[2:3], s[0:1]
	s_cbranch_execz .LBB289_20
; %bb.9:
	v_lshl_or_b32 v1, s6, 8, v0
	v_lshrrev_b32_e32 v6, 4, v1
	v_mov_b32_e32 v7, 0
	v_cmp_gt_i64_e32 vcc, s[8:9], v[6:7]
	s_and_b64 exec, exec, vcc
	s_cbranch_execz .LBB289_20
; %bb.10:
	s_load_dword s2, s[4:5], 0x58
	s_load_dwordx2 s[6:7], s[4:5], 0x48
	s_load_dwordx4 s[16:19], s[4:5], 0x28
	s_load_dwordx2 s[0:1], s[4:5], 0x38
	v_and_b32_e32 v10, 15, v0
	v_subrev_co_u32_e32 v22, vcc, s20, v10
	s_mov_b32 s21, 0
	s_waitcnt lgkmcnt(0)
	s_lshl_b32 s24, s2, 4
	v_subb_co_u32_e64 v23, s[2:3], 0, 0, vcc
	v_mov_b32_e32 v8, v3
	v_mov_b32_e32 v9, v2
	s_brev_b32 s2, 1
	s_mov_b32 s3, s21
	v_pk_mul_f32 v[0:1], v[8:9], s[2:3]
	s_ashr_i32 s3, s20, 31
	s_mov_b32 s2, s20
	s_lshl_b64 s[2:3], s[2:3], 3
	s_sub_u32 s25, s0, s2
	v_and_b32_e32 v8, 0x7fffffff, v4
	s_subb_u32 s11, s1, s3
	v_cmp_ne_u32_e32 vcc, 0, v8
	v_cmp_neq_f32_e64 s[2:3], 0, v5
	v_cmp_eq_u32_e64 s[0:1], 15, v10
	s_or_b64 s[2:3], vcc, s[2:3]
	v_xor_b32_e32 v8, 0x80000000, v5
	v_mov_b32_e32 v9, v4
	s_mov_b64 s[4:5], 0
	v_mov_b32_e32 v24, s13
	v_mov_b32_e32 v25, s15
	;; [unrolled: 1-line block ×4, first 2 shown]
	s_mov_b32 s10, s21
	s_branch .LBB289_13
.LBB289_11:                             ;   in Loop: Header=BB289_13 Depth=1
	s_or_b64 exec, exec, s[22:23]
	global_store_dwordx2 v[10:11], v[12:13], off
.LBB289_12:                             ;   in Loop: Header=BB289_13 Depth=1
	s_or_b64 exec, exec, s[10:11]
	v_mov_b32_e32 v10, s21
	v_add_co_u32_e32 v6, vcc, s24, v6
	v_addc_co_u32_e32 v7, vcc, v7, v10, vcc
	v_cmp_le_i64_e32 vcc, s[8:9], v[6:7]
	s_or_b64 s[4:5], vcc, s[4:5]
	s_andn2_b64 exec, exec, s[4:5]
	s_cbranch_execz .LBB289_20
.LBB289_13:                             ; =>This Loop Header: Depth=1
                                        ;     Child Loop BB289_15 Depth 2
	v_lshlrev_b64 v[10:11], 3, v[6:7]
	v_add_co_u32_e32 v12, vcc, s14, v10
	v_addc_co_u32_e32 v13, vcc, v25, v11, vcc
	global_load_dwordx2 v[14:15], v[12:13], off
	v_add_co_u32_e32 v12, vcc, s12, v10
	v_addc_co_u32_e32 v13, vcc, v24, v11, vcc
	global_load_dwordx2 v[16:17], v[12:13], off
	v_mov_b32_e32 v13, 0
	v_mov_b32_e32 v12, v13
	s_waitcnt vmcnt(1)
	v_subrev_co_u32_e32 v14, vcc, s20, v14
	v_subb_co_u32_e32 v15, vcc, v15, v26, vcc
	s_waitcnt vmcnt(0)
	v_add_co_u32_e32 v16, vcc, v16, v22
	v_addc_co_u32_e32 v17, vcc, v17, v23, vcc
	v_cmp_lt_i64_e32 vcc, v[16:17], v[14:15]
	s_and_saveexec_b64 s[10:11], vcc
	s_cbranch_execz .LBB289_17
; %bb.14:                               ;   in Loop: Header=BB289_13 Depth=1
	v_lshlrev_b64 v[12:13], 2, v[16:17]
	v_mov_b32_e32 v19, s19
	v_add_co_u32_e32 v18, vcc, s18, v12
	v_addc_co_u32_e32 v19, vcc, v19, v13, vcc
	v_lshlrev_b64 v[12:13], 3, v[16:17]
	v_mov_b32_e32 v21, s17
	v_add_co_u32_e32 v20, vcc, s16, v12
	v_mov_b32_e32 v12, 0
	v_addc_co_u32_e32 v21, vcc, v21, v13, vcc
	s_mov_b64 s[22:23], 0
	v_mov_b32_e32 v13, v12
.LBB289_15:                             ;   Parent Loop BB289_13 Depth=1
                                        ; =>  This Inner Loop Header: Depth=2
	global_load_dwordx2 v[28:29], v[20:21], off
	global_load_dword v30, v[18:19], off
	s_waitcnt vmcnt(1)
	v_lshlrev_b64 v[28:29], 3, v[28:29]
	v_add_co_u32_e32 v28, vcc, s25, v28
	v_addc_co_u32_e32 v29, vcc, v27, v29, vcc
	global_load_dwordx2 v[28:29], v[28:29], off
	v_add_co_u32_e32 v16, vcc, 16, v16
	v_addc_co_u32_e32 v17, vcc, 0, v17, vcc
	v_add_co_u32_e32 v18, vcc, 64, v18
	v_addc_co_u32_e32 v19, vcc, 0, v19, vcc
	;; [unrolled: 2-line block ×3, first 2 shown]
	s_waitcnt vmcnt(1)
	v_pk_fma_f32 v[30:31], v[2:3], v[30:31], v[0:1] op_sel_hi:[1,0,1]
	v_cmp_ge_i64_e32 vcc, v[16:17], v[14:15]
	s_or_b64 s[22:23], vcc, s[22:23]
	s_waitcnt vmcnt(0)
	v_pk_fma_f32 v[12:13], v[30:31], v[28:29], v[12:13] op_sel_hi:[1,0,1]
	v_pk_fma_f32 v[12:13], v[30:31], v[28:29], v[12:13] op_sel:[1,1,0] op_sel_hi:[0,1,1] neg_lo:[1,0,0]
	s_andn2_b64 exec, exec, s[22:23]
	s_cbranch_execnz .LBB289_15
; %bb.16:                               ;   in Loop: Header=BB289_13 Depth=1
	s_or_b64 exec, exec, s[22:23]
.LBB289_17:                             ;   in Loop: Header=BB289_13 Depth=1
	s_or_b64 exec, exec, s[10:11]
	v_mov_b32_dpp v14, v12 row_shr:1 row_mask:0xf bank_mask:0xf
	v_mov_b32_dpp v15, v13 row_shr:1 row_mask:0xf bank_mask:0xf
	v_pk_add_f32 v[12:13], v[12:13], v[14:15]
	s_nop 1
	v_mov_b32_dpp v14, v12 row_shr:2 row_mask:0xf bank_mask:0xf
	v_mov_b32_dpp v15, v13 row_shr:2 row_mask:0xf bank_mask:0xf
	v_pk_add_f32 v[12:13], v[12:13], v[14:15]
	s_nop 1
	v_mov_b32_dpp v14, v12 row_shr:4 row_mask:0xf bank_mask:0xe
	v_mov_b32_dpp v15, v13 row_shr:4 row_mask:0xf bank_mask:0xe
	v_pk_add_f32 v[12:13], v[12:13], v[14:15]
	s_nop 1
	v_mov_b32_dpp v14, v12 row_shr:8 row_mask:0xf bank_mask:0xc
	v_mov_b32_dpp v15, v13 row_shr:8 row_mask:0xf bank_mask:0xc
	s_and_saveexec_b64 s[10:11], s[0:1]
	s_cbranch_execz .LBB289_12
; %bb.18:                               ;   in Loop: Header=BB289_13 Depth=1
	v_pk_add_f32 v[12:13], v[12:13], v[14:15]
	v_mov_b32_e32 v14, s7
	v_add_co_u32_e32 v10, vcc, s6, v10
	v_addc_co_u32_e32 v11, vcc, v14, v11, vcc
	s_and_saveexec_b64 s[22:23], s[2:3]
	s_cbranch_execz .LBB289_11
; %bb.19:                               ;   in Loop: Header=BB289_13 Depth=1
	global_load_dwordx2 v[14:15], v[10:11], off
	s_waitcnt vmcnt(0)
	v_pk_fma_f32 v[12:13], v[4:5], v[14:15], v[12:13] op_sel_hi:[1,0,1]
	v_pk_fma_f32 v[12:13], v[8:9], v[14:15], v[12:13] op_sel:[0,1,0]
	s_branch .LBB289_11
.LBB289_20:
	s_endpgm
.LBB289_21:
	v_pk_mov_b32 v[4:5], s[10:11], s[10:11] op_sel:[0,1]
	flat_load_dword v3, v[4:5] offset:4
	s_and_b64 vcc, exec, s[0:1]
	v_mov_b32_e32 v4, s2
	s_cbranch_vccnz .LBB289_4
.LBB289_22:
	v_pk_mov_b32 v[4:5], s[2:3], s[2:3] op_sel:[0,1]
	flat_load_dword v4, v[4:5]
	s_and_b64 vcc, exec, s[0:1]
	v_mov_b32_e32 v5, s3
	s_cbranch_vccz .LBB289_5
	s_branch .LBB289_6
	.section	.rodata,"a",@progbits
	.p2align	6, 0x0
	.amdhsa_kernel _ZN9rocsparseL21csrmvn_general_kernelILj256ELj16Ellf21rocsparse_complex_numIfES2_S2_EEvbT2_NS_24const_host_device_scalarIT6_EEPKT1_S9_PKS3_PKT3_PKT4_S6_PT5_21rocsparse_index_base_b
		.amdhsa_group_segment_fixed_size 0
		.amdhsa_private_segment_fixed_size 0
		.amdhsa_kernarg_size 344
		.amdhsa_user_sgpr_count 6
		.amdhsa_user_sgpr_private_segment_buffer 1
		.amdhsa_user_sgpr_dispatch_ptr 0
		.amdhsa_user_sgpr_queue_ptr 0
		.amdhsa_user_sgpr_kernarg_segment_ptr 1
		.amdhsa_user_sgpr_dispatch_id 0
		.amdhsa_user_sgpr_flat_scratch_init 0
		.amdhsa_user_sgpr_kernarg_preload_length 0
		.amdhsa_user_sgpr_kernarg_preload_offset 0
		.amdhsa_user_sgpr_private_segment_size 0
		.amdhsa_uses_dynamic_stack 0
		.amdhsa_system_sgpr_private_segment_wavefront_offset 0
		.amdhsa_system_sgpr_workgroup_id_x 1
		.amdhsa_system_sgpr_workgroup_id_y 0
		.amdhsa_system_sgpr_workgroup_id_z 0
		.amdhsa_system_sgpr_workgroup_info 0
		.amdhsa_system_vgpr_workitem_id 0
		.amdhsa_next_free_vgpr 32
		.amdhsa_next_free_sgpr 26
		.amdhsa_accum_offset 32
		.amdhsa_reserve_vcc 1
		.amdhsa_reserve_flat_scratch 0
		.amdhsa_float_round_mode_32 0
		.amdhsa_float_round_mode_16_64 0
		.amdhsa_float_denorm_mode_32 3
		.amdhsa_float_denorm_mode_16_64 3
		.amdhsa_dx10_clamp 1
		.amdhsa_ieee_mode 1
		.amdhsa_fp16_overflow 0
		.amdhsa_tg_split 0
		.amdhsa_exception_fp_ieee_invalid_op 0
		.amdhsa_exception_fp_denorm_src 0
		.amdhsa_exception_fp_ieee_div_zero 0
		.amdhsa_exception_fp_ieee_overflow 0
		.amdhsa_exception_fp_ieee_underflow 0
		.amdhsa_exception_fp_ieee_inexact 0
		.amdhsa_exception_int_div_zero 0
	.end_amdhsa_kernel
	.section	.text._ZN9rocsparseL21csrmvn_general_kernelILj256ELj16Ellf21rocsparse_complex_numIfES2_S2_EEvbT2_NS_24const_host_device_scalarIT6_EEPKT1_S9_PKS3_PKT3_PKT4_S6_PT5_21rocsparse_index_base_b,"axG",@progbits,_ZN9rocsparseL21csrmvn_general_kernelILj256ELj16Ellf21rocsparse_complex_numIfES2_S2_EEvbT2_NS_24const_host_device_scalarIT6_EEPKT1_S9_PKS3_PKT3_PKT4_S6_PT5_21rocsparse_index_base_b,comdat
.Lfunc_end289:
	.size	_ZN9rocsparseL21csrmvn_general_kernelILj256ELj16Ellf21rocsparse_complex_numIfES2_S2_EEvbT2_NS_24const_host_device_scalarIT6_EEPKT1_S9_PKS3_PKT3_PKT4_S6_PT5_21rocsparse_index_base_b, .Lfunc_end289-_ZN9rocsparseL21csrmvn_general_kernelILj256ELj16Ellf21rocsparse_complex_numIfES2_S2_EEvbT2_NS_24const_host_device_scalarIT6_EEPKT1_S9_PKS3_PKT3_PKT4_S6_PT5_21rocsparse_index_base_b
                                        ; -- End function
	.section	.AMDGPU.csdata,"",@progbits
; Kernel info:
; codeLenInByte = 948
; NumSgprs: 30
; NumVgprs: 32
; NumAgprs: 0
; TotalNumVgprs: 32
; ScratchSize: 0
; MemoryBound: 0
; FloatMode: 240
; IeeeMode: 1
; LDSByteSize: 0 bytes/workgroup (compile time only)
; SGPRBlocks: 3
; VGPRBlocks: 3
; NumSGPRsForWavesPerEU: 30
; NumVGPRsForWavesPerEU: 32
; AccumOffset: 32
; Occupancy: 8
; WaveLimiterHint : 1
; COMPUTE_PGM_RSRC2:SCRATCH_EN: 0
; COMPUTE_PGM_RSRC2:USER_SGPR: 6
; COMPUTE_PGM_RSRC2:TRAP_HANDLER: 0
; COMPUTE_PGM_RSRC2:TGID_X_EN: 1
; COMPUTE_PGM_RSRC2:TGID_Y_EN: 0
; COMPUTE_PGM_RSRC2:TGID_Z_EN: 0
; COMPUTE_PGM_RSRC2:TIDIG_COMP_CNT: 0
; COMPUTE_PGM_RSRC3_GFX90A:ACCUM_OFFSET: 7
; COMPUTE_PGM_RSRC3_GFX90A:TG_SPLIT: 0
	.section	.text._ZN9rocsparseL21csrmvn_general_kernelILj256ELj32Ellf21rocsparse_complex_numIfES2_S2_EEvbT2_NS_24const_host_device_scalarIT6_EEPKT1_S9_PKS3_PKT3_PKT4_S6_PT5_21rocsparse_index_base_b,"axG",@progbits,_ZN9rocsparseL21csrmvn_general_kernelILj256ELj32Ellf21rocsparse_complex_numIfES2_S2_EEvbT2_NS_24const_host_device_scalarIT6_EEPKT1_S9_PKS3_PKT3_PKT4_S6_PT5_21rocsparse_index_base_b,comdat
	.globl	_ZN9rocsparseL21csrmvn_general_kernelILj256ELj32Ellf21rocsparse_complex_numIfES2_S2_EEvbT2_NS_24const_host_device_scalarIT6_EEPKT1_S9_PKS3_PKT3_PKT4_S6_PT5_21rocsparse_index_base_b ; -- Begin function _ZN9rocsparseL21csrmvn_general_kernelILj256ELj32Ellf21rocsparse_complex_numIfES2_S2_EEvbT2_NS_24const_host_device_scalarIT6_EEPKT1_S9_PKS3_PKT3_PKT4_S6_PT5_21rocsparse_index_base_b
	.p2align	8
	.type	_ZN9rocsparseL21csrmvn_general_kernelILj256ELj32Ellf21rocsparse_complex_numIfES2_S2_EEvbT2_NS_24const_host_device_scalarIT6_EEPKT1_S9_PKS3_PKT3_PKT4_S6_PT5_21rocsparse_index_base_b,@function
_ZN9rocsparseL21csrmvn_general_kernelILj256ELj32Ellf21rocsparse_complex_numIfES2_S2_EEvbT2_NS_24const_host_device_scalarIT6_EEPKT1_S9_PKS3_PKT3_PKT4_S6_PT5_21rocsparse_index_base_b: ; @_ZN9rocsparseL21csrmvn_general_kernelILj256ELj32Ellf21rocsparse_complex_numIfES2_S2_EEvbT2_NS_24const_host_device_scalarIT6_EEPKT1_S9_PKS3_PKT3_PKT4_S6_PT5_21rocsparse_index_base_b
; %bb.0:
	s_load_dwordx2 s[20:21], s[4:5], 0x50
	s_load_dwordx2 s[2:3], s[4:5], 0x40
	s_load_dwordx8 s[8:15], s[4:5], 0x8
	s_waitcnt lgkmcnt(0)
	s_bitcmp1_b32 s21, 0
	s_cselect_b64 s[0:1], -1, 0
	s_xor_b64 s[16:17], s[0:1], -1
	s_and_b64 vcc, exec, s[0:1]
	v_mov_b32_e32 v2, s10
	s_cbranch_vccnz .LBB290_2
; %bb.1:
	v_pk_mov_b32 v[2:3], s[10:11], s[10:11] op_sel:[0,1]
	flat_load_dword v2, v[2:3]
.LBB290_2:
	v_cndmask_b32_e64 v1, 0, 1, s[16:17]
	v_cmp_ne_u32_e64 s[0:1], 1, v1
	s_andn2_b64 vcc, exec, s[16:17]
	v_mov_b32_e32 v3, s11
	s_cbranch_vccz .LBB290_21
; %bb.3:
	s_and_b64 vcc, exec, s[0:1]
	v_mov_b32_e32 v4, s2
	s_cbranch_vccz .LBB290_22
.LBB290_4:
	s_and_b64 vcc, exec, s[0:1]
	v_mov_b32_e32 v5, s3
	s_cbranch_vccnz .LBB290_6
.LBB290_5:
	v_pk_mov_b32 v[6:7], s[2:3], s[2:3] op_sel:[0,1]
	flat_load_dword v5, v[6:7] offset:4
.LBB290_6:
	s_waitcnt vmcnt(0) lgkmcnt(0)
	v_or_b32_e32 v1, v2, v3
	v_and_b32_e32 v1, 0x7fffffff, v1
	v_cmp_eq_u32_e32 vcc, 0, v1
	s_mov_b64 s[0:1], -1
	s_and_saveexec_b64 s[2:3], vcc
; %bb.7:
	v_and_b32_e32 v1, 0x7fffffff, v5
	v_cmp_neq_f32_e32 vcc, 1.0, v4
	v_cmp_ne_u32_e64 s[0:1], 0, v1
	s_or_b64 s[0:1], vcc, s[0:1]
	s_orn2_b64 s[0:1], s[0:1], exec
; %bb.8:
	s_or_b64 exec, exec, s[2:3]
	s_and_saveexec_b64 s[2:3], s[0:1]
	s_cbranch_execz .LBB290_20
; %bb.9:
	v_lshl_or_b32 v1, s6, 8, v0
	v_lshrrev_b32_e32 v6, 5, v1
	v_mov_b32_e32 v7, 0
	v_cmp_gt_i64_e32 vcc, s[8:9], v[6:7]
	s_and_b64 exec, exec, vcc
	s_cbranch_execz .LBB290_20
; %bb.10:
	s_load_dword s2, s[4:5], 0x58
	s_load_dwordx2 s[6:7], s[4:5], 0x48
	s_load_dwordx4 s[16:19], s[4:5], 0x28
	s_load_dwordx2 s[0:1], s[4:5], 0x38
	v_and_b32_e32 v10, 31, v0
	v_subrev_co_u32_e32 v22, vcc, s20, v10
	s_mov_b32 s21, 0
	s_waitcnt lgkmcnt(0)
	s_lshl_b32 s26, s2, 3
	v_subb_co_u32_e64 v23, s[2:3], 0, 0, vcc
	s_brev_b32 s3, 1
	s_mov_b32 s2, s21
	v_pk_mul_f32 v[8:9], v[2:3], s[2:3]
	s_ashr_i32 s3, s20, 31
	s_mov_b32 s2, s20
	s_lshl_b64 s[2:3], s[2:3], 3
	v_mov_b32_e32 v1, v8
	s_sub_u32 s27, s0, s2
	v_and_b32_e32 v8, 0x7fffffff, v4
	s_subb_u32 s23, s1, s3
	v_cmp_ne_u32_e32 vcc, 0, v8
	v_cmp_neq_f32_e64 s[2:3], 0, v5
	v_mov_b32_e32 v0, v9
	v_cmp_eq_u32_e64 s[0:1], 31, v10
	s_or_b64 s[4:5], vcc, s[2:3]
	v_xor_b32_e32 v8, 0x80000000, v5
	v_mov_b32_e32 v9, v4
	s_mov_b64 s[10:11], 0
	v_mov_b32_e32 v24, s13
	v_mov_b32_e32 v25, s15
	;; [unrolled: 1-line block ×4, first 2 shown]
	s_branch .LBB290_13
.LBB290_11:                             ;   in Loop: Header=BB290_13 Depth=1
	s_or_b64 exec, exec, s[22:23]
	global_store_dwordx2 v[10:11], v[12:13], off
.LBB290_12:                             ;   in Loop: Header=BB290_13 Depth=1
	s_or_b64 exec, exec, s[2:3]
	v_mov_b32_e32 v10, s21
	v_add_co_u32_e32 v6, vcc, s26, v6
	v_addc_co_u32_e32 v7, vcc, v7, v10, vcc
	v_cmp_le_i64_e32 vcc, s[8:9], v[6:7]
	s_or_b64 s[10:11], vcc, s[10:11]
	s_andn2_b64 exec, exec, s[10:11]
	s_cbranch_execz .LBB290_20
.LBB290_13:                             ; =>This Loop Header: Depth=1
                                        ;     Child Loop BB290_15 Depth 2
	v_lshlrev_b64 v[10:11], 3, v[6:7]
	v_add_co_u32_e32 v12, vcc, s14, v10
	v_addc_co_u32_e32 v13, vcc, v25, v11, vcc
	global_load_dwordx2 v[14:15], v[12:13], off
	v_add_co_u32_e32 v12, vcc, s12, v10
	v_addc_co_u32_e32 v13, vcc, v24, v11, vcc
	global_load_dwordx2 v[16:17], v[12:13], off
	v_mov_b32_e32 v13, 0
	v_mov_b32_e32 v12, v13
	s_waitcnt vmcnt(1)
	v_subrev_co_u32_e32 v14, vcc, s20, v14
	v_subb_co_u32_e32 v15, vcc, v15, v26, vcc
	s_waitcnt vmcnt(0)
	v_add_co_u32_e32 v16, vcc, v16, v22
	v_addc_co_u32_e32 v17, vcc, v17, v23, vcc
	v_cmp_lt_i64_e32 vcc, v[16:17], v[14:15]
	s_and_saveexec_b64 s[22:23], vcc
	s_cbranch_execz .LBB290_17
; %bb.14:                               ;   in Loop: Header=BB290_13 Depth=1
	v_lshlrev_b64 v[12:13], 2, v[16:17]
	v_mov_b32_e32 v19, s19
	v_add_co_u32_e32 v18, vcc, s18, v12
	v_addc_co_u32_e32 v19, vcc, v19, v13, vcc
	v_lshlrev_b64 v[12:13], 3, v[16:17]
	v_mov_b32_e32 v21, s17
	v_add_co_u32_e32 v20, vcc, s16, v12
	v_addc_co_u32_e32 v21, vcc, v21, v13, vcc
	v_mov_b32_e32 v13, 0
	s_mov_b64 s[24:25], 0
	v_mov_b32_e32 v12, v13
.LBB290_15:                             ;   Parent Loop BB290_13 Depth=1
                                        ; =>  This Inner Loop Header: Depth=2
	global_load_dwordx2 v[28:29], v[20:21], off
	global_load_dword v30, v[18:19], off
	s_waitcnt vmcnt(1)
	v_lshlrev_b64 v[28:29], 3, v[28:29]
	v_add_co_u32_e32 v28, vcc, s27, v28
	v_addc_co_u32_e32 v29, vcc, v27, v29, vcc
	global_load_dwordx2 v[28:29], v[28:29], off
	v_add_co_u32_e32 v16, vcc, 32, v16
	v_addc_co_u32_e32 v17, vcc, 0, v17, vcc
	v_add_co_u32_e32 v18, vcc, 0x80, v18
	v_addc_co_u32_e32 v19, vcc, 0, v19, vcc
	s_waitcnt vmcnt(1)
	v_pk_fma_f32 v[30:31], v[2:3], v[30:31], v[0:1] op_sel_hi:[1,0,1]
	v_add_co_u32_e32 v20, vcc, 0x100, v20
	v_cmp_ge_i64_e64 s[2:3], v[16:17], v[14:15]
	v_addc_co_u32_e32 v21, vcc, 0, v21, vcc
	s_or_b64 s[24:25], s[2:3], s[24:25]
	s_waitcnt vmcnt(0)
	v_pk_fma_f32 v[12:13], v[30:31], v[28:29], v[12:13] op_sel_hi:[1,0,1]
	v_pk_fma_f32 v[12:13], v[30:31], v[28:29], v[12:13] op_sel:[1,1,0] op_sel_hi:[0,1,1] neg_lo:[1,0,0]
	s_andn2_b64 exec, exec, s[24:25]
	s_cbranch_execnz .LBB290_15
; %bb.16:                               ;   in Loop: Header=BB290_13 Depth=1
	s_or_b64 exec, exec, s[24:25]
.LBB290_17:                             ;   in Loop: Header=BB290_13 Depth=1
	s_or_b64 exec, exec, s[22:23]
	v_mov_b32_dpp v14, v12 row_shr:1 row_mask:0xf bank_mask:0xf
	v_mov_b32_dpp v15, v13 row_shr:1 row_mask:0xf bank_mask:0xf
	v_pk_add_f32 v[12:13], v[12:13], v[14:15]
	s_nop 1
	v_mov_b32_dpp v14, v12 row_shr:2 row_mask:0xf bank_mask:0xf
	v_mov_b32_dpp v15, v13 row_shr:2 row_mask:0xf bank_mask:0xf
	v_pk_add_f32 v[12:13], v[12:13], v[14:15]
	s_nop 1
	;; [unrolled: 4-line block ×4, first 2 shown]
	v_mov_b32_dpp v14, v12 row_bcast:15 row_mask:0xa bank_mask:0xf
	v_mov_b32_dpp v15, v13 row_bcast:15 row_mask:0xa bank_mask:0xf
	s_and_saveexec_b64 s[2:3], s[0:1]
	s_cbranch_execz .LBB290_12
; %bb.18:                               ;   in Loop: Header=BB290_13 Depth=1
	v_pk_add_f32 v[12:13], v[12:13], v[14:15]
	v_mov_b32_e32 v14, s7
	v_add_co_u32_e32 v10, vcc, s6, v10
	v_addc_co_u32_e32 v11, vcc, v14, v11, vcc
	s_and_saveexec_b64 s[22:23], s[4:5]
	s_cbranch_execz .LBB290_11
; %bb.19:                               ;   in Loop: Header=BB290_13 Depth=1
	global_load_dwordx2 v[14:15], v[10:11], off
	s_waitcnt vmcnt(0)
	v_pk_fma_f32 v[12:13], v[4:5], v[14:15], v[12:13] op_sel_hi:[1,0,1]
	v_pk_fma_f32 v[12:13], v[8:9], v[14:15], v[12:13] op_sel:[0,1,0]
	s_branch .LBB290_11
.LBB290_20:
	s_endpgm
.LBB290_21:
	v_pk_mov_b32 v[4:5], s[10:11], s[10:11] op_sel:[0,1]
	flat_load_dword v3, v[4:5] offset:4
	s_and_b64 vcc, exec, s[0:1]
	v_mov_b32_e32 v4, s2
	s_cbranch_vccnz .LBB290_4
.LBB290_22:
	v_pk_mov_b32 v[4:5], s[2:3], s[2:3] op_sel:[0,1]
	flat_load_dword v4, v[4:5]
	s_and_b64 vcc, exec, s[0:1]
	v_mov_b32_e32 v5, s3
	s_cbranch_vccz .LBB290_5
	s_branch .LBB290_6
	.section	.rodata,"a",@progbits
	.p2align	6, 0x0
	.amdhsa_kernel _ZN9rocsparseL21csrmvn_general_kernelILj256ELj32Ellf21rocsparse_complex_numIfES2_S2_EEvbT2_NS_24const_host_device_scalarIT6_EEPKT1_S9_PKS3_PKT3_PKT4_S6_PT5_21rocsparse_index_base_b
		.amdhsa_group_segment_fixed_size 0
		.amdhsa_private_segment_fixed_size 0
		.amdhsa_kernarg_size 344
		.amdhsa_user_sgpr_count 6
		.amdhsa_user_sgpr_private_segment_buffer 1
		.amdhsa_user_sgpr_dispatch_ptr 0
		.amdhsa_user_sgpr_queue_ptr 0
		.amdhsa_user_sgpr_kernarg_segment_ptr 1
		.amdhsa_user_sgpr_dispatch_id 0
		.amdhsa_user_sgpr_flat_scratch_init 0
		.amdhsa_user_sgpr_kernarg_preload_length 0
		.amdhsa_user_sgpr_kernarg_preload_offset 0
		.amdhsa_user_sgpr_private_segment_size 0
		.amdhsa_uses_dynamic_stack 0
		.amdhsa_system_sgpr_private_segment_wavefront_offset 0
		.amdhsa_system_sgpr_workgroup_id_x 1
		.amdhsa_system_sgpr_workgroup_id_y 0
		.amdhsa_system_sgpr_workgroup_id_z 0
		.amdhsa_system_sgpr_workgroup_info 0
		.amdhsa_system_vgpr_workitem_id 0
		.amdhsa_next_free_vgpr 32
		.amdhsa_next_free_sgpr 28
		.amdhsa_accum_offset 32
		.amdhsa_reserve_vcc 1
		.amdhsa_reserve_flat_scratch 0
		.amdhsa_float_round_mode_32 0
		.amdhsa_float_round_mode_16_64 0
		.amdhsa_float_denorm_mode_32 3
		.amdhsa_float_denorm_mode_16_64 3
		.amdhsa_dx10_clamp 1
		.amdhsa_ieee_mode 1
		.amdhsa_fp16_overflow 0
		.amdhsa_tg_split 0
		.amdhsa_exception_fp_ieee_invalid_op 0
		.amdhsa_exception_fp_denorm_src 0
		.amdhsa_exception_fp_ieee_div_zero 0
		.amdhsa_exception_fp_ieee_overflow 0
		.amdhsa_exception_fp_ieee_underflow 0
		.amdhsa_exception_fp_ieee_inexact 0
		.amdhsa_exception_int_div_zero 0
	.end_amdhsa_kernel
	.section	.text._ZN9rocsparseL21csrmvn_general_kernelILj256ELj32Ellf21rocsparse_complex_numIfES2_S2_EEvbT2_NS_24const_host_device_scalarIT6_EEPKT1_S9_PKS3_PKT3_PKT4_S6_PT5_21rocsparse_index_base_b,"axG",@progbits,_ZN9rocsparseL21csrmvn_general_kernelILj256ELj32Ellf21rocsparse_complex_numIfES2_S2_EEvbT2_NS_24const_host_device_scalarIT6_EEPKT1_S9_PKS3_PKT3_PKT4_S6_PT5_21rocsparse_index_base_b,comdat
.Lfunc_end290:
	.size	_ZN9rocsparseL21csrmvn_general_kernelILj256ELj32Ellf21rocsparse_complex_numIfES2_S2_EEvbT2_NS_24const_host_device_scalarIT6_EEPKT1_S9_PKS3_PKT3_PKT4_S6_PT5_21rocsparse_index_base_b, .Lfunc_end290-_ZN9rocsparseL21csrmvn_general_kernelILj256ELj32Ellf21rocsparse_complex_numIfES2_S2_EEvbT2_NS_24const_host_device_scalarIT6_EEPKT1_S9_PKS3_PKT3_PKT4_S6_PT5_21rocsparse_index_base_b
                                        ; -- End function
	.section	.AMDGPU.csdata,"",@progbits
; Kernel info:
; codeLenInByte = 980
; NumSgprs: 32
; NumVgprs: 32
; NumAgprs: 0
; TotalNumVgprs: 32
; ScratchSize: 0
; MemoryBound: 0
; FloatMode: 240
; IeeeMode: 1
; LDSByteSize: 0 bytes/workgroup (compile time only)
; SGPRBlocks: 3
; VGPRBlocks: 3
; NumSGPRsForWavesPerEU: 32
; NumVGPRsForWavesPerEU: 32
; AccumOffset: 32
; Occupancy: 8
; WaveLimiterHint : 1
; COMPUTE_PGM_RSRC2:SCRATCH_EN: 0
; COMPUTE_PGM_RSRC2:USER_SGPR: 6
; COMPUTE_PGM_RSRC2:TRAP_HANDLER: 0
; COMPUTE_PGM_RSRC2:TGID_X_EN: 1
; COMPUTE_PGM_RSRC2:TGID_Y_EN: 0
; COMPUTE_PGM_RSRC2:TGID_Z_EN: 0
; COMPUTE_PGM_RSRC2:TIDIG_COMP_CNT: 0
; COMPUTE_PGM_RSRC3_GFX90A:ACCUM_OFFSET: 7
; COMPUTE_PGM_RSRC3_GFX90A:TG_SPLIT: 0
	.section	.text._ZN9rocsparseL21csrmvn_general_kernelILj256ELj64Ellf21rocsparse_complex_numIfES2_S2_EEvbT2_NS_24const_host_device_scalarIT6_EEPKT1_S9_PKS3_PKT3_PKT4_S6_PT5_21rocsparse_index_base_b,"axG",@progbits,_ZN9rocsparseL21csrmvn_general_kernelILj256ELj64Ellf21rocsparse_complex_numIfES2_S2_EEvbT2_NS_24const_host_device_scalarIT6_EEPKT1_S9_PKS3_PKT3_PKT4_S6_PT5_21rocsparse_index_base_b,comdat
	.globl	_ZN9rocsparseL21csrmvn_general_kernelILj256ELj64Ellf21rocsparse_complex_numIfES2_S2_EEvbT2_NS_24const_host_device_scalarIT6_EEPKT1_S9_PKS3_PKT3_PKT4_S6_PT5_21rocsparse_index_base_b ; -- Begin function _ZN9rocsparseL21csrmvn_general_kernelILj256ELj64Ellf21rocsparse_complex_numIfES2_S2_EEvbT2_NS_24const_host_device_scalarIT6_EEPKT1_S9_PKS3_PKT3_PKT4_S6_PT5_21rocsparse_index_base_b
	.p2align	8
	.type	_ZN9rocsparseL21csrmvn_general_kernelILj256ELj64Ellf21rocsparse_complex_numIfES2_S2_EEvbT2_NS_24const_host_device_scalarIT6_EEPKT1_S9_PKS3_PKT3_PKT4_S6_PT5_21rocsparse_index_base_b,@function
_ZN9rocsparseL21csrmvn_general_kernelILj256ELj64Ellf21rocsparse_complex_numIfES2_S2_EEvbT2_NS_24const_host_device_scalarIT6_EEPKT1_S9_PKS3_PKT3_PKT4_S6_PT5_21rocsparse_index_base_b: ; @_ZN9rocsparseL21csrmvn_general_kernelILj256ELj64Ellf21rocsparse_complex_numIfES2_S2_EEvbT2_NS_24const_host_device_scalarIT6_EEPKT1_S9_PKS3_PKT3_PKT4_S6_PT5_21rocsparse_index_base_b
; %bb.0:
	s_load_dwordx2 s[20:21], s[4:5], 0x50
	s_load_dwordx2 s[2:3], s[4:5], 0x40
	s_load_dwordx8 s[8:15], s[4:5], 0x8
	s_waitcnt lgkmcnt(0)
	s_bitcmp1_b32 s21, 0
	s_cselect_b64 s[0:1], -1, 0
	s_xor_b64 s[16:17], s[0:1], -1
	s_and_b64 vcc, exec, s[0:1]
	v_mov_b32_e32 v2, s10
	s_cbranch_vccnz .LBB291_2
; %bb.1:
	v_pk_mov_b32 v[2:3], s[10:11], s[10:11] op_sel:[0,1]
	flat_load_dword v2, v[2:3]
.LBB291_2:
	v_cndmask_b32_e64 v1, 0, 1, s[16:17]
	v_cmp_ne_u32_e64 s[0:1], 1, v1
	s_andn2_b64 vcc, exec, s[16:17]
	v_mov_b32_e32 v3, s11
	s_cbranch_vccz .LBB291_21
; %bb.3:
	s_and_b64 vcc, exec, s[0:1]
	v_mov_b32_e32 v4, s2
	s_cbranch_vccz .LBB291_22
.LBB291_4:
	s_and_b64 vcc, exec, s[0:1]
	v_mov_b32_e32 v5, s3
	s_cbranch_vccnz .LBB291_6
.LBB291_5:
	v_pk_mov_b32 v[6:7], s[2:3], s[2:3] op_sel:[0,1]
	flat_load_dword v5, v[6:7] offset:4
.LBB291_6:
	s_waitcnt vmcnt(0) lgkmcnt(0)
	v_or_b32_e32 v1, v2, v3
	v_and_b32_e32 v1, 0x7fffffff, v1
	v_cmp_eq_u32_e32 vcc, 0, v1
	s_mov_b64 s[0:1], -1
	s_and_saveexec_b64 s[2:3], vcc
; %bb.7:
	v_and_b32_e32 v1, 0x7fffffff, v5
	v_cmp_neq_f32_e32 vcc, 1.0, v4
	v_cmp_ne_u32_e64 s[0:1], 0, v1
	s_or_b64 s[0:1], vcc, s[0:1]
	s_orn2_b64 s[0:1], s[0:1], exec
; %bb.8:
	s_or_b64 exec, exec, s[2:3]
	s_and_saveexec_b64 s[2:3], s[0:1]
	s_cbranch_execz .LBB291_20
; %bb.9:
	v_lshl_or_b32 v1, s6, 8, v0
	v_lshrrev_b32_e32 v6, 6, v1
	v_mov_b32_e32 v7, 0
	v_cmp_gt_i64_e32 vcc, s[8:9], v[6:7]
	s_and_b64 exec, exec, vcc
	s_cbranch_execz .LBB291_20
; %bb.10:
	s_load_dword s2, s[4:5], 0x58
	s_load_dwordx2 s[6:7], s[4:5], 0x48
	s_load_dwordx4 s[16:19], s[4:5], 0x28
	s_load_dwordx2 s[0:1], s[4:5], 0x38
	v_and_b32_e32 v10, 63, v0
	v_subrev_co_u32_e32 v22, vcc, s20, v10
	s_mov_b32 s21, 0
	s_waitcnt lgkmcnt(0)
	s_lshl_b32 s26, s2, 2
	v_subb_co_u32_e64 v23, s[2:3], 0, 0, vcc
	s_brev_b32 s3, 1
	s_mov_b32 s2, s21
	v_pk_mul_f32 v[8:9], v[2:3], s[2:3]
	s_ashr_i32 s3, s20, 31
	s_mov_b32 s2, s20
	s_lshl_b64 s[2:3], s[2:3], 3
	v_mov_b32_e32 v1, v8
	s_sub_u32 s27, s0, s2
	v_and_b32_e32 v8, 0x7fffffff, v4
	s_subb_u32 s23, s1, s3
	v_cmp_ne_u32_e32 vcc, 0, v8
	v_cmp_neq_f32_e64 s[2:3], 0, v5
	v_mov_b32_e32 v0, v9
	v_cmp_eq_u32_e64 s[0:1], 63, v10
	s_or_b64 s[4:5], vcc, s[2:3]
	v_xor_b32_e32 v8, 0x80000000, v5
	v_mov_b32_e32 v9, v4
	s_mov_b64 s[10:11], 0
	v_mov_b32_e32 v24, s13
	v_mov_b32_e32 v25, s15
	;; [unrolled: 1-line block ×4, first 2 shown]
	s_branch .LBB291_13
.LBB291_11:                             ;   in Loop: Header=BB291_13 Depth=1
	s_or_b64 exec, exec, s[22:23]
	global_store_dwordx2 v[10:11], v[12:13], off
.LBB291_12:                             ;   in Loop: Header=BB291_13 Depth=1
	s_or_b64 exec, exec, s[2:3]
	v_mov_b32_e32 v10, s21
	v_add_co_u32_e32 v6, vcc, s26, v6
	v_addc_co_u32_e32 v7, vcc, v7, v10, vcc
	v_cmp_le_i64_e32 vcc, s[8:9], v[6:7]
	s_or_b64 s[10:11], vcc, s[10:11]
	s_andn2_b64 exec, exec, s[10:11]
	s_cbranch_execz .LBB291_20
.LBB291_13:                             ; =>This Loop Header: Depth=1
                                        ;     Child Loop BB291_15 Depth 2
	v_lshlrev_b64 v[10:11], 3, v[6:7]
	v_add_co_u32_e32 v12, vcc, s14, v10
	v_addc_co_u32_e32 v13, vcc, v25, v11, vcc
	global_load_dwordx2 v[14:15], v[12:13], off
	v_add_co_u32_e32 v12, vcc, s12, v10
	v_addc_co_u32_e32 v13, vcc, v24, v11, vcc
	global_load_dwordx2 v[16:17], v[12:13], off
	v_mov_b32_e32 v13, 0
	v_mov_b32_e32 v12, v13
	s_waitcnt vmcnt(1)
	v_subrev_co_u32_e32 v14, vcc, s20, v14
	v_subb_co_u32_e32 v15, vcc, v15, v26, vcc
	s_waitcnt vmcnt(0)
	v_add_co_u32_e32 v16, vcc, v16, v22
	v_addc_co_u32_e32 v17, vcc, v17, v23, vcc
	v_cmp_lt_i64_e32 vcc, v[16:17], v[14:15]
	s_and_saveexec_b64 s[22:23], vcc
	s_cbranch_execz .LBB291_17
; %bb.14:                               ;   in Loop: Header=BB291_13 Depth=1
	v_lshlrev_b64 v[12:13], 2, v[16:17]
	v_mov_b32_e32 v19, s19
	v_add_co_u32_e32 v18, vcc, s18, v12
	v_addc_co_u32_e32 v19, vcc, v19, v13, vcc
	v_lshlrev_b64 v[12:13], 3, v[16:17]
	v_mov_b32_e32 v21, s17
	v_add_co_u32_e32 v20, vcc, s16, v12
	v_mov_b32_e32 v12, 0
	v_addc_co_u32_e32 v21, vcc, v21, v13, vcc
	s_mov_b64 s[24:25], 0
	v_mov_b32_e32 v13, v12
.LBB291_15:                             ;   Parent Loop BB291_13 Depth=1
                                        ; =>  This Inner Loop Header: Depth=2
	global_load_dwordx2 v[28:29], v[20:21], off
	global_load_dword v30, v[18:19], off
	s_waitcnt vmcnt(1)
	v_lshlrev_b64 v[28:29], 3, v[28:29]
	v_add_co_u32_e32 v28, vcc, s27, v28
	v_addc_co_u32_e32 v29, vcc, v27, v29, vcc
	global_load_dwordx2 v[28:29], v[28:29], off
	v_add_co_u32_e32 v16, vcc, 64, v16
	v_addc_co_u32_e32 v17, vcc, 0, v17, vcc
	v_add_co_u32_e32 v18, vcc, 0x100, v18
	v_addc_co_u32_e32 v19, vcc, 0, v19, vcc
	s_waitcnt vmcnt(1)
	v_pk_fma_f32 v[30:31], v[2:3], v[30:31], v[0:1] op_sel_hi:[1,0,1]
	v_add_co_u32_e32 v20, vcc, 0x200, v20
	v_cmp_ge_i64_e64 s[2:3], v[16:17], v[14:15]
	v_addc_co_u32_e32 v21, vcc, 0, v21, vcc
	s_or_b64 s[24:25], s[2:3], s[24:25]
	s_waitcnt vmcnt(0)
	v_pk_fma_f32 v[12:13], v[30:31], v[28:29], v[12:13] op_sel_hi:[1,0,1]
	v_pk_fma_f32 v[12:13], v[30:31], v[28:29], v[12:13] op_sel:[1,1,0] op_sel_hi:[0,1,1] neg_lo:[1,0,0]
	s_andn2_b64 exec, exec, s[24:25]
	s_cbranch_execnz .LBB291_15
; %bb.16:                               ;   in Loop: Header=BB291_13 Depth=1
	s_or_b64 exec, exec, s[24:25]
.LBB291_17:                             ;   in Loop: Header=BB291_13 Depth=1
	s_or_b64 exec, exec, s[22:23]
	v_mov_b32_dpp v14, v12 row_shr:1 row_mask:0xf bank_mask:0xf
	v_mov_b32_dpp v15, v13 row_shr:1 row_mask:0xf bank_mask:0xf
	v_pk_add_f32 v[12:13], v[12:13], v[14:15]
	s_nop 1
	v_mov_b32_dpp v14, v12 row_shr:2 row_mask:0xf bank_mask:0xf
	v_mov_b32_dpp v15, v13 row_shr:2 row_mask:0xf bank_mask:0xf
	v_pk_add_f32 v[12:13], v[12:13], v[14:15]
	s_nop 1
	;; [unrolled: 4-line block ×4, first 2 shown]
	v_mov_b32_dpp v14, v12 row_bcast:15 row_mask:0xa bank_mask:0xf
	v_mov_b32_dpp v15, v13 row_bcast:15 row_mask:0xa bank_mask:0xf
	v_pk_add_f32 v[12:13], v[12:13], v[14:15]
	s_nop 1
	v_mov_b32_dpp v14, v12 row_bcast:31 row_mask:0xc bank_mask:0xf
	v_mov_b32_dpp v15, v13 row_bcast:31 row_mask:0xc bank_mask:0xf
	s_and_saveexec_b64 s[2:3], s[0:1]
	s_cbranch_execz .LBB291_12
; %bb.18:                               ;   in Loop: Header=BB291_13 Depth=1
	v_pk_add_f32 v[12:13], v[12:13], v[14:15]
	v_mov_b32_e32 v14, s7
	v_add_co_u32_e32 v10, vcc, s6, v10
	v_addc_co_u32_e32 v11, vcc, v14, v11, vcc
	s_and_saveexec_b64 s[22:23], s[4:5]
	s_cbranch_execz .LBB291_11
; %bb.19:                               ;   in Loop: Header=BB291_13 Depth=1
	global_load_dwordx2 v[14:15], v[10:11], off
	s_waitcnt vmcnt(0)
	v_pk_fma_f32 v[12:13], v[4:5], v[14:15], v[12:13] op_sel_hi:[1,0,1]
	v_pk_fma_f32 v[12:13], v[8:9], v[14:15], v[12:13] op_sel:[0,1,0]
	s_branch .LBB291_11
.LBB291_20:
	s_endpgm
.LBB291_21:
	v_pk_mov_b32 v[4:5], s[10:11], s[10:11] op_sel:[0,1]
	flat_load_dword v3, v[4:5] offset:4
	s_and_b64 vcc, exec, s[0:1]
	v_mov_b32_e32 v4, s2
	s_cbranch_vccnz .LBB291_4
.LBB291_22:
	v_pk_mov_b32 v[4:5], s[2:3], s[2:3] op_sel:[0,1]
	flat_load_dword v4, v[4:5]
	s_and_b64 vcc, exec, s[0:1]
	v_mov_b32_e32 v5, s3
	s_cbranch_vccz .LBB291_5
	s_branch .LBB291_6
	.section	.rodata,"a",@progbits
	.p2align	6, 0x0
	.amdhsa_kernel _ZN9rocsparseL21csrmvn_general_kernelILj256ELj64Ellf21rocsparse_complex_numIfES2_S2_EEvbT2_NS_24const_host_device_scalarIT6_EEPKT1_S9_PKS3_PKT3_PKT4_S6_PT5_21rocsparse_index_base_b
		.amdhsa_group_segment_fixed_size 0
		.amdhsa_private_segment_fixed_size 0
		.amdhsa_kernarg_size 344
		.amdhsa_user_sgpr_count 6
		.amdhsa_user_sgpr_private_segment_buffer 1
		.amdhsa_user_sgpr_dispatch_ptr 0
		.amdhsa_user_sgpr_queue_ptr 0
		.amdhsa_user_sgpr_kernarg_segment_ptr 1
		.amdhsa_user_sgpr_dispatch_id 0
		.amdhsa_user_sgpr_flat_scratch_init 0
		.amdhsa_user_sgpr_kernarg_preload_length 0
		.amdhsa_user_sgpr_kernarg_preload_offset 0
		.amdhsa_user_sgpr_private_segment_size 0
		.amdhsa_uses_dynamic_stack 0
		.amdhsa_system_sgpr_private_segment_wavefront_offset 0
		.amdhsa_system_sgpr_workgroup_id_x 1
		.amdhsa_system_sgpr_workgroup_id_y 0
		.amdhsa_system_sgpr_workgroup_id_z 0
		.amdhsa_system_sgpr_workgroup_info 0
		.amdhsa_system_vgpr_workitem_id 0
		.amdhsa_next_free_vgpr 32
		.amdhsa_next_free_sgpr 28
		.amdhsa_accum_offset 32
		.amdhsa_reserve_vcc 1
		.amdhsa_reserve_flat_scratch 0
		.amdhsa_float_round_mode_32 0
		.amdhsa_float_round_mode_16_64 0
		.amdhsa_float_denorm_mode_32 3
		.amdhsa_float_denorm_mode_16_64 3
		.amdhsa_dx10_clamp 1
		.amdhsa_ieee_mode 1
		.amdhsa_fp16_overflow 0
		.amdhsa_tg_split 0
		.amdhsa_exception_fp_ieee_invalid_op 0
		.amdhsa_exception_fp_denorm_src 0
		.amdhsa_exception_fp_ieee_div_zero 0
		.amdhsa_exception_fp_ieee_overflow 0
		.amdhsa_exception_fp_ieee_underflow 0
		.amdhsa_exception_fp_ieee_inexact 0
		.amdhsa_exception_int_div_zero 0
	.end_amdhsa_kernel
	.section	.text._ZN9rocsparseL21csrmvn_general_kernelILj256ELj64Ellf21rocsparse_complex_numIfES2_S2_EEvbT2_NS_24const_host_device_scalarIT6_EEPKT1_S9_PKS3_PKT3_PKT4_S6_PT5_21rocsparse_index_base_b,"axG",@progbits,_ZN9rocsparseL21csrmvn_general_kernelILj256ELj64Ellf21rocsparse_complex_numIfES2_S2_EEvbT2_NS_24const_host_device_scalarIT6_EEPKT1_S9_PKS3_PKT3_PKT4_S6_PT5_21rocsparse_index_base_b,comdat
.Lfunc_end291:
	.size	_ZN9rocsparseL21csrmvn_general_kernelILj256ELj64Ellf21rocsparse_complex_numIfES2_S2_EEvbT2_NS_24const_host_device_scalarIT6_EEPKT1_S9_PKS3_PKT3_PKT4_S6_PT5_21rocsparse_index_base_b, .Lfunc_end291-_ZN9rocsparseL21csrmvn_general_kernelILj256ELj64Ellf21rocsparse_complex_numIfES2_S2_EEvbT2_NS_24const_host_device_scalarIT6_EEPKT1_S9_PKS3_PKT3_PKT4_S6_PT5_21rocsparse_index_base_b
                                        ; -- End function
	.section	.AMDGPU.csdata,"",@progbits
; Kernel info:
; codeLenInByte = 1008
; NumSgprs: 32
; NumVgprs: 32
; NumAgprs: 0
; TotalNumVgprs: 32
; ScratchSize: 0
; MemoryBound: 0
; FloatMode: 240
; IeeeMode: 1
; LDSByteSize: 0 bytes/workgroup (compile time only)
; SGPRBlocks: 3
; VGPRBlocks: 3
; NumSGPRsForWavesPerEU: 32
; NumVGPRsForWavesPerEU: 32
; AccumOffset: 32
; Occupancy: 8
; WaveLimiterHint : 1
; COMPUTE_PGM_RSRC2:SCRATCH_EN: 0
; COMPUTE_PGM_RSRC2:USER_SGPR: 6
; COMPUTE_PGM_RSRC2:TRAP_HANDLER: 0
; COMPUTE_PGM_RSRC2:TGID_X_EN: 1
; COMPUTE_PGM_RSRC2:TGID_Y_EN: 0
; COMPUTE_PGM_RSRC2:TGID_Z_EN: 0
; COMPUTE_PGM_RSRC2:TIDIG_COMP_CNT: 0
; COMPUTE_PGM_RSRC3_GFX90A:ACCUM_OFFSET: 7
; COMPUTE_PGM_RSRC3_GFX90A:TG_SPLIT: 0
	.section	.text._ZN9rocsparseL21csrmvt_general_kernelILj256ELj4Ellf21rocsparse_complex_numIfES2_S2_EEvbbT2_NS_24const_host_device_scalarIT6_EEPKT1_S9_PKS3_PKT3_PKT4_PT5_21rocsparse_index_base_b,"axG",@progbits,_ZN9rocsparseL21csrmvt_general_kernelILj256ELj4Ellf21rocsparse_complex_numIfES2_S2_EEvbbT2_NS_24const_host_device_scalarIT6_EEPKT1_S9_PKS3_PKT3_PKT4_PT5_21rocsparse_index_base_b,comdat
	.globl	_ZN9rocsparseL21csrmvt_general_kernelILj256ELj4Ellf21rocsparse_complex_numIfES2_S2_EEvbbT2_NS_24const_host_device_scalarIT6_EEPKT1_S9_PKS3_PKT3_PKT4_PT5_21rocsparse_index_base_b ; -- Begin function _ZN9rocsparseL21csrmvt_general_kernelILj256ELj4Ellf21rocsparse_complex_numIfES2_S2_EEvbbT2_NS_24const_host_device_scalarIT6_EEPKT1_S9_PKS3_PKT3_PKT4_PT5_21rocsparse_index_base_b
	.p2align	8
	.type	_ZN9rocsparseL21csrmvt_general_kernelILj256ELj4Ellf21rocsparse_complex_numIfES2_S2_EEvbbT2_NS_24const_host_device_scalarIT6_EEPKT1_S9_PKS3_PKT3_PKT4_PT5_21rocsparse_index_base_b,@function
_ZN9rocsparseL21csrmvt_general_kernelILj256ELj4Ellf21rocsparse_complex_numIfES2_S2_EEvbbT2_NS_24const_host_device_scalarIT6_EEPKT1_S9_PKS3_PKT3_PKT4_PT5_21rocsparse_index_base_b: ; @_ZN9rocsparseL21csrmvt_general_kernelILj256ELj4Ellf21rocsparse_complex_numIfES2_S2_EEvbbT2_NS_24const_host_device_scalarIT6_EEPKT1_S9_PKS3_PKT3_PKT4_PT5_21rocsparse_index_base_b
; %bb.0:
	s_load_dwordx2 s[2:3], s[4:5], 0x48
	s_load_dwordx2 s[0:1], s[4:5], 0x10
	s_load_dwordx8 s[8:15], s[4:5], 0x8
	s_waitcnt lgkmcnt(0)
	s_bitcmp1_b32 s3, 0
	s_cselect_b64 s[18:19], -1, 0
	s_xor_b64 s[16:17], s[18:19], -1
	s_and_b64 vcc, exec, s[18:19]
	v_mov_b32_e32 v12, s0
	s_cbranch_vccnz .LBB292_2
; %bb.1:
	v_pk_mov_b32 v[2:3], s[10:11], s[10:11] op_sel:[0,1]
	flat_load_dword v12, v[2:3]
.LBB292_2:
	s_andn2_b64 vcc, exec, s[16:17]
	v_mov_b32_e32 v13, s1
	s_cbranch_vccnz .LBB292_4
; %bb.3:
	v_pk_mov_b32 v[2:3], s[10:11], s[10:11] op_sel:[0,1]
	flat_load_dword v13, v[2:3] offset:4
.LBB292_4:
	s_waitcnt vmcnt(0) lgkmcnt(0)
	v_cmp_neq_f32_e32 vcc, 0, v12
	v_cmp_neq_f32_e64 s[0:1], 0, v13
	s_or_b64 s[0:1], vcc, s[0:1]
	s_and_saveexec_b64 s[10:11], s[0:1]
	s_cbranch_execz .LBB292_29
; %bb.5:
	s_load_dword s0, s[4:5], 0x0
	s_load_dword s1, s[4:5], 0x50
	s_load_dwordx8 s[16:23], s[4:5], 0x28
	v_and_b32_e32 v14, 3, v0
	v_lshl_or_b32 v0, s6, 8, v0
	s_waitcnt lgkmcnt(0)
	s_and_b32 s0, s0, 1
	s_lshl_b32 s3, s1, 6
	v_lshrrev_b32_e32 v0, 2, v0
	v_mov_b32_e32 v1, 0
	s_cmp_eq_u32 s0, 0
	v_cmp_gt_i64_e64 s[0:1], s[8:9], v[0:1]
	s_mov_b64 s[4:5], -1
	s_cbranch_scc0 .LBB292_17
; %bb.6:
	s_and_saveexec_b64 s[4:5], s[0:1]
	s_cbranch_execz .LBB292_16
; %bb.7:
	v_subrev_co_u32_e32 v15, vcc, s2, v14
	s_mov_b32 s10, 0
	v_subb_co_u32_e64 v16, s[6:7], 0, 0, vcc
	s_mov_b64 s[6:7], 0
	v_mov_b32_e32 v17, s13
	v_mov_b32_e32 v18, s15
	;; [unrolled: 1-line block ×3, first 2 shown]
	v_pk_mov_b32 v[2:3], v[0:1], v[0:1] op_sel:[0,1]
	s_branch .LBB292_9
.LBB292_8:                              ;   in Loop: Header=BB292_9 Depth=1
	s_or_b64 exec, exec, s[10:11]
	v_add_co_u32_e32 v2, vcc, s3, v2
	v_addc_co_u32_e32 v3, vcc, 0, v3, vcc
	v_cmp_le_i64_e32 vcc, s[8:9], v[2:3]
	s_or_b64 s[6:7], vcc, s[6:7]
	s_andn2_b64 exec, exec, s[6:7]
	s_cbranch_execz .LBB292_16
.LBB292_9:                              ; =>This Loop Header: Depth=1
                                        ;     Child Loop BB292_11 Depth 2
                                        ;       Child Loop BB292_12 Depth 3
                                        ;       Child Loop BB292_14 Depth 3
	v_lshlrev_b64 v[8:9], 3, v[2:3]
	v_add_co_u32_e32 v4, vcc, s14, v8
	v_addc_co_u32_e32 v5, vcc, v18, v9, vcc
	global_load_dwordx2 v[4:5], v[4:5], off
	v_add_co_u32_e32 v6, vcc, s12, v8
	v_addc_co_u32_e32 v7, vcc, v17, v9, vcc
	global_load_dwordx2 v[6:7], v[6:7], off
	s_waitcnt vmcnt(1)
	v_subrev_co_u32_e32 v4, vcc, s2, v4
	v_subb_co_u32_e32 v5, vcc, v5, v19, vcc
	s_waitcnt vmcnt(0)
	v_add_co_u32_e32 v6, vcc, v6, v15
	v_addc_co_u32_e32 v7, vcc, v7, v16, vcc
	v_cmp_lt_i64_e32 vcc, v[6:7], v[4:5]
	s_and_saveexec_b64 s[10:11], vcc
	s_cbranch_execz .LBB292_8
; %bb.10:                               ;   in Loop: Header=BB292_9 Depth=1
	v_mov_b32_e32 v10, s21
	v_add_co_u32_e32 v8, vcc, s20, v8
	v_addc_co_u32_e32 v9, vcc, v10, v9, vcc
	global_load_dwordx2 v[8:9], v[8:9], off
	s_mov_b64 s[24:25], 0
	s_waitcnt vmcnt(0)
	v_mul_f32_e64 v20, v9, -v13
	v_mul_f32_e32 v21, v12, v9
	v_fmac_f32_e32 v20, v12, v8
	v_fmac_f32_e32 v21, v13, v8
	v_mul_f32_e32 v22, 0x80000000, v21
	v_mul_f32_e32 v23, 0, v20
.LBB292_11:                             ;   Parent Loop BB292_9 Depth=1
                                        ; =>  This Loop Header: Depth=2
                                        ;       Child Loop BB292_12 Depth 3
                                        ;       Child Loop BB292_14 Depth 3
	v_lshlrev_b64 v[8:9], 3, v[6:7]
	v_mov_b32_e32 v10, s17
	v_add_co_u32_e32 v8, vcc, s16, v8
	v_addc_co_u32_e32 v9, vcc, v10, v9, vcc
	global_load_dwordx2 v[8:9], v[8:9], off
	v_lshlrev_b64 v[10:11], 2, v[6:7]
	v_mov_b32_e32 v24, s19
	v_add_co_u32_e32 v10, vcc, s18, v10
	v_addc_co_u32_e32 v11, vcc, v24, v11, vcc
	v_mov_b32_e32 v25, s23
	global_load_dword v24, v[10:11], off
	s_mov_b64 s[26:27], 0
	s_waitcnt vmcnt(1)
	v_subrev_co_u32_e32 v8, vcc, s2, v8
	v_subb_co_u32_e32 v9, vcc, v9, v19, vcc
	v_lshlrev_b64 v[8:9], 3, v[8:9]
	v_add_co_u32_e32 v8, vcc, s22, v8
	v_addc_co_u32_e32 v9, vcc, v25, v9, vcc
	global_load_dword v11, v[8:9], off
	s_waitcnt vmcnt(1)
	v_fma_f32 v25, v20, v24, v22
.LBB292_12:                             ;   Parent Loop BB292_9 Depth=1
                                        ;     Parent Loop BB292_11 Depth=2
                                        ; =>    This Inner Loop Header: Depth=3
	s_waitcnt vmcnt(0)
	v_add_f32_e32 v10, v11, v25
	global_atomic_cmpswap v10, v[8:9], v[10:11], off glc
	s_waitcnt vmcnt(0)
	v_cmp_eq_u32_e32 vcc, v10, v11
	s_or_b64 s[26:27], vcc, s[26:27]
	v_mov_b32_e32 v11, v10
	s_andn2_b64 exec, exec, s[26:27]
	s_cbranch_execnz .LBB292_12
; %bb.13:                               ;   in Loop: Header=BB292_11 Depth=2
	s_or_b64 exec, exec, s[26:27]
	global_load_dword v11, v[8:9], off offset:4
	v_fma_f32 v24, v21, v24, v23
	s_mov_b64 s[26:27], 0
.LBB292_14:                             ;   Parent Loop BB292_9 Depth=1
                                        ;     Parent Loop BB292_11 Depth=2
                                        ; =>    This Inner Loop Header: Depth=3
	s_waitcnt vmcnt(0)
	v_add_f32_e32 v10, v11, v24
	global_atomic_cmpswap v10, v[8:9], v[10:11], off offset:4 glc
	s_waitcnt vmcnt(0)
	v_cmp_eq_u32_e32 vcc, v10, v11
	s_or_b64 s[26:27], vcc, s[26:27]
	v_mov_b32_e32 v11, v10
	s_andn2_b64 exec, exec, s[26:27]
	s_cbranch_execnz .LBB292_14
; %bb.15:                               ;   in Loop: Header=BB292_11 Depth=2
	s_or_b64 exec, exec, s[26:27]
	v_add_co_u32_e32 v6, vcc, 4, v6
	v_addc_co_u32_e32 v7, vcc, 0, v7, vcc
	v_cmp_ge_i64_e32 vcc, v[6:7], v[4:5]
	s_or_b64 s[24:25], vcc, s[24:25]
	s_andn2_b64 exec, exec, s[24:25]
	s_cbranch_execnz .LBB292_11
	s_branch .LBB292_8
.LBB292_16:
	s_or_b64 exec, exec, s[4:5]
	s_mov_b64 s[4:5], 0
.LBB292_17:
	s_andn2_b64 vcc, exec, s[4:5]
	s_cbranch_vccnz .LBB292_29
; %bb.18:
	s_and_b64 exec, exec, s[0:1]
	s_cbranch_execz .LBB292_29
; %bb.19:
	v_subrev_co_u32_e32 v10, vcc, s2, v14
	s_mov_b32 s4, 0
	v_subb_co_u32_e64 v11, s[0:1], 0, 0, vcc
	s_mov_b64 s[0:1], 0
	v_mov_b32_e32 v14, s13
	v_mov_b32_e32 v15, s15
	;; [unrolled: 1-line block ×3, first 2 shown]
	s_branch .LBB292_21
.LBB292_20:                             ;   in Loop: Header=BB292_21 Depth=1
	s_or_b64 exec, exec, s[4:5]
	v_add_co_u32_e32 v0, vcc, s3, v0
	v_addc_co_u32_e32 v1, vcc, 0, v1, vcc
	v_cmp_le_i64_e32 vcc, s[8:9], v[0:1]
	s_or_b64 s[0:1], vcc, s[0:1]
	s_andn2_b64 exec, exec, s[0:1]
	s_cbranch_execz .LBB292_29
.LBB292_21:                             ; =>This Loop Header: Depth=1
                                        ;     Child Loop BB292_24 Depth 2
                                        ;       Child Loop BB292_26 Depth 3
                                        ;       Child Loop BB292_28 Depth 3
	v_lshlrev_b64 v[6:7], 3, v[0:1]
	v_add_co_u32_e32 v2, vcc, s14, v6
	v_addc_co_u32_e32 v3, vcc, v15, v7, vcc
	global_load_dwordx2 v[2:3], v[2:3], off
	v_add_co_u32_e32 v4, vcc, s12, v6
	v_addc_co_u32_e32 v5, vcc, v14, v7, vcc
	global_load_dwordx2 v[4:5], v[4:5], off
	s_waitcnt vmcnt(1)
	v_subrev_co_u32_e32 v2, vcc, s2, v2
	v_subb_co_u32_e32 v3, vcc, v3, v16, vcc
	s_waitcnt vmcnt(0)
	v_add_co_u32_e32 v4, vcc, v4, v10
	v_addc_co_u32_e32 v5, vcc, v5, v11, vcc
	v_cmp_lt_i64_e32 vcc, v[4:5], v[2:3]
	s_and_saveexec_b64 s[4:5], vcc
	s_cbranch_execz .LBB292_20
; %bb.22:                               ;   in Loop: Header=BB292_21 Depth=1
	v_mov_b32_e32 v8, s21
	v_add_co_u32_e32 v6, vcc, s20, v6
	v_addc_co_u32_e32 v7, vcc, v8, v7, vcc
	global_load_dwordx2 v[6:7], v[6:7], off
	s_mov_b64 s[6:7], 0
	s_waitcnt vmcnt(0)
	v_mul_f32_e64 v17, v7, -v13
	v_mul_f32_e32 v18, v12, v7
	v_fmac_f32_e32 v17, v12, v6
	v_fmac_f32_e32 v18, v13, v6
	v_mul_f32_e32 v19, 0x80000000, v18
	v_mul_f32_e32 v20, 0, v17
	s_branch .LBB292_24
.LBB292_23:                             ;   in Loop: Header=BB292_24 Depth=2
	s_or_b64 exec, exec, s[10:11]
	v_add_co_u32_e32 v4, vcc, 4, v4
	v_addc_co_u32_e32 v5, vcc, 0, v5, vcc
	v_cmp_ge_i64_e32 vcc, v[4:5], v[2:3]
	s_or_b64 s[6:7], vcc, s[6:7]
	s_andn2_b64 exec, exec, s[6:7]
	s_cbranch_execz .LBB292_20
.LBB292_24:                             ;   Parent Loop BB292_21 Depth=1
                                        ; =>  This Loop Header: Depth=2
                                        ;       Child Loop BB292_26 Depth 3
                                        ;       Child Loop BB292_28 Depth 3
	v_lshlrev_b64 v[6:7], 3, v[4:5]
	v_mov_b32_e32 v8, s17
	v_add_co_u32_e32 v6, vcc, s16, v6
	v_addc_co_u32_e32 v7, vcc, v8, v7, vcc
	global_load_dwordx2 v[6:7], v[6:7], off
	s_waitcnt vmcnt(0)
	v_subrev_co_u32_e32 v6, vcc, s2, v6
	v_subb_co_u32_e32 v7, vcc, v7, v16, vcc
	v_cmp_ne_u64_e32 vcc, v[6:7], v[0:1]
	s_and_saveexec_b64 s[10:11], vcc
	s_cbranch_execz .LBB292_23
; %bb.25:                               ;   in Loop: Header=BB292_24 Depth=2
	v_lshlrev_b64 v[8:9], 2, v[4:5]
	v_mov_b32_e32 v21, s19
	v_add_co_u32_e32 v8, vcc, s18, v8
	v_addc_co_u32_e32 v9, vcc, v21, v9, vcc
	v_lshlrev_b64 v[6:7], 3, v[6:7]
	global_load_dword v21, v[8:9], off
	v_mov_b32_e32 v8, s23
	v_add_co_u32_e32 v6, vcc, s22, v6
	v_addc_co_u32_e32 v7, vcc, v8, v7, vcc
	global_load_dword v9, v[6:7], off
	s_mov_b64 s[24:25], 0
	s_waitcnt vmcnt(1)
	v_fma_f32 v22, v17, v21, v19
.LBB292_26:                             ;   Parent Loop BB292_21 Depth=1
                                        ;     Parent Loop BB292_24 Depth=2
                                        ; =>    This Inner Loop Header: Depth=3
	s_waitcnt vmcnt(0)
	v_add_f32_e32 v8, v9, v22
	global_atomic_cmpswap v8, v[6:7], v[8:9], off glc
	s_waitcnt vmcnt(0)
	v_cmp_eq_u32_e32 vcc, v8, v9
	s_or_b64 s[24:25], vcc, s[24:25]
	v_mov_b32_e32 v9, v8
	s_andn2_b64 exec, exec, s[24:25]
	s_cbranch_execnz .LBB292_26
; %bb.27:                               ;   in Loop: Header=BB292_24 Depth=2
	s_or_b64 exec, exec, s[24:25]
	global_load_dword v9, v[6:7], off offset:4
	v_fma_f32 v21, v18, v21, v20
	s_mov_b64 s[24:25], 0
.LBB292_28:                             ;   Parent Loop BB292_21 Depth=1
                                        ;     Parent Loop BB292_24 Depth=2
                                        ; =>    This Inner Loop Header: Depth=3
	s_waitcnt vmcnt(0)
	v_add_f32_e32 v8, v9, v21
	global_atomic_cmpswap v8, v[6:7], v[8:9], off offset:4 glc
	s_waitcnt vmcnt(0)
	v_cmp_eq_u32_e32 vcc, v8, v9
	s_or_b64 s[24:25], vcc, s[24:25]
	v_mov_b32_e32 v9, v8
	s_andn2_b64 exec, exec, s[24:25]
	s_cbranch_execnz .LBB292_28
	s_branch .LBB292_23
.LBB292_29:
	s_endpgm
	.section	.rodata,"a",@progbits
	.p2align	6, 0x0
	.amdhsa_kernel _ZN9rocsparseL21csrmvt_general_kernelILj256ELj4Ellf21rocsparse_complex_numIfES2_S2_EEvbbT2_NS_24const_host_device_scalarIT6_EEPKT1_S9_PKS3_PKT3_PKT4_PT5_21rocsparse_index_base_b
		.amdhsa_group_segment_fixed_size 0
		.amdhsa_private_segment_fixed_size 0
		.amdhsa_kernarg_size 336
		.amdhsa_user_sgpr_count 6
		.amdhsa_user_sgpr_private_segment_buffer 1
		.amdhsa_user_sgpr_dispatch_ptr 0
		.amdhsa_user_sgpr_queue_ptr 0
		.amdhsa_user_sgpr_kernarg_segment_ptr 1
		.amdhsa_user_sgpr_dispatch_id 0
		.amdhsa_user_sgpr_flat_scratch_init 0
		.amdhsa_user_sgpr_kernarg_preload_length 0
		.amdhsa_user_sgpr_kernarg_preload_offset 0
		.amdhsa_user_sgpr_private_segment_size 0
		.amdhsa_uses_dynamic_stack 0
		.amdhsa_system_sgpr_private_segment_wavefront_offset 0
		.amdhsa_system_sgpr_workgroup_id_x 1
		.amdhsa_system_sgpr_workgroup_id_y 0
		.amdhsa_system_sgpr_workgroup_id_z 0
		.amdhsa_system_sgpr_workgroup_info 0
		.amdhsa_system_vgpr_workitem_id 0
		.amdhsa_next_free_vgpr 26
		.amdhsa_next_free_sgpr 28
		.amdhsa_accum_offset 28
		.amdhsa_reserve_vcc 1
		.amdhsa_reserve_flat_scratch 0
		.amdhsa_float_round_mode_32 0
		.amdhsa_float_round_mode_16_64 0
		.amdhsa_float_denorm_mode_32 3
		.amdhsa_float_denorm_mode_16_64 3
		.amdhsa_dx10_clamp 1
		.amdhsa_ieee_mode 1
		.amdhsa_fp16_overflow 0
		.amdhsa_tg_split 0
		.amdhsa_exception_fp_ieee_invalid_op 0
		.amdhsa_exception_fp_denorm_src 0
		.amdhsa_exception_fp_ieee_div_zero 0
		.amdhsa_exception_fp_ieee_overflow 0
		.amdhsa_exception_fp_ieee_underflow 0
		.amdhsa_exception_fp_ieee_inexact 0
		.amdhsa_exception_int_div_zero 0
	.end_amdhsa_kernel
	.section	.text._ZN9rocsparseL21csrmvt_general_kernelILj256ELj4Ellf21rocsparse_complex_numIfES2_S2_EEvbbT2_NS_24const_host_device_scalarIT6_EEPKT1_S9_PKS3_PKT3_PKT4_PT5_21rocsparse_index_base_b,"axG",@progbits,_ZN9rocsparseL21csrmvt_general_kernelILj256ELj4Ellf21rocsparse_complex_numIfES2_S2_EEvbbT2_NS_24const_host_device_scalarIT6_EEPKT1_S9_PKS3_PKT3_PKT4_PT5_21rocsparse_index_base_b,comdat
.Lfunc_end292:
	.size	_ZN9rocsparseL21csrmvt_general_kernelILj256ELj4Ellf21rocsparse_complex_numIfES2_S2_EEvbbT2_NS_24const_host_device_scalarIT6_EEPKT1_S9_PKS3_PKT3_PKT4_PT5_21rocsparse_index_base_b, .Lfunc_end292-_ZN9rocsparseL21csrmvt_general_kernelILj256ELj4Ellf21rocsparse_complex_numIfES2_S2_EEvbbT2_NS_24const_host_device_scalarIT6_EEPKT1_S9_PKS3_PKT3_PKT4_PT5_21rocsparse_index_base_b
                                        ; -- End function
	.section	.AMDGPU.csdata,"",@progbits
; Kernel info:
; codeLenInByte = 1156
; NumSgprs: 32
; NumVgprs: 26
; NumAgprs: 0
; TotalNumVgprs: 26
; ScratchSize: 0
; MemoryBound: 0
; FloatMode: 240
; IeeeMode: 1
; LDSByteSize: 0 bytes/workgroup (compile time only)
; SGPRBlocks: 3
; VGPRBlocks: 3
; NumSGPRsForWavesPerEU: 32
; NumVGPRsForWavesPerEU: 26
; AccumOffset: 28
; Occupancy: 8
; WaveLimiterHint : 1
; COMPUTE_PGM_RSRC2:SCRATCH_EN: 0
; COMPUTE_PGM_RSRC2:USER_SGPR: 6
; COMPUTE_PGM_RSRC2:TRAP_HANDLER: 0
; COMPUTE_PGM_RSRC2:TGID_X_EN: 1
; COMPUTE_PGM_RSRC2:TGID_Y_EN: 0
; COMPUTE_PGM_RSRC2:TGID_Z_EN: 0
; COMPUTE_PGM_RSRC2:TIDIG_COMP_CNT: 0
; COMPUTE_PGM_RSRC3_GFX90A:ACCUM_OFFSET: 6
; COMPUTE_PGM_RSRC3_GFX90A:TG_SPLIT: 0
	.section	.text._ZN9rocsparseL21csrmvt_general_kernelILj256ELj8Ellf21rocsparse_complex_numIfES2_S2_EEvbbT2_NS_24const_host_device_scalarIT6_EEPKT1_S9_PKS3_PKT3_PKT4_PT5_21rocsparse_index_base_b,"axG",@progbits,_ZN9rocsparseL21csrmvt_general_kernelILj256ELj8Ellf21rocsparse_complex_numIfES2_S2_EEvbbT2_NS_24const_host_device_scalarIT6_EEPKT1_S9_PKS3_PKT3_PKT4_PT5_21rocsparse_index_base_b,comdat
	.globl	_ZN9rocsparseL21csrmvt_general_kernelILj256ELj8Ellf21rocsparse_complex_numIfES2_S2_EEvbbT2_NS_24const_host_device_scalarIT6_EEPKT1_S9_PKS3_PKT3_PKT4_PT5_21rocsparse_index_base_b ; -- Begin function _ZN9rocsparseL21csrmvt_general_kernelILj256ELj8Ellf21rocsparse_complex_numIfES2_S2_EEvbbT2_NS_24const_host_device_scalarIT6_EEPKT1_S9_PKS3_PKT3_PKT4_PT5_21rocsparse_index_base_b
	.p2align	8
	.type	_ZN9rocsparseL21csrmvt_general_kernelILj256ELj8Ellf21rocsparse_complex_numIfES2_S2_EEvbbT2_NS_24const_host_device_scalarIT6_EEPKT1_S9_PKS3_PKT3_PKT4_PT5_21rocsparse_index_base_b,@function
_ZN9rocsparseL21csrmvt_general_kernelILj256ELj8Ellf21rocsparse_complex_numIfES2_S2_EEvbbT2_NS_24const_host_device_scalarIT6_EEPKT1_S9_PKS3_PKT3_PKT4_PT5_21rocsparse_index_base_b: ; @_ZN9rocsparseL21csrmvt_general_kernelILj256ELj8Ellf21rocsparse_complex_numIfES2_S2_EEvbbT2_NS_24const_host_device_scalarIT6_EEPKT1_S9_PKS3_PKT3_PKT4_PT5_21rocsparse_index_base_b
; %bb.0:
	s_load_dwordx2 s[2:3], s[4:5], 0x48
	s_load_dwordx2 s[0:1], s[4:5], 0x10
	s_load_dwordx8 s[8:15], s[4:5], 0x8
	s_waitcnt lgkmcnt(0)
	s_bitcmp1_b32 s3, 0
	s_cselect_b64 s[18:19], -1, 0
	s_xor_b64 s[16:17], s[18:19], -1
	s_and_b64 vcc, exec, s[18:19]
	v_mov_b32_e32 v12, s0
	s_cbranch_vccnz .LBB293_2
; %bb.1:
	v_pk_mov_b32 v[2:3], s[10:11], s[10:11] op_sel:[0,1]
	flat_load_dword v12, v[2:3]
.LBB293_2:
	s_andn2_b64 vcc, exec, s[16:17]
	v_mov_b32_e32 v13, s1
	s_cbranch_vccnz .LBB293_4
; %bb.3:
	v_pk_mov_b32 v[2:3], s[10:11], s[10:11] op_sel:[0,1]
	flat_load_dword v13, v[2:3] offset:4
.LBB293_4:
	s_waitcnt vmcnt(0) lgkmcnt(0)
	v_cmp_neq_f32_e32 vcc, 0, v12
	v_cmp_neq_f32_e64 s[0:1], 0, v13
	s_or_b64 s[0:1], vcc, s[0:1]
	s_and_saveexec_b64 s[10:11], s[0:1]
	s_cbranch_execz .LBB293_29
; %bb.5:
	s_load_dword s0, s[4:5], 0x0
	s_load_dword s1, s[4:5], 0x50
	s_load_dwordx8 s[16:23], s[4:5], 0x28
	v_and_b32_e32 v14, 7, v0
	v_lshl_or_b32 v0, s6, 8, v0
	s_waitcnt lgkmcnt(0)
	s_and_b32 s0, s0, 1
	s_lshl_b32 s3, s1, 5
	v_lshrrev_b32_e32 v0, 3, v0
	v_mov_b32_e32 v1, 0
	s_cmp_eq_u32 s0, 0
	v_cmp_gt_i64_e64 s[0:1], s[8:9], v[0:1]
	s_mov_b64 s[4:5], -1
	s_cbranch_scc0 .LBB293_17
; %bb.6:
	s_and_saveexec_b64 s[4:5], s[0:1]
	s_cbranch_execz .LBB293_16
; %bb.7:
	v_subrev_co_u32_e32 v15, vcc, s2, v14
	s_mov_b32 s10, 0
	v_subb_co_u32_e64 v16, s[6:7], 0, 0, vcc
	s_mov_b64 s[6:7], 0
	v_mov_b32_e32 v17, s13
	v_mov_b32_e32 v18, s15
	;; [unrolled: 1-line block ×3, first 2 shown]
	v_pk_mov_b32 v[2:3], v[0:1], v[0:1] op_sel:[0,1]
	s_branch .LBB293_9
.LBB293_8:                              ;   in Loop: Header=BB293_9 Depth=1
	s_or_b64 exec, exec, s[10:11]
	v_add_co_u32_e32 v2, vcc, s3, v2
	v_addc_co_u32_e32 v3, vcc, 0, v3, vcc
	v_cmp_le_i64_e32 vcc, s[8:9], v[2:3]
	s_or_b64 s[6:7], vcc, s[6:7]
	s_andn2_b64 exec, exec, s[6:7]
	s_cbranch_execz .LBB293_16
.LBB293_9:                              ; =>This Loop Header: Depth=1
                                        ;     Child Loop BB293_11 Depth 2
                                        ;       Child Loop BB293_12 Depth 3
                                        ;       Child Loop BB293_14 Depth 3
	v_lshlrev_b64 v[8:9], 3, v[2:3]
	v_add_co_u32_e32 v4, vcc, s14, v8
	v_addc_co_u32_e32 v5, vcc, v18, v9, vcc
	global_load_dwordx2 v[4:5], v[4:5], off
	v_add_co_u32_e32 v6, vcc, s12, v8
	v_addc_co_u32_e32 v7, vcc, v17, v9, vcc
	global_load_dwordx2 v[6:7], v[6:7], off
	s_waitcnt vmcnt(1)
	v_subrev_co_u32_e32 v4, vcc, s2, v4
	v_subb_co_u32_e32 v5, vcc, v5, v19, vcc
	s_waitcnt vmcnt(0)
	v_add_co_u32_e32 v6, vcc, v6, v15
	v_addc_co_u32_e32 v7, vcc, v7, v16, vcc
	v_cmp_lt_i64_e32 vcc, v[6:7], v[4:5]
	s_and_saveexec_b64 s[10:11], vcc
	s_cbranch_execz .LBB293_8
; %bb.10:                               ;   in Loop: Header=BB293_9 Depth=1
	v_mov_b32_e32 v10, s21
	v_add_co_u32_e32 v8, vcc, s20, v8
	v_addc_co_u32_e32 v9, vcc, v10, v9, vcc
	global_load_dwordx2 v[8:9], v[8:9], off
	s_mov_b64 s[24:25], 0
	s_waitcnt vmcnt(0)
	v_mul_f32_e64 v20, v9, -v13
	v_mul_f32_e32 v21, v12, v9
	v_fmac_f32_e32 v20, v12, v8
	v_fmac_f32_e32 v21, v13, v8
	v_mul_f32_e32 v22, 0x80000000, v21
	v_mul_f32_e32 v23, 0, v20
.LBB293_11:                             ;   Parent Loop BB293_9 Depth=1
                                        ; =>  This Loop Header: Depth=2
                                        ;       Child Loop BB293_12 Depth 3
                                        ;       Child Loop BB293_14 Depth 3
	v_lshlrev_b64 v[8:9], 3, v[6:7]
	v_mov_b32_e32 v10, s17
	v_add_co_u32_e32 v8, vcc, s16, v8
	v_addc_co_u32_e32 v9, vcc, v10, v9, vcc
	global_load_dwordx2 v[8:9], v[8:9], off
	v_lshlrev_b64 v[10:11], 2, v[6:7]
	v_mov_b32_e32 v24, s19
	v_add_co_u32_e32 v10, vcc, s18, v10
	v_addc_co_u32_e32 v11, vcc, v24, v11, vcc
	v_mov_b32_e32 v25, s23
	global_load_dword v24, v[10:11], off
	s_mov_b64 s[26:27], 0
	s_waitcnt vmcnt(1)
	v_subrev_co_u32_e32 v8, vcc, s2, v8
	v_subb_co_u32_e32 v9, vcc, v9, v19, vcc
	v_lshlrev_b64 v[8:9], 3, v[8:9]
	v_add_co_u32_e32 v8, vcc, s22, v8
	v_addc_co_u32_e32 v9, vcc, v25, v9, vcc
	global_load_dword v11, v[8:9], off
	s_waitcnt vmcnt(1)
	v_fma_f32 v25, v20, v24, v22
.LBB293_12:                             ;   Parent Loop BB293_9 Depth=1
                                        ;     Parent Loop BB293_11 Depth=2
                                        ; =>    This Inner Loop Header: Depth=3
	s_waitcnt vmcnt(0)
	v_add_f32_e32 v10, v11, v25
	global_atomic_cmpswap v10, v[8:9], v[10:11], off glc
	s_waitcnt vmcnt(0)
	v_cmp_eq_u32_e32 vcc, v10, v11
	s_or_b64 s[26:27], vcc, s[26:27]
	v_mov_b32_e32 v11, v10
	s_andn2_b64 exec, exec, s[26:27]
	s_cbranch_execnz .LBB293_12
; %bb.13:                               ;   in Loop: Header=BB293_11 Depth=2
	s_or_b64 exec, exec, s[26:27]
	global_load_dword v11, v[8:9], off offset:4
	v_fma_f32 v24, v21, v24, v23
	s_mov_b64 s[26:27], 0
.LBB293_14:                             ;   Parent Loop BB293_9 Depth=1
                                        ;     Parent Loop BB293_11 Depth=2
                                        ; =>    This Inner Loop Header: Depth=3
	s_waitcnt vmcnt(0)
	v_add_f32_e32 v10, v11, v24
	global_atomic_cmpswap v10, v[8:9], v[10:11], off offset:4 glc
	s_waitcnt vmcnt(0)
	v_cmp_eq_u32_e32 vcc, v10, v11
	s_or_b64 s[26:27], vcc, s[26:27]
	v_mov_b32_e32 v11, v10
	s_andn2_b64 exec, exec, s[26:27]
	s_cbranch_execnz .LBB293_14
; %bb.15:                               ;   in Loop: Header=BB293_11 Depth=2
	s_or_b64 exec, exec, s[26:27]
	v_add_co_u32_e32 v6, vcc, 8, v6
	v_addc_co_u32_e32 v7, vcc, 0, v7, vcc
	v_cmp_ge_i64_e32 vcc, v[6:7], v[4:5]
	s_or_b64 s[24:25], vcc, s[24:25]
	s_andn2_b64 exec, exec, s[24:25]
	s_cbranch_execnz .LBB293_11
	s_branch .LBB293_8
.LBB293_16:
	s_or_b64 exec, exec, s[4:5]
	s_mov_b64 s[4:5], 0
.LBB293_17:
	s_andn2_b64 vcc, exec, s[4:5]
	s_cbranch_vccnz .LBB293_29
; %bb.18:
	s_and_b64 exec, exec, s[0:1]
	s_cbranch_execz .LBB293_29
; %bb.19:
	v_subrev_co_u32_e32 v10, vcc, s2, v14
	s_mov_b32 s4, 0
	v_subb_co_u32_e64 v11, s[0:1], 0, 0, vcc
	s_mov_b64 s[0:1], 0
	v_mov_b32_e32 v14, s13
	v_mov_b32_e32 v15, s15
	;; [unrolled: 1-line block ×3, first 2 shown]
	s_branch .LBB293_21
.LBB293_20:                             ;   in Loop: Header=BB293_21 Depth=1
	s_or_b64 exec, exec, s[4:5]
	v_add_co_u32_e32 v0, vcc, s3, v0
	v_addc_co_u32_e32 v1, vcc, 0, v1, vcc
	v_cmp_le_i64_e32 vcc, s[8:9], v[0:1]
	s_or_b64 s[0:1], vcc, s[0:1]
	s_andn2_b64 exec, exec, s[0:1]
	s_cbranch_execz .LBB293_29
.LBB293_21:                             ; =>This Loop Header: Depth=1
                                        ;     Child Loop BB293_24 Depth 2
                                        ;       Child Loop BB293_26 Depth 3
                                        ;       Child Loop BB293_28 Depth 3
	v_lshlrev_b64 v[6:7], 3, v[0:1]
	v_add_co_u32_e32 v2, vcc, s14, v6
	v_addc_co_u32_e32 v3, vcc, v15, v7, vcc
	global_load_dwordx2 v[2:3], v[2:3], off
	v_add_co_u32_e32 v4, vcc, s12, v6
	v_addc_co_u32_e32 v5, vcc, v14, v7, vcc
	global_load_dwordx2 v[4:5], v[4:5], off
	s_waitcnt vmcnt(1)
	v_subrev_co_u32_e32 v2, vcc, s2, v2
	v_subb_co_u32_e32 v3, vcc, v3, v16, vcc
	s_waitcnt vmcnt(0)
	v_add_co_u32_e32 v4, vcc, v4, v10
	v_addc_co_u32_e32 v5, vcc, v5, v11, vcc
	v_cmp_lt_i64_e32 vcc, v[4:5], v[2:3]
	s_and_saveexec_b64 s[4:5], vcc
	s_cbranch_execz .LBB293_20
; %bb.22:                               ;   in Loop: Header=BB293_21 Depth=1
	v_mov_b32_e32 v8, s21
	v_add_co_u32_e32 v6, vcc, s20, v6
	v_addc_co_u32_e32 v7, vcc, v8, v7, vcc
	global_load_dwordx2 v[6:7], v[6:7], off
	s_mov_b64 s[6:7], 0
	s_waitcnt vmcnt(0)
	v_mul_f32_e64 v17, v7, -v13
	v_mul_f32_e32 v18, v12, v7
	v_fmac_f32_e32 v17, v12, v6
	v_fmac_f32_e32 v18, v13, v6
	v_mul_f32_e32 v19, 0x80000000, v18
	v_mul_f32_e32 v20, 0, v17
	s_branch .LBB293_24
.LBB293_23:                             ;   in Loop: Header=BB293_24 Depth=2
	s_or_b64 exec, exec, s[10:11]
	v_add_co_u32_e32 v4, vcc, 8, v4
	v_addc_co_u32_e32 v5, vcc, 0, v5, vcc
	v_cmp_ge_i64_e32 vcc, v[4:5], v[2:3]
	s_or_b64 s[6:7], vcc, s[6:7]
	s_andn2_b64 exec, exec, s[6:7]
	s_cbranch_execz .LBB293_20
.LBB293_24:                             ;   Parent Loop BB293_21 Depth=1
                                        ; =>  This Loop Header: Depth=2
                                        ;       Child Loop BB293_26 Depth 3
                                        ;       Child Loop BB293_28 Depth 3
	v_lshlrev_b64 v[6:7], 3, v[4:5]
	v_mov_b32_e32 v8, s17
	v_add_co_u32_e32 v6, vcc, s16, v6
	v_addc_co_u32_e32 v7, vcc, v8, v7, vcc
	global_load_dwordx2 v[6:7], v[6:7], off
	s_waitcnt vmcnt(0)
	v_subrev_co_u32_e32 v6, vcc, s2, v6
	v_subb_co_u32_e32 v7, vcc, v7, v16, vcc
	v_cmp_ne_u64_e32 vcc, v[6:7], v[0:1]
	s_and_saveexec_b64 s[10:11], vcc
	s_cbranch_execz .LBB293_23
; %bb.25:                               ;   in Loop: Header=BB293_24 Depth=2
	v_lshlrev_b64 v[8:9], 2, v[4:5]
	v_mov_b32_e32 v21, s19
	v_add_co_u32_e32 v8, vcc, s18, v8
	v_addc_co_u32_e32 v9, vcc, v21, v9, vcc
	v_lshlrev_b64 v[6:7], 3, v[6:7]
	global_load_dword v21, v[8:9], off
	v_mov_b32_e32 v8, s23
	v_add_co_u32_e32 v6, vcc, s22, v6
	v_addc_co_u32_e32 v7, vcc, v8, v7, vcc
	global_load_dword v9, v[6:7], off
	s_mov_b64 s[24:25], 0
	s_waitcnt vmcnt(1)
	v_fma_f32 v22, v17, v21, v19
.LBB293_26:                             ;   Parent Loop BB293_21 Depth=1
                                        ;     Parent Loop BB293_24 Depth=2
                                        ; =>    This Inner Loop Header: Depth=3
	s_waitcnt vmcnt(0)
	v_add_f32_e32 v8, v9, v22
	global_atomic_cmpswap v8, v[6:7], v[8:9], off glc
	s_waitcnt vmcnt(0)
	v_cmp_eq_u32_e32 vcc, v8, v9
	s_or_b64 s[24:25], vcc, s[24:25]
	v_mov_b32_e32 v9, v8
	s_andn2_b64 exec, exec, s[24:25]
	s_cbranch_execnz .LBB293_26
; %bb.27:                               ;   in Loop: Header=BB293_24 Depth=2
	s_or_b64 exec, exec, s[24:25]
	global_load_dword v9, v[6:7], off offset:4
	v_fma_f32 v21, v18, v21, v20
	s_mov_b64 s[24:25], 0
.LBB293_28:                             ;   Parent Loop BB293_21 Depth=1
                                        ;     Parent Loop BB293_24 Depth=2
                                        ; =>    This Inner Loop Header: Depth=3
	s_waitcnt vmcnt(0)
	v_add_f32_e32 v8, v9, v21
	global_atomic_cmpswap v8, v[6:7], v[8:9], off offset:4 glc
	s_waitcnt vmcnt(0)
	v_cmp_eq_u32_e32 vcc, v8, v9
	s_or_b64 s[24:25], vcc, s[24:25]
	v_mov_b32_e32 v9, v8
	s_andn2_b64 exec, exec, s[24:25]
	s_cbranch_execnz .LBB293_28
	s_branch .LBB293_23
.LBB293_29:
	s_endpgm
	.section	.rodata,"a",@progbits
	.p2align	6, 0x0
	.amdhsa_kernel _ZN9rocsparseL21csrmvt_general_kernelILj256ELj8Ellf21rocsparse_complex_numIfES2_S2_EEvbbT2_NS_24const_host_device_scalarIT6_EEPKT1_S9_PKS3_PKT3_PKT4_PT5_21rocsparse_index_base_b
		.amdhsa_group_segment_fixed_size 0
		.amdhsa_private_segment_fixed_size 0
		.amdhsa_kernarg_size 336
		.amdhsa_user_sgpr_count 6
		.amdhsa_user_sgpr_private_segment_buffer 1
		.amdhsa_user_sgpr_dispatch_ptr 0
		.amdhsa_user_sgpr_queue_ptr 0
		.amdhsa_user_sgpr_kernarg_segment_ptr 1
		.amdhsa_user_sgpr_dispatch_id 0
		.amdhsa_user_sgpr_flat_scratch_init 0
		.amdhsa_user_sgpr_kernarg_preload_length 0
		.amdhsa_user_sgpr_kernarg_preload_offset 0
		.amdhsa_user_sgpr_private_segment_size 0
		.amdhsa_uses_dynamic_stack 0
		.amdhsa_system_sgpr_private_segment_wavefront_offset 0
		.amdhsa_system_sgpr_workgroup_id_x 1
		.amdhsa_system_sgpr_workgroup_id_y 0
		.amdhsa_system_sgpr_workgroup_id_z 0
		.amdhsa_system_sgpr_workgroup_info 0
		.amdhsa_system_vgpr_workitem_id 0
		.amdhsa_next_free_vgpr 26
		.amdhsa_next_free_sgpr 28
		.amdhsa_accum_offset 28
		.amdhsa_reserve_vcc 1
		.amdhsa_reserve_flat_scratch 0
		.amdhsa_float_round_mode_32 0
		.amdhsa_float_round_mode_16_64 0
		.amdhsa_float_denorm_mode_32 3
		.amdhsa_float_denorm_mode_16_64 3
		.amdhsa_dx10_clamp 1
		.amdhsa_ieee_mode 1
		.amdhsa_fp16_overflow 0
		.amdhsa_tg_split 0
		.amdhsa_exception_fp_ieee_invalid_op 0
		.amdhsa_exception_fp_denorm_src 0
		.amdhsa_exception_fp_ieee_div_zero 0
		.amdhsa_exception_fp_ieee_overflow 0
		.amdhsa_exception_fp_ieee_underflow 0
		.amdhsa_exception_fp_ieee_inexact 0
		.amdhsa_exception_int_div_zero 0
	.end_amdhsa_kernel
	.section	.text._ZN9rocsparseL21csrmvt_general_kernelILj256ELj8Ellf21rocsparse_complex_numIfES2_S2_EEvbbT2_NS_24const_host_device_scalarIT6_EEPKT1_S9_PKS3_PKT3_PKT4_PT5_21rocsparse_index_base_b,"axG",@progbits,_ZN9rocsparseL21csrmvt_general_kernelILj256ELj8Ellf21rocsparse_complex_numIfES2_S2_EEvbbT2_NS_24const_host_device_scalarIT6_EEPKT1_S9_PKS3_PKT3_PKT4_PT5_21rocsparse_index_base_b,comdat
.Lfunc_end293:
	.size	_ZN9rocsparseL21csrmvt_general_kernelILj256ELj8Ellf21rocsparse_complex_numIfES2_S2_EEvbbT2_NS_24const_host_device_scalarIT6_EEPKT1_S9_PKS3_PKT3_PKT4_PT5_21rocsparse_index_base_b, .Lfunc_end293-_ZN9rocsparseL21csrmvt_general_kernelILj256ELj8Ellf21rocsparse_complex_numIfES2_S2_EEvbbT2_NS_24const_host_device_scalarIT6_EEPKT1_S9_PKS3_PKT3_PKT4_PT5_21rocsparse_index_base_b
                                        ; -- End function
	.section	.AMDGPU.csdata,"",@progbits
; Kernel info:
; codeLenInByte = 1156
; NumSgprs: 32
; NumVgprs: 26
; NumAgprs: 0
; TotalNumVgprs: 26
; ScratchSize: 0
; MemoryBound: 0
; FloatMode: 240
; IeeeMode: 1
; LDSByteSize: 0 bytes/workgroup (compile time only)
; SGPRBlocks: 3
; VGPRBlocks: 3
; NumSGPRsForWavesPerEU: 32
; NumVGPRsForWavesPerEU: 26
; AccumOffset: 28
; Occupancy: 8
; WaveLimiterHint : 1
; COMPUTE_PGM_RSRC2:SCRATCH_EN: 0
; COMPUTE_PGM_RSRC2:USER_SGPR: 6
; COMPUTE_PGM_RSRC2:TRAP_HANDLER: 0
; COMPUTE_PGM_RSRC2:TGID_X_EN: 1
; COMPUTE_PGM_RSRC2:TGID_Y_EN: 0
; COMPUTE_PGM_RSRC2:TGID_Z_EN: 0
; COMPUTE_PGM_RSRC2:TIDIG_COMP_CNT: 0
; COMPUTE_PGM_RSRC3_GFX90A:ACCUM_OFFSET: 6
; COMPUTE_PGM_RSRC3_GFX90A:TG_SPLIT: 0
	.section	.text._ZN9rocsparseL21csrmvt_general_kernelILj256ELj16Ellf21rocsparse_complex_numIfES2_S2_EEvbbT2_NS_24const_host_device_scalarIT6_EEPKT1_S9_PKS3_PKT3_PKT4_PT5_21rocsparse_index_base_b,"axG",@progbits,_ZN9rocsparseL21csrmvt_general_kernelILj256ELj16Ellf21rocsparse_complex_numIfES2_S2_EEvbbT2_NS_24const_host_device_scalarIT6_EEPKT1_S9_PKS3_PKT3_PKT4_PT5_21rocsparse_index_base_b,comdat
	.globl	_ZN9rocsparseL21csrmvt_general_kernelILj256ELj16Ellf21rocsparse_complex_numIfES2_S2_EEvbbT2_NS_24const_host_device_scalarIT6_EEPKT1_S9_PKS3_PKT3_PKT4_PT5_21rocsparse_index_base_b ; -- Begin function _ZN9rocsparseL21csrmvt_general_kernelILj256ELj16Ellf21rocsparse_complex_numIfES2_S2_EEvbbT2_NS_24const_host_device_scalarIT6_EEPKT1_S9_PKS3_PKT3_PKT4_PT5_21rocsparse_index_base_b
	.p2align	8
	.type	_ZN9rocsparseL21csrmvt_general_kernelILj256ELj16Ellf21rocsparse_complex_numIfES2_S2_EEvbbT2_NS_24const_host_device_scalarIT6_EEPKT1_S9_PKS3_PKT3_PKT4_PT5_21rocsparse_index_base_b,@function
_ZN9rocsparseL21csrmvt_general_kernelILj256ELj16Ellf21rocsparse_complex_numIfES2_S2_EEvbbT2_NS_24const_host_device_scalarIT6_EEPKT1_S9_PKS3_PKT3_PKT4_PT5_21rocsparse_index_base_b: ; @_ZN9rocsparseL21csrmvt_general_kernelILj256ELj16Ellf21rocsparse_complex_numIfES2_S2_EEvbbT2_NS_24const_host_device_scalarIT6_EEPKT1_S9_PKS3_PKT3_PKT4_PT5_21rocsparse_index_base_b
; %bb.0:
	s_load_dwordx2 s[2:3], s[4:5], 0x48
	s_load_dwordx2 s[0:1], s[4:5], 0x10
	s_load_dwordx8 s[8:15], s[4:5], 0x8
	s_waitcnt lgkmcnt(0)
	s_bitcmp1_b32 s3, 0
	s_cselect_b64 s[18:19], -1, 0
	s_xor_b64 s[16:17], s[18:19], -1
	s_and_b64 vcc, exec, s[18:19]
	v_mov_b32_e32 v12, s0
	s_cbranch_vccnz .LBB294_2
; %bb.1:
	v_pk_mov_b32 v[2:3], s[10:11], s[10:11] op_sel:[0,1]
	flat_load_dword v12, v[2:3]
.LBB294_2:
	s_andn2_b64 vcc, exec, s[16:17]
	v_mov_b32_e32 v13, s1
	s_cbranch_vccnz .LBB294_4
; %bb.3:
	v_pk_mov_b32 v[2:3], s[10:11], s[10:11] op_sel:[0,1]
	flat_load_dword v13, v[2:3] offset:4
.LBB294_4:
	s_waitcnt vmcnt(0) lgkmcnt(0)
	v_cmp_neq_f32_e32 vcc, 0, v12
	v_cmp_neq_f32_e64 s[0:1], 0, v13
	s_or_b64 s[0:1], vcc, s[0:1]
	s_and_saveexec_b64 s[10:11], s[0:1]
	s_cbranch_execz .LBB294_29
; %bb.5:
	s_load_dword s0, s[4:5], 0x0
	s_load_dword s1, s[4:5], 0x50
	s_load_dwordx8 s[16:23], s[4:5], 0x28
	v_and_b32_e32 v14, 15, v0
	v_lshl_or_b32 v0, s6, 8, v0
	s_waitcnt lgkmcnt(0)
	s_and_b32 s0, s0, 1
	s_lshl_b32 s3, s1, 4
	v_lshrrev_b32_e32 v0, 4, v0
	v_mov_b32_e32 v1, 0
	s_cmp_eq_u32 s0, 0
	v_cmp_gt_i64_e64 s[0:1], s[8:9], v[0:1]
	s_mov_b64 s[4:5], -1
	s_cbranch_scc0 .LBB294_17
; %bb.6:
	s_and_saveexec_b64 s[4:5], s[0:1]
	s_cbranch_execz .LBB294_16
; %bb.7:
	v_subrev_co_u32_e32 v15, vcc, s2, v14
	s_mov_b32 s10, 0
	v_subb_co_u32_e64 v16, s[6:7], 0, 0, vcc
	s_mov_b64 s[6:7], 0
	v_mov_b32_e32 v17, s13
	v_mov_b32_e32 v18, s15
	;; [unrolled: 1-line block ×3, first 2 shown]
	v_pk_mov_b32 v[2:3], v[0:1], v[0:1] op_sel:[0,1]
	s_branch .LBB294_9
.LBB294_8:                              ;   in Loop: Header=BB294_9 Depth=1
	s_or_b64 exec, exec, s[10:11]
	v_add_co_u32_e32 v2, vcc, s3, v2
	v_addc_co_u32_e32 v3, vcc, 0, v3, vcc
	v_cmp_le_i64_e32 vcc, s[8:9], v[2:3]
	s_or_b64 s[6:7], vcc, s[6:7]
	s_andn2_b64 exec, exec, s[6:7]
	s_cbranch_execz .LBB294_16
.LBB294_9:                              ; =>This Loop Header: Depth=1
                                        ;     Child Loop BB294_11 Depth 2
                                        ;       Child Loop BB294_12 Depth 3
                                        ;       Child Loop BB294_14 Depth 3
	v_lshlrev_b64 v[8:9], 3, v[2:3]
	v_add_co_u32_e32 v4, vcc, s14, v8
	v_addc_co_u32_e32 v5, vcc, v18, v9, vcc
	global_load_dwordx2 v[4:5], v[4:5], off
	v_add_co_u32_e32 v6, vcc, s12, v8
	v_addc_co_u32_e32 v7, vcc, v17, v9, vcc
	global_load_dwordx2 v[6:7], v[6:7], off
	s_waitcnt vmcnt(1)
	v_subrev_co_u32_e32 v4, vcc, s2, v4
	v_subb_co_u32_e32 v5, vcc, v5, v19, vcc
	s_waitcnt vmcnt(0)
	v_add_co_u32_e32 v6, vcc, v6, v15
	v_addc_co_u32_e32 v7, vcc, v7, v16, vcc
	v_cmp_lt_i64_e32 vcc, v[6:7], v[4:5]
	s_and_saveexec_b64 s[10:11], vcc
	s_cbranch_execz .LBB294_8
; %bb.10:                               ;   in Loop: Header=BB294_9 Depth=1
	v_mov_b32_e32 v10, s21
	v_add_co_u32_e32 v8, vcc, s20, v8
	v_addc_co_u32_e32 v9, vcc, v10, v9, vcc
	global_load_dwordx2 v[8:9], v[8:9], off
	s_mov_b64 s[24:25], 0
	s_waitcnt vmcnt(0)
	v_mul_f32_e64 v20, v9, -v13
	v_mul_f32_e32 v21, v12, v9
	v_fmac_f32_e32 v20, v12, v8
	v_fmac_f32_e32 v21, v13, v8
	v_mul_f32_e32 v22, 0x80000000, v21
	v_mul_f32_e32 v23, 0, v20
.LBB294_11:                             ;   Parent Loop BB294_9 Depth=1
                                        ; =>  This Loop Header: Depth=2
                                        ;       Child Loop BB294_12 Depth 3
                                        ;       Child Loop BB294_14 Depth 3
	v_lshlrev_b64 v[8:9], 3, v[6:7]
	v_mov_b32_e32 v10, s17
	v_add_co_u32_e32 v8, vcc, s16, v8
	v_addc_co_u32_e32 v9, vcc, v10, v9, vcc
	global_load_dwordx2 v[8:9], v[8:9], off
	v_lshlrev_b64 v[10:11], 2, v[6:7]
	v_mov_b32_e32 v24, s19
	v_add_co_u32_e32 v10, vcc, s18, v10
	v_addc_co_u32_e32 v11, vcc, v24, v11, vcc
	v_mov_b32_e32 v25, s23
	global_load_dword v24, v[10:11], off
	s_mov_b64 s[26:27], 0
	s_waitcnt vmcnt(1)
	v_subrev_co_u32_e32 v8, vcc, s2, v8
	v_subb_co_u32_e32 v9, vcc, v9, v19, vcc
	v_lshlrev_b64 v[8:9], 3, v[8:9]
	v_add_co_u32_e32 v8, vcc, s22, v8
	v_addc_co_u32_e32 v9, vcc, v25, v9, vcc
	global_load_dword v11, v[8:9], off
	s_waitcnt vmcnt(1)
	v_fma_f32 v25, v20, v24, v22
.LBB294_12:                             ;   Parent Loop BB294_9 Depth=1
                                        ;     Parent Loop BB294_11 Depth=2
                                        ; =>    This Inner Loop Header: Depth=3
	s_waitcnt vmcnt(0)
	v_add_f32_e32 v10, v11, v25
	global_atomic_cmpswap v10, v[8:9], v[10:11], off glc
	s_waitcnt vmcnt(0)
	v_cmp_eq_u32_e32 vcc, v10, v11
	s_or_b64 s[26:27], vcc, s[26:27]
	v_mov_b32_e32 v11, v10
	s_andn2_b64 exec, exec, s[26:27]
	s_cbranch_execnz .LBB294_12
; %bb.13:                               ;   in Loop: Header=BB294_11 Depth=2
	s_or_b64 exec, exec, s[26:27]
	global_load_dword v11, v[8:9], off offset:4
	v_fma_f32 v24, v21, v24, v23
	s_mov_b64 s[26:27], 0
.LBB294_14:                             ;   Parent Loop BB294_9 Depth=1
                                        ;     Parent Loop BB294_11 Depth=2
                                        ; =>    This Inner Loop Header: Depth=3
	s_waitcnt vmcnt(0)
	v_add_f32_e32 v10, v11, v24
	global_atomic_cmpswap v10, v[8:9], v[10:11], off offset:4 glc
	s_waitcnt vmcnt(0)
	v_cmp_eq_u32_e32 vcc, v10, v11
	s_or_b64 s[26:27], vcc, s[26:27]
	v_mov_b32_e32 v11, v10
	s_andn2_b64 exec, exec, s[26:27]
	s_cbranch_execnz .LBB294_14
; %bb.15:                               ;   in Loop: Header=BB294_11 Depth=2
	s_or_b64 exec, exec, s[26:27]
	v_add_co_u32_e32 v6, vcc, 16, v6
	v_addc_co_u32_e32 v7, vcc, 0, v7, vcc
	v_cmp_ge_i64_e32 vcc, v[6:7], v[4:5]
	s_or_b64 s[24:25], vcc, s[24:25]
	s_andn2_b64 exec, exec, s[24:25]
	s_cbranch_execnz .LBB294_11
	s_branch .LBB294_8
.LBB294_16:
	s_or_b64 exec, exec, s[4:5]
	s_mov_b64 s[4:5], 0
.LBB294_17:
	s_andn2_b64 vcc, exec, s[4:5]
	s_cbranch_vccnz .LBB294_29
; %bb.18:
	s_and_b64 exec, exec, s[0:1]
	s_cbranch_execz .LBB294_29
; %bb.19:
	v_subrev_co_u32_e32 v10, vcc, s2, v14
	s_mov_b32 s4, 0
	v_subb_co_u32_e64 v11, s[0:1], 0, 0, vcc
	s_mov_b64 s[0:1], 0
	v_mov_b32_e32 v14, s13
	v_mov_b32_e32 v15, s15
	;; [unrolled: 1-line block ×3, first 2 shown]
	s_branch .LBB294_21
.LBB294_20:                             ;   in Loop: Header=BB294_21 Depth=1
	s_or_b64 exec, exec, s[4:5]
	v_add_co_u32_e32 v0, vcc, s3, v0
	v_addc_co_u32_e32 v1, vcc, 0, v1, vcc
	v_cmp_le_i64_e32 vcc, s[8:9], v[0:1]
	s_or_b64 s[0:1], vcc, s[0:1]
	s_andn2_b64 exec, exec, s[0:1]
	s_cbranch_execz .LBB294_29
.LBB294_21:                             ; =>This Loop Header: Depth=1
                                        ;     Child Loop BB294_24 Depth 2
                                        ;       Child Loop BB294_26 Depth 3
                                        ;       Child Loop BB294_28 Depth 3
	v_lshlrev_b64 v[6:7], 3, v[0:1]
	v_add_co_u32_e32 v2, vcc, s14, v6
	v_addc_co_u32_e32 v3, vcc, v15, v7, vcc
	global_load_dwordx2 v[2:3], v[2:3], off
	v_add_co_u32_e32 v4, vcc, s12, v6
	v_addc_co_u32_e32 v5, vcc, v14, v7, vcc
	global_load_dwordx2 v[4:5], v[4:5], off
	s_waitcnt vmcnt(1)
	v_subrev_co_u32_e32 v2, vcc, s2, v2
	v_subb_co_u32_e32 v3, vcc, v3, v16, vcc
	s_waitcnt vmcnt(0)
	v_add_co_u32_e32 v4, vcc, v4, v10
	v_addc_co_u32_e32 v5, vcc, v5, v11, vcc
	v_cmp_lt_i64_e32 vcc, v[4:5], v[2:3]
	s_and_saveexec_b64 s[4:5], vcc
	s_cbranch_execz .LBB294_20
; %bb.22:                               ;   in Loop: Header=BB294_21 Depth=1
	v_mov_b32_e32 v8, s21
	v_add_co_u32_e32 v6, vcc, s20, v6
	v_addc_co_u32_e32 v7, vcc, v8, v7, vcc
	global_load_dwordx2 v[6:7], v[6:7], off
	s_mov_b64 s[6:7], 0
	s_waitcnt vmcnt(0)
	v_mul_f32_e64 v17, v7, -v13
	v_mul_f32_e32 v18, v12, v7
	v_fmac_f32_e32 v17, v12, v6
	v_fmac_f32_e32 v18, v13, v6
	v_mul_f32_e32 v19, 0x80000000, v18
	v_mul_f32_e32 v20, 0, v17
	s_branch .LBB294_24
.LBB294_23:                             ;   in Loop: Header=BB294_24 Depth=2
	s_or_b64 exec, exec, s[10:11]
	v_add_co_u32_e32 v4, vcc, 16, v4
	v_addc_co_u32_e32 v5, vcc, 0, v5, vcc
	v_cmp_ge_i64_e32 vcc, v[4:5], v[2:3]
	s_or_b64 s[6:7], vcc, s[6:7]
	s_andn2_b64 exec, exec, s[6:7]
	s_cbranch_execz .LBB294_20
.LBB294_24:                             ;   Parent Loop BB294_21 Depth=1
                                        ; =>  This Loop Header: Depth=2
                                        ;       Child Loop BB294_26 Depth 3
                                        ;       Child Loop BB294_28 Depth 3
	v_lshlrev_b64 v[6:7], 3, v[4:5]
	v_mov_b32_e32 v8, s17
	v_add_co_u32_e32 v6, vcc, s16, v6
	v_addc_co_u32_e32 v7, vcc, v8, v7, vcc
	global_load_dwordx2 v[6:7], v[6:7], off
	s_waitcnt vmcnt(0)
	v_subrev_co_u32_e32 v6, vcc, s2, v6
	v_subb_co_u32_e32 v7, vcc, v7, v16, vcc
	v_cmp_ne_u64_e32 vcc, v[6:7], v[0:1]
	s_and_saveexec_b64 s[10:11], vcc
	s_cbranch_execz .LBB294_23
; %bb.25:                               ;   in Loop: Header=BB294_24 Depth=2
	v_lshlrev_b64 v[8:9], 2, v[4:5]
	v_mov_b32_e32 v21, s19
	v_add_co_u32_e32 v8, vcc, s18, v8
	v_addc_co_u32_e32 v9, vcc, v21, v9, vcc
	v_lshlrev_b64 v[6:7], 3, v[6:7]
	global_load_dword v21, v[8:9], off
	v_mov_b32_e32 v8, s23
	v_add_co_u32_e32 v6, vcc, s22, v6
	v_addc_co_u32_e32 v7, vcc, v8, v7, vcc
	global_load_dword v9, v[6:7], off
	s_mov_b64 s[24:25], 0
	s_waitcnt vmcnt(1)
	v_fma_f32 v22, v17, v21, v19
.LBB294_26:                             ;   Parent Loop BB294_21 Depth=1
                                        ;     Parent Loop BB294_24 Depth=2
                                        ; =>    This Inner Loop Header: Depth=3
	s_waitcnt vmcnt(0)
	v_add_f32_e32 v8, v9, v22
	global_atomic_cmpswap v8, v[6:7], v[8:9], off glc
	s_waitcnt vmcnt(0)
	v_cmp_eq_u32_e32 vcc, v8, v9
	s_or_b64 s[24:25], vcc, s[24:25]
	v_mov_b32_e32 v9, v8
	s_andn2_b64 exec, exec, s[24:25]
	s_cbranch_execnz .LBB294_26
; %bb.27:                               ;   in Loop: Header=BB294_24 Depth=2
	s_or_b64 exec, exec, s[24:25]
	global_load_dword v9, v[6:7], off offset:4
	v_fma_f32 v21, v18, v21, v20
	s_mov_b64 s[24:25], 0
.LBB294_28:                             ;   Parent Loop BB294_21 Depth=1
                                        ;     Parent Loop BB294_24 Depth=2
                                        ; =>    This Inner Loop Header: Depth=3
	s_waitcnt vmcnt(0)
	v_add_f32_e32 v8, v9, v21
	global_atomic_cmpswap v8, v[6:7], v[8:9], off offset:4 glc
	s_waitcnt vmcnt(0)
	v_cmp_eq_u32_e32 vcc, v8, v9
	s_or_b64 s[24:25], vcc, s[24:25]
	v_mov_b32_e32 v9, v8
	s_andn2_b64 exec, exec, s[24:25]
	s_cbranch_execnz .LBB294_28
	s_branch .LBB294_23
.LBB294_29:
	s_endpgm
	.section	.rodata,"a",@progbits
	.p2align	6, 0x0
	.amdhsa_kernel _ZN9rocsparseL21csrmvt_general_kernelILj256ELj16Ellf21rocsparse_complex_numIfES2_S2_EEvbbT2_NS_24const_host_device_scalarIT6_EEPKT1_S9_PKS3_PKT3_PKT4_PT5_21rocsparse_index_base_b
		.amdhsa_group_segment_fixed_size 0
		.amdhsa_private_segment_fixed_size 0
		.amdhsa_kernarg_size 336
		.amdhsa_user_sgpr_count 6
		.amdhsa_user_sgpr_private_segment_buffer 1
		.amdhsa_user_sgpr_dispatch_ptr 0
		.amdhsa_user_sgpr_queue_ptr 0
		.amdhsa_user_sgpr_kernarg_segment_ptr 1
		.amdhsa_user_sgpr_dispatch_id 0
		.amdhsa_user_sgpr_flat_scratch_init 0
		.amdhsa_user_sgpr_kernarg_preload_length 0
		.amdhsa_user_sgpr_kernarg_preload_offset 0
		.amdhsa_user_sgpr_private_segment_size 0
		.amdhsa_uses_dynamic_stack 0
		.amdhsa_system_sgpr_private_segment_wavefront_offset 0
		.amdhsa_system_sgpr_workgroup_id_x 1
		.amdhsa_system_sgpr_workgroup_id_y 0
		.amdhsa_system_sgpr_workgroup_id_z 0
		.amdhsa_system_sgpr_workgroup_info 0
		.amdhsa_system_vgpr_workitem_id 0
		.amdhsa_next_free_vgpr 26
		.amdhsa_next_free_sgpr 28
		.amdhsa_accum_offset 28
		.amdhsa_reserve_vcc 1
		.amdhsa_reserve_flat_scratch 0
		.amdhsa_float_round_mode_32 0
		.amdhsa_float_round_mode_16_64 0
		.amdhsa_float_denorm_mode_32 3
		.amdhsa_float_denorm_mode_16_64 3
		.amdhsa_dx10_clamp 1
		.amdhsa_ieee_mode 1
		.amdhsa_fp16_overflow 0
		.amdhsa_tg_split 0
		.amdhsa_exception_fp_ieee_invalid_op 0
		.amdhsa_exception_fp_denorm_src 0
		.amdhsa_exception_fp_ieee_div_zero 0
		.amdhsa_exception_fp_ieee_overflow 0
		.amdhsa_exception_fp_ieee_underflow 0
		.amdhsa_exception_fp_ieee_inexact 0
		.amdhsa_exception_int_div_zero 0
	.end_amdhsa_kernel
	.section	.text._ZN9rocsparseL21csrmvt_general_kernelILj256ELj16Ellf21rocsparse_complex_numIfES2_S2_EEvbbT2_NS_24const_host_device_scalarIT6_EEPKT1_S9_PKS3_PKT3_PKT4_PT5_21rocsparse_index_base_b,"axG",@progbits,_ZN9rocsparseL21csrmvt_general_kernelILj256ELj16Ellf21rocsparse_complex_numIfES2_S2_EEvbbT2_NS_24const_host_device_scalarIT6_EEPKT1_S9_PKS3_PKT3_PKT4_PT5_21rocsparse_index_base_b,comdat
.Lfunc_end294:
	.size	_ZN9rocsparseL21csrmvt_general_kernelILj256ELj16Ellf21rocsparse_complex_numIfES2_S2_EEvbbT2_NS_24const_host_device_scalarIT6_EEPKT1_S9_PKS3_PKT3_PKT4_PT5_21rocsparse_index_base_b, .Lfunc_end294-_ZN9rocsparseL21csrmvt_general_kernelILj256ELj16Ellf21rocsparse_complex_numIfES2_S2_EEvbbT2_NS_24const_host_device_scalarIT6_EEPKT1_S9_PKS3_PKT3_PKT4_PT5_21rocsparse_index_base_b
                                        ; -- End function
	.section	.AMDGPU.csdata,"",@progbits
; Kernel info:
; codeLenInByte = 1156
; NumSgprs: 32
; NumVgprs: 26
; NumAgprs: 0
; TotalNumVgprs: 26
; ScratchSize: 0
; MemoryBound: 0
; FloatMode: 240
; IeeeMode: 1
; LDSByteSize: 0 bytes/workgroup (compile time only)
; SGPRBlocks: 3
; VGPRBlocks: 3
; NumSGPRsForWavesPerEU: 32
; NumVGPRsForWavesPerEU: 26
; AccumOffset: 28
; Occupancy: 8
; WaveLimiterHint : 1
; COMPUTE_PGM_RSRC2:SCRATCH_EN: 0
; COMPUTE_PGM_RSRC2:USER_SGPR: 6
; COMPUTE_PGM_RSRC2:TRAP_HANDLER: 0
; COMPUTE_PGM_RSRC2:TGID_X_EN: 1
; COMPUTE_PGM_RSRC2:TGID_Y_EN: 0
; COMPUTE_PGM_RSRC2:TGID_Z_EN: 0
; COMPUTE_PGM_RSRC2:TIDIG_COMP_CNT: 0
; COMPUTE_PGM_RSRC3_GFX90A:ACCUM_OFFSET: 6
; COMPUTE_PGM_RSRC3_GFX90A:TG_SPLIT: 0
	.section	.text._ZN9rocsparseL21csrmvt_general_kernelILj256ELj32Ellf21rocsparse_complex_numIfES2_S2_EEvbbT2_NS_24const_host_device_scalarIT6_EEPKT1_S9_PKS3_PKT3_PKT4_PT5_21rocsparse_index_base_b,"axG",@progbits,_ZN9rocsparseL21csrmvt_general_kernelILj256ELj32Ellf21rocsparse_complex_numIfES2_S2_EEvbbT2_NS_24const_host_device_scalarIT6_EEPKT1_S9_PKS3_PKT3_PKT4_PT5_21rocsparse_index_base_b,comdat
	.globl	_ZN9rocsparseL21csrmvt_general_kernelILj256ELj32Ellf21rocsparse_complex_numIfES2_S2_EEvbbT2_NS_24const_host_device_scalarIT6_EEPKT1_S9_PKS3_PKT3_PKT4_PT5_21rocsparse_index_base_b ; -- Begin function _ZN9rocsparseL21csrmvt_general_kernelILj256ELj32Ellf21rocsparse_complex_numIfES2_S2_EEvbbT2_NS_24const_host_device_scalarIT6_EEPKT1_S9_PKS3_PKT3_PKT4_PT5_21rocsparse_index_base_b
	.p2align	8
	.type	_ZN9rocsparseL21csrmvt_general_kernelILj256ELj32Ellf21rocsparse_complex_numIfES2_S2_EEvbbT2_NS_24const_host_device_scalarIT6_EEPKT1_S9_PKS3_PKT3_PKT4_PT5_21rocsparse_index_base_b,@function
_ZN9rocsparseL21csrmvt_general_kernelILj256ELj32Ellf21rocsparse_complex_numIfES2_S2_EEvbbT2_NS_24const_host_device_scalarIT6_EEPKT1_S9_PKS3_PKT3_PKT4_PT5_21rocsparse_index_base_b: ; @_ZN9rocsparseL21csrmvt_general_kernelILj256ELj32Ellf21rocsparse_complex_numIfES2_S2_EEvbbT2_NS_24const_host_device_scalarIT6_EEPKT1_S9_PKS3_PKT3_PKT4_PT5_21rocsparse_index_base_b
; %bb.0:
	s_load_dwordx2 s[2:3], s[4:5], 0x48
	s_load_dwordx2 s[0:1], s[4:5], 0x10
	s_load_dwordx8 s[8:15], s[4:5], 0x8
	s_waitcnt lgkmcnt(0)
	s_bitcmp1_b32 s3, 0
	s_cselect_b64 s[18:19], -1, 0
	s_xor_b64 s[16:17], s[18:19], -1
	s_and_b64 vcc, exec, s[18:19]
	v_mov_b32_e32 v12, s0
	s_cbranch_vccnz .LBB295_2
; %bb.1:
	v_pk_mov_b32 v[2:3], s[10:11], s[10:11] op_sel:[0,1]
	flat_load_dword v12, v[2:3]
.LBB295_2:
	s_andn2_b64 vcc, exec, s[16:17]
	v_mov_b32_e32 v13, s1
	s_cbranch_vccnz .LBB295_4
; %bb.3:
	v_pk_mov_b32 v[2:3], s[10:11], s[10:11] op_sel:[0,1]
	flat_load_dword v13, v[2:3] offset:4
.LBB295_4:
	s_waitcnt vmcnt(0) lgkmcnt(0)
	v_cmp_neq_f32_e32 vcc, 0, v12
	v_cmp_neq_f32_e64 s[0:1], 0, v13
	s_or_b64 s[0:1], vcc, s[0:1]
	s_and_saveexec_b64 s[10:11], s[0:1]
	s_cbranch_execz .LBB295_29
; %bb.5:
	s_load_dword s0, s[4:5], 0x0
	s_load_dword s1, s[4:5], 0x50
	s_load_dwordx8 s[16:23], s[4:5], 0x28
	v_and_b32_e32 v14, 31, v0
	v_lshl_or_b32 v0, s6, 8, v0
	s_waitcnt lgkmcnt(0)
	s_and_b32 s0, s0, 1
	s_lshl_b32 s3, s1, 3
	v_lshrrev_b32_e32 v0, 5, v0
	v_mov_b32_e32 v1, 0
	s_cmp_eq_u32 s0, 0
	v_cmp_gt_i64_e64 s[0:1], s[8:9], v[0:1]
	s_mov_b64 s[4:5], -1
	s_cbranch_scc0 .LBB295_17
; %bb.6:
	s_and_saveexec_b64 s[4:5], s[0:1]
	s_cbranch_execz .LBB295_16
; %bb.7:
	v_subrev_co_u32_e32 v15, vcc, s2, v14
	s_mov_b32 s10, 0
	v_subb_co_u32_e64 v16, s[6:7], 0, 0, vcc
	s_mov_b64 s[6:7], 0
	v_mov_b32_e32 v17, s13
	v_mov_b32_e32 v18, s15
	;; [unrolled: 1-line block ×3, first 2 shown]
	v_pk_mov_b32 v[2:3], v[0:1], v[0:1] op_sel:[0,1]
	s_branch .LBB295_9
.LBB295_8:                              ;   in Loop: Header=BB295_9 Depth=1
	s_or_b64 exec, exec, s[10:11]
	v_add_co_u32_e32 v2, vcc, s3, v2
	v_addc_co_u32_e32 v3, vcc, 0, v3, vcc
	v_cmp_le_i64_e32 vcc, s[8:9], v[2:3]
	s_or_b64 s[6:7], vcc, s[6:7]
	s_andn2_b64 exec, exec, s[6:7]
	s_cbranch_execz .LBB295_16
.LBB295_9:                              ; =>This Loop Header: Depth=1
                                        ;     Child Loop BB295_11 Depth 2
                                        ;       Child Loop BB295_12 Depth 3
                                        ;       Child Loop BB295_14 Depth 3
	v_lshlrev_b64 v[8:9], 3, v[2:3]
	v_add_co_u32_e32 v4, vcc, s14, v8
	v_addc_co_u32_e32 v5, vcc, v18, v9, vcc
	global_load_dwordx2 v[4:5], v[4:5], off
	v_add_co_u32_e32 v6, vcc, s12, v8
	v_addc_co_u32_e32 v7, vcc, v17, v9, vcc
	global_load_dwordx2 v[6:7], v[6:7], off
	s_waitcnt vmcnt(1)
	v_subrev_co_u32_e32 v4, vcc, s2, v4
	v_subb_co_u32_e32 v5, vcc, v5, v19, vcc
	s_waitcnt vmcnt(0)
	v_add_co_u32_e32 v6, vcc, v6, v15
	v_addc_co_u32_e32 v7, vcc, v7, v16, vcc
	v_cmp_lt_i64_e32 vcc, v[6:7], v[4:5]
	s_and_saveexec_b64 s[10:11], vcc
	s_cbranch_execz .LBB295_8
; %bb.10:                               ;   in Loop: Header=BB295_9 Depth=1
	v_mov_b32_e32 v10, s21
	v_add_co_u32_e32 v8, vcc, s20, v8
	v_addc_co_u32_e32 v9, vcc, v10, v9, vcc
	global_load_dwordx2 v[8:9], v[8:9], off
	s_mov_b64 s[24:25], 0
	s_waitcnt vmcnt(0)
	v_mul_f32_e64 v20, v9, -v13
	v_mul_f32_e32 v21, v12, v9
	v_fmac_f32_e32 v20, v12, v8
	v_fmac_f32_e32 v21, v13, v8
	v_mul_f32_e32 v22, 0x80000000, v21
	v_mul_f32_e32 v23, 0, v20
.LBB295_11:                             ;   Parent Loop BB295_9 Depth=1
                                        ; =>  This Loop Header: Depth=2
                                        ;       Child Loop BB295_12 Depth 3
                                        ;       Child Loop BB295_14 Depth 3
	v_lshlrev_b64 v[8:9], 3, v[6:7]
	v_mov_b32_e32 v10, s17
	v_add_co_u32_e32 v8, vcc, s16, v8
	v_addc_co_u32_e32 v9, vcc, v10, v9, vcc
	global_load_dwordx2 v[8:9], v[8:9], off
	v_lshlrev_b64 v[10:11], 2, v[6:7]
	v_mov_b32_e32 v24, s19
	v_add_co_u32_e32 v10, vcc, s18, v10
	v_addc_co_u32_e32 v11, vcc, v24, v11, vcc
	v_mov_b32_e32 v25, s23
	global_load_dword v24, v[10:11], off
	s_mov_b64 s[26:27], 0
	s_waitcnt vmcnt(1)
	v_subrev_co_u32_e32 v8, vcc, s2, v8
	v_subb_co_u32_e32 v9, vcc, v9, v19, vcc
	v_lshlrev_b64 v[8:9], 3, v[8:9]
	v_add_co_u32_e32 v8, vcc, s22, v8
	v_addc_co_u32_e32 v9, vcc, v25, v9, vcc
	global_load_dword v11, v[8:9], off
	s_waitcnt vmcnt(1)
	v_fma_f32 v25, v20, v24, v22
.LBB295_12:                             ;   Parent Loop BB295_9 Depth=1
                                        ;     Parent Loop BB295_11 Depth=2
                                        ; =>    This Inner Loop Header: Depth=3
	s_waitcnt vmcnt(0)
	v_add_f32_e32 v10, v11, v25
	global_atomic_cmpswap v10, v[8:9], v[10:11], off glc
	s_waitcnt vmcnt(0)
	v_cmp_eq_u32_e32 vcc, v10, v11
	s_or_b64 s[26:27], vcc, s[26:27]
	v_mov_b32_e32 v11, v10
	s_andn2_b64 exec, exec, s[26:27]
	s_cbranch_execnz .LBB295_12
; %bb.13:                               ;   in Loop: Header=BB295_11 Depth=2
	s_or_b64 exec, exec, s[26:27]
	global_load_dword v11, v[8:9], off offset:4
	v_fma_f32 v24, v21, v24, v23
	s_mov_b64 s[26:27], 0
.LBB295_14:                             ;   Parent Loop BB295_9 Depth=1
                                        ;     Parent Loop BB295_11 Depth=2
                                        ; =>    This Inner Loop Header: Depth=3
	s_waitcnt vmcnt(0)
	v_add_f32_e32 v10, v11, v24
	global_atomic_cmpswap v10, v[8:9], v[10:11], off offset:4 glc
	s_waitcnt vmcnt(0)
	v_cmp_eq_u32_e32 vcc, v10, v11
	s_or_b64 s[26:27], vcc, s[26:27]
	v_mov_b32_e32 v11, v10
	s_andn2_b64 exec, exec, s[26:27]
	s_cbranch_execnz .LBB295_14
; %bb.15:                               ;   in Loop: Header=BB295_11 Depth=2
	s_or_b64 exec, exec, s[26:27]
	v_add_co_u32_e32 v6, vcc, 32, v6
	v_addc_co_u32_e32 v7, vcc, 0, v7, vcc
	v_cmp_ge_i64_e32 vcc, v[6:7], v[4:5]
	s_or_b64 s[24:25], vcc, s[24:25]
	s_andn2_b64 exec, exec, s[24:25]
	s_cbranch_execnz .LBB295_11
	s_branch .LBB295_8
.LBB295_16:
	s_or_b64 exec, exec, s[4:5]
	s_mov_b64 s[4:5], 0
.LBB295_17:
	s_andn2_b64 vcc, exec, s[4:5]
	s_cbranch_vccnz .LBB295_29
; %bb.18:
	s_and_b64 exec, exec, s[0:1]
	s_cbranch_execz .LBB295_29
; %bb.19:
	v_subrev_co_u32_e32 v10, vcc, s2, v14
	s_mov_b32 s4, 0
	v_subb_co_u32_e64 v11, s[0:1], 0, 0, vcc
	s_mov_b64 s[0:1], 0
	v_mov_b32_e32 v14, s13
	v_mov_b32_e32 v15, s15
	;; [unrolled: 1-line block ×3, first 2 shown]
	s_branch .LBB295_21
.LBB295_20:                             ;   in Loop: Header=BB295_21 Depth=1
	s_or_b64 exec, exec, s[4:5]
	v_add_co_u32_e32 v0, vcc, s3, v0
	v_addc_co_u32_e32 v1, vcc, 0, v1, vcc
	v_cmp_le_i64_e32 vcc, s[8:9], v[0:1]
	s_or_b64 s[0:1], vcc, s[0:1]
	s_andn2_b64 exec, exec, s[0:1]
	s_cbranch_execz .LBB295_29
.LBB295_21:                             ; =>This Loop Header: Depth=1
                                        ;     Child Loop BB295_24 Depth 2
                                        ;       Child Loop BB295_26 Depth 3
                                        ;       Child Loop BB295_28 Depth 3
	v_lshlrev_b64 v[6:7], 3, v[0:1]
	v_add_co_u32_e32 v2, vcc, s14, v6
	v_addc_co_u32_e32 v3, vcc, v15, v7, vcc
	global_load_dwordx2 v[2:3], v[2:3], off
	v_add_co_u32_e32 v4, vcc, s12, v6
	v_addc_co_u32_e32 v5, vcc, v14, v7, vcc
	global_load_dwordx2 v[4:5], v[4:5], off
	s_waitcnt vmcnt(1)
	v_subrev_co_u32_e32 v2, vcc, s2, v2
	v_subb_co_u32_e32 v3, vcc, v3, v16, vcc
	s_waitcnt vmcnt(0)
	v_add_co_u32_e32 v4, vcc, v4, v10
	v_addc_co_u32_e32 v5, vcc, v5, v11, vcc
	v_cmp_lt_i64_e32 vcc, v[4:5], v[2:3]
	s_and_saveexec_b64 s[4:5], vcc
	s_cbranch_execz .LBB295_20
; %bb.22:                               ;   in Loop: Header=BB295_21 Depth=1
	v_mov_b32_e32 v8, s21
	v_add_co_u32_e32 v6, vcc, s20, v6
	v_addc_co_u32_e32 v7, vcc, v8, v7, vcc
	global_load_dwordx2 v[6:7], v[6:7], off
	s_mov_b64 s[6:7], 0
	s_waitcnt vmcnt(0)
	v_mul_f32_e64 v17, v7, -v13
	v_mul_f32_e32 v18, v12, v7
	v_fmac_f32_e32 v17, v12, v6
	v_fmac_f32_e32 v18, v13, v6
	v_mul_f32_e32 v19, 0x80000000, v18
	v_mul_f32_e32 v20, 0, v17
	s_branch .LBB295_24
.LBB295_23:                             ;   in Loop: Header=BB295_24 Depth=2
	s_or_b64 exec, exec, s[10:11]
	v_add_co_u32_e32 v4, vcc, 32, v4
	v_addc_co_u32_e32 v5, vcc, 0, v5, vcc
	v_cmp_ge_i64_e32 vcc, v[4:5], v[2:3]
	s_or_b64 s[6:7], vcc, s[6:7]
	s_andn2_b64 exec, exec, s[6:7]
	s_cbranch_execz .LBB295_20
.LBB295_24:                             ;   Parent Loop BB295_21 Depth=1
                                        ; =>  This Loop Header: Depth=2
                                        ;       Child Loop BB295_26 Depth 3
                                        ;       Child Loop BB295_28 Depth 3
	v_lshlrev_b64 v[6:7], 3, v[4:5]
	v_mov_b32_e32 v8, s17
	v_add_co_u32_e32 v6, vcc, s16, v6
	v_addc_co_u32_e32 v7, vcc, v8, v7, vcc
	global_load_dwordx2 v[6:7], v[6:7], off
	s_waitcnt vmcnt(0)
	v_subrev_co_u32_e32 v6, vcc, s2, v6
	v_subb_co_u32_e32 v7, vcc, v7, v16, vcc
	v_cmp_ne_u64_e32 vcc, v[6:7], v[0:1]
	s_and_saveexec_b64 s[10:11], vcc
	s_cbranch_execz .LBB295_23
; %bb.25:                               ;   in Loop: Header=BB295_24 Depth=2
	v_lshlrev_b64 v[8:9], 2, v[4:5]
	v_mov_b32_e32 v21, s19
	v_add_co_u32_e32 v8, vcc, s18, v8
	v_addc_co_u32_e32 v9, vcc, v21, v9, vcc
	v_lshlrev_b64 v[6:7], 3, v[6:7]
	global_load_dword v21, v[8:9], off
	v_mov_b32_e32 v8, s23
	v_add_co_u32_e32 v6, vcc, s22, v6
	v_addc_co_u32_e32 v7, vcc, v8, v7, vcc
	global_load_dword v9, v[6:7], off
	s_mov_b64 s[24:25], 0
	s_waitcnt vmcnt(1)
	v_fma_f32 v22, v17, v21, v19
.LBB295_26:                             ;   Parent Loop BB295_21 Depth=1
                                        ;     Parent Loop BB295_24 Depth=2
                                        ; =>    This Inner Loop Header: Depth=3
	s_waitcnt vmcnt(0)
	v_add_f32_e32 v8, v9, v22
	global_atomic_cmpswap v8, v[6:7], v[8:9], off glc
	s_waitcnt vmcnt(0)
	v_cmp_eq_u32_e32 vcc, v8, v9
	s_or_b64 s[24:25], vcc, s[24:25]
	v_mov_b32_e32 v9, v8
	s_andn2_b64 exec, exec, s[24:25]
	s_cbranch_execnz .LBB295_26
; %bb.27:                               ;   in Loop: Header=BB295_24 Depth=2
	s_or_b64 exec, exec, s[24:25]
	global_load_dword v9, v[6:7], off offset:4
	v_fma_f32 v21, v18, v21, v20
	s_mov_b64 s[24:25], 0
.LBB295_28:                             ;   Parent Loop BB295_21 Depth=1
                                        ;     Parent Loop BB295_24 Depth=2
                                        ; =>    This Inner Loop Header: Depth=3
	s_waitcnt vmcnt(0)
	v_add_f32_e32 v8, v9, v21
	global_atomic_cmpswap v8, v[6:7], v[8:9], off offset:4 glc
	s_waitcnt vmcnt(0)
	v_cmp_eq_u32_e32 vcc, v8, v9
	s_or_b64 s[24:25], vcc, s[24:25]
	v_mov_b32_e32 v9, v8
	s_andn2_b64 exec, exec, s[24:25]
	s_cbranch_execnz .LBB295_28
	s_branch .LBB295_23
.LBB295_29:
	s_endpgm
	.section	.rodata,"a",@progbits
	.p2align	6, 0x0
	.amdhsa_kernel _ZN9rocsparseL21csrmvt_general_kernelILj256ELj32Ellf21rocsparse_complex_numIfES2_S2_EEvbbT2_NS_24const_host_device_scalarIT6_EEPKT1_S9_PKS3_PKT3_PKT4_PT5_21rocsparse_index_base_b
		.amdhsa_group_segment_fixed_size 0
		.amdhsa_private_segment_fixed_size 0
		.amdhsa_kernarg_size 336
		.amdhsa_user_sgpr_count 6
		.amdhsa_user_sgpr_private_segment_buffer 1
		.amdhsa_user_sgpr_dispatch_ptr 0
		.amdhsa_user_sgpr_queue_ptr 0
		.amdhsa_user_sgpr_kernarg_segment_ptr 1
		.amdhsa_user_sgpr_dispatch_id 0
		.amdhsa_user_sgpr_flat_scratch_init 0
		.amdhsa_user_sgpr_kernarg_preload_length 0
		.amdhsa_user_sgpr_kernarg_preload_offset 0
		.amdhsa_user_sgpr_private_segment_size 0
		.amdhsa_uses_dynamic_stack 0
		.amdhsa_system_sgpr_private_segment_wavefront_offset 0
		.amdhsa_system_sgpr_workgroup_id_x 1
		.amdhsa_system_sgpr_workgroup_id_y 0
		.amdhsa_system_sgpr_workgroup_id_z 0
		.amdhsa_system_sgpr_workgroup_info 0
		.amdhsa_system_vgpr_workitem_id 0
		.amdhsa_next_free_vgpr 26
		.amdhsa_next_free_sgpr 28
		.amdhsa_accum_offset 28
		.amdhsa_reserve_vcc 1
		.amdhsa_reserve_flat_scratch 0
		.amdhsa_float_round_mode_32 0
		.amdhsa_float_round_mode_16_64 0
		.amdhsa_float_denorm_mode_32 3
		.amdhsa_float_denorm_mode_16_64 3
		.amdhsa_dx10_clamp 1
		.amdhsa_ieee_mode 1
		.amdhsa_fp16_overflow 0
		.amdhsa_tg_split 0
		.amdhsa_exception_fp_ieee_invalid_op 0
		.amdhsa_exception_fp_denorm_src 0
		.amdhsa_exception_fp_ieee_div_zero 0
		.amdhsa_exception_fp_ieee_overflow 0
		.amdhsa_exception_fp_ieee_underflow 0
		.amdhsa_exception_fp_ieee_inexact 0
		.amdhsa_exception_int_div_zero 0
	.end_amdhsa_kernel
	.section	.text._ZN9rocsparseL21csrmvt_general_kernelILj256ELj32Ellf21rocsparse_complex_numIfES2_S2_EEvbbT2_NS_24const_host_device_scalarIT6_EEPKT1_S9_PKS3_PKT3_PKT4_PT5_21rocsparse_index_base_b,"axG",@progbits,_ZN9rocsparseL21csrmvt_general_kernelILj256ELj32Ellf21rocsparse_complex_numIfES2_S2_EEvbbT2_NS_24const_host_device_scalarIT6_EEPKT1_S9_PKS3_PKT3_PKT4_PT5_21rocsparse_index_base_b,comdat
.Lfunc_end295:
	.size	_ZN9rocsparseL21csrmvt_general_kernelILj256ELj32Ellf21rocsparse_complex_numIfES2_S2_EEvbbT2_NS_24const_host_device_scalarIT6_EEPKT1_S9_PKS3_PKT3_PKT4_PT5_21rocsparse_index_base_b, .Lfunc_end295-_ZN9rocsparseL21csrmvt_general_kernelILj256ELj32Ellf21rocsparse_complex_numIfES2_S2_EEvbbT2_NS_24const_host_device_scalarIT6_EEPKT1_S9_PKS3_PKT3_PKT4_PT5_21rocsparse_index_base_b
                                        ; -- End function
	.section	.AMDGPU.csdata,"",@progbits
; Kernel info:
; codeLenInByte = 1156
; NumSgprs: 32
; NumVgprs: 26
; NumAgprs: 0
; TotalNumVgprs: 26
; ScratchSize: 0
; MemoryBound: 0
; FloatMode: 240
; IeeeMode: 1
; LDSByteSize: 0 bytes/workgroup (compile time only)
; SGPRBlocks: 3
; VGPRBlocks: 3
; NumSGPRsForWavesPerEU: 32
; NumVGPRsForWavesPerEU: 26
; AccumOffset: 28
; Occupancy: 8
; WaveLimiterHint : 1
; COMPUTE_PGM_RSRC2:SCRATCH_EN: 0
; COMPUTE_PGM_RSRC2:USER_SGPR: 6
; COMPUTE_PGM_RSRC2:TRAP_HANDLER: 0
; COMPUTE_PGM_RSRC2:TGID_X_EN: 1
; COMPUTE_PGM_RSRC2:TGID_Y_EN: 0
; COMPUTE_PGM_RSRC2:TGID_Z_EN: 0
; COMPUTE_PGM_RSRC2:TIDIG_COMP_CNT: 0
; COMPUTE_PGM_RSRC3_GFX90A:ACCUM_OFFSET: 6
; COMPUTE_PGM_RSRC3_GFX90A:TG_SPLIT: 0
	.section	.text._ZN9rocsparseL21csrmvt_general_kernelILj256ELj64Ellf21rocsparse_complex_numIfES2_S2_EEvbbT2_NS_24const_host_device_scalarIT6_EEPKT1_S9_PKS3_PKT3_PKT4_PT5_21rocsparse_index_base_b,"axG",@progbits,_ZN9rocsparseL21csrmvt_general_kernelILj256ELj64Ellf21rocsparse_complex_numIfES2_S2_EEvbbT2_NS_24const_host_device_scalarIT6_EEPKT1_S9_PKS3_PKT3_PKT4_PT5_21rocsparse_index_base_b,comdat
	.globl	_ZN9rocsparseL21csrmvt_general_kernelILj256ELj64Ellf21rocsparse_complex_numIfES2_S2_EEvbbT2_NS_24const_host_device_scalarIT6_EEPKT1_S9_PKS3_PKT3_PKT4_PT5_21rocsparse_index_base_b ; -- Begin function _ZN9rocsparseL21csrmvt_general_kernelILj256ELj64Ellf21rocsparse_complex_numIfES2_S2_EEvbbT2_NS_24const_host_device_scalarIT6_EEPKT1_S9_PKS3_PKT3_PKT4_PT5_21rocsparse_index_base_b
	.p2align	8
	.type	_ZN9rocsparseL21csrmvt_general_kernelILj256ELj64Ellf21rocsparse_complex_numIfES2_S2_EEvbbT2_NS_24const_host_device_scalarIT6_EEPKT1_S9_PKS3_PKT3_PKT4_PT5_21rocsparse_index_base_b,@function
_ZN9rocsparseL21csrmvt_general_kernelILj256ELj64Ellf21rocsparse_complex_numIfES2_S2_EEvbbT2_NS_24const_host_device_scalarIT6_EEPKT1_S9_PKS3_PKT3_PKT4_PT5_21rocsparse_index_base_b: ; @_ZN9rocsparseL21csrmvt_general_kernelILj256ELj64Ellf21rocsparse_complex_numIfES2_S2_EEvbbT2_NS_24const_host_device_scalarIT6_EEPKT1_S9_PKS3_PKT3_PKT4_PT5_21rocsparse_index_base_b
; %bb.0:
	s_load_dwordx2 s[2:3], s[4:5], 0x48
	s_load_dwordx2 s[0:1], s[4:5], 0x10
	s_load_dwordx8 s[8:15], s[4:5], 0x8
	s_waitcnt lgkmcnt(0)
	s_bitcmp1_b32 s3, 0
	s_cselect_b64 s[18:19], -1, 0
	s_xor_b64 s[16:17], s[18:19], -1
	s_and_b64 vcc, exec, s[18:19]
	v_mov_b32_e32 v12, s0
	s_cbranch_vccnz .LBB296_2
; %bb.1:
	v_pk_mov_b32 v[2:3], s[10:11], s[10:11] op_sel:[0,1]
	flat_load_dword v12, v[2:3]
.LBB296_2:
	s_andn2_b64 vcc, exec, s[16:17]
	v_mov_b32_e32 v13, s1
	s_cbranch_vccnz .LBB296_4
; %bb.3:
	v_pk_mov_b32 v[2:3], s[10:11], s[10:11] op_sel:[0,1]
	flat_load_dword v13, v[2:3] offset:4
.LBB296_4:
	s_waitcnt vmcnt(0) lgkmcnt(0)
	v_cmp_neq_f32_e32 vcc, 0, v12
	v_cmp_neq_f32_e64 s[0:1], 0, v13
	s_or_b64 s[0:1], vcc, s[0:1]
	s_and_saveexec_b64 s[10:11], s[0:1]
	s_cbranch_execz .LBB296_29
; %bb.5:
	s_load_dword s0, s[4:5], 0x0
	s_load_dword s1, s[4:5], 0x50
	s_load_dwordx8 s[16:23], s[4:5], 0x28
	v_and_b32_e32 v14, 63, v0
	v_lshl_or_b32 v0, s6, 8, v0
	s_waitcnt lgkmcnt(0)
	s_and_b32 s0, s0, 1
	s_lshl_b32 s3, s1, 2
	v_lshrrev_b32_e32 v0, 6, v0
	v_mov_b32_e32 v1, 0
	s_cmp_eq_u32 s0, 0
	v_cmp_gt_i64_e64 s[0:1], s[8:9], v[0:1]
	s_mov_b64 s[4:5], -1
	s_cbranch_scc0 .LBB296_17
; %bb.6:
	s_and_saveexec_b64 s[4:5], s[0:1]
	s_cbranch_execz .LBB296_16
; %bb.7:
	v_subrev_co_u32_e32 v15, vcc, s2, v14
	s_mov_b32 s10, 0
	v_subb_co_u32_e64 v16, s[6:7], 0, 0, vcc
	s_mov_b64 s[6:7], 0
	v_mov_b32_e32 v17, s13
	v_mov_b32_e32 v18, s15
	;; [unrolled: 1-line block ×3, first 2 shown]
	v_pk_mov_b32 v[2:3], v[0:1], v[0:1] op_sel:[0,1]
	s_branch .LBB296_9
.LBB296_8:                              ;   in Loop: Header=BB296_9 Depth=1
	s_or_b64 exec, exec, s[10:11]
	v_add_co_u32_e32 v2, vcc, s3, v2
	v_addc_co_u32_e32 v3, vcc, 0, v3, vcc
	v_cmp_le_i64_e32 vcc, s[8:9], v[2:3]
	s_or_b64 s[6:7], vcc, s[6:7]
	s_andn2_b64 exec, exec, s[6:7]
	s_cbranch_execz .LBB296_16
.LBB296_9:                              ; =>This Loop Header: Depth=1
                                        ;     Child Loop BB296_11 Depth 2
                                        ;       Child Loop BB296_12 Depth 3
                                        ;       Child Loop BB296_14 Depth 3
	v_lshlrev_b64 v[8:9], 3, v[2:3]
	v_add_co_u32_e32 v4, vcc, s14, v8
	v_addc_co_u32_e32 v5, vcc, v18, v9, vcc
	global_load_dwordx2 v[4:5], v[4:5], off
	v_add_co_u32_e32 v6, vcc, s12, v8
	v_addc_co_u32_e32 v7, vcc, v17, v9, vcc
	global_load_dwordx2 v[6:7], v[6:7], off
	s_waitcnt vmcnt(1)
	v_subrev_co_u32_e32 v4, vcc, s2, v4
	v_subb_co_u32_e32 v5, vcc, v5, v19, vcc
	s_waitcnt vmcnt(0)
	v_add_co_u32_e32 v6, vcc, v6, v15
	v_addc_co_u32_e32 v7, vcc, v7, v16, vcc
	v_cmp_lt_i64_e32 vcc, v[6:7], v[4:5]
	s_and_saveexec_b64 s[10:11], vcc
	s_cbranch_execz .LBB296_8
; %bb.10:                               ;   in Loop: Header=BB296_9 Depth=1
	v_mov_b32_e32 v10, s21
	v_add_co_u32_e32 v8, vcc, s20, v8
	v_addc_co_u32_e32 v9, vcc, v10, v9, vcc
	global_load_dwordx2 v[8:9], v[8:9], off
	s_mov_b64 s[24:25], 0
	s_waitcnt vmcnt(0)
	v_mul_f32_e64 v20, v9, -v13
	v_mul_f32_e32 v21, v12, v9
	v_fmac_f32_e32 v20, v12, v8
	v_fmac_f32_e32 v21, v13, v8
	v_mul_f32_e32 v22, 0x80000000, v21
	v_mul_f32_e32 v23, 0, v20
.LBB296_11:                             ;   Parent Loop BB296_9 Depth=1
                                        ; =>  This Loop Header: Depth=2
                                        ;       Child Loop BB296_12 Depth 3
                                        ;       Child Loop BB296_14 Depth 3
	v_lshlrev_b64 v[8:9], 3, v[6:7]
	v_mov_b32_e32 v10, s17
	v_add_co_u32_e32 v8, vcc, s16, v8
	v_addc_co_u32_e32 v9, vcc, v10, v9, vcc
	global_load_dwordx2 v[8:9], v[8:9], off
	v_lshlrev_b64 v[10:11], 2, v[6:7]
	v_mov_b32_e32 v24, s19
	v_add_co_u32_e32 v10, vcc, s18, v10
	v_addc_co_u32_e32 v11, vcc, v24, v11, vcc
	v_mov_b32_e32 v25, s23
	global_load_dword v24, v[10:11], off
	s_mov_b64 s[26:27], 0
	s_waitcnt vmcnt(1)
	v_subrev_co_u32_e32 v8, vcc, s2, v8
	v_subb_co_u32_e32 v9, vcc, v9, v19, vcc
	v_lshlrev_b64 v[8:9], 3, v[8:9]
	v_add_co_u32_e32 v8, vcc, s22, v8
	v_addc_co_u32_e32 v9, vcc, v25, v9, vcc
	global_load_dword v11, v[8:9], off
	s_waitcnt vmcnt(1)
	v_fma_f32 v25, v20, v24, v22
.LBB296_12:                             ;   Parent Loop BB296_9 Depth=1
                                        ;     Parent Loop BB296_11 Depth=2
                                        ; =>    This Inner Loop Header: Depth=3
	s_waitcnt vmcnt(0)
	v_add_f32_e32 v10, v11, v25
	global_atomic_cmpswap v10, v[8:9], v[10:11], off glc
	s_waitcnt vmcnt(0)
	v_cmp_eq_u32_e32 vcc, v10, v11
	s_or_b64 s[26:27], vcc, s[26:27]
	v_mov_b32_e32 v11, v10
	s_andn2_b64 exec, exec, s[26:27]
	s_cbranch_execnz .LBB296_12
; %bb.13:                               ;   in Loop: Header=BB296_11 Depth=2
	s_or_b64 exec, exec, s[26:27]
	global_load_dword v11, v[8:9], off offset:4
	v_fma_f32 v24, v21, v24, v23
	s_mov_b64 s[26:27], 0
.LBB296_14:                             ;   Parent Loop BB296_9 Depth=1
                                        ;     Parent Loop BB296_11 Depth=2
                                        ; =>    This Inner Loop Header: Depth=3
	s_waitcnt vmcnt(0)
	v_add_f32_e32 v10, v11, v24
	global_atomic_cmpswap v10, v[8:9], v[10:11], off offset:4 glc
	s_waitcnt vmcnt(0)
	v_cmp_eq_u32_e32 vcc, v10, v11
	s_or_b64 s[26:27], vcc, s[26:27]
	v_mov_b32_e32 v11, v10
	s_andn2_b64 exec, exec, s[26:27]
	s_cbranch_execnz .LBB296_14
; %bb.15:                               ;   in Loop: Header=BB296_11 Depth=2
	s_or_b64 exec, exec, s[26:27]
	v_add_co_u32_e32 v6, vcc, 64, v6
	v_addc_co_u32_e32 v7, vcc, 0, v7, vcc
	v_cmp_ge_i64_e32 vcc, v[6:7], v[4:5]
	s_or_b64 s[24:25], vcc, s[24:25]
	s_andn2_b64 exec, exec, s[24:25]
	s_cbranch_execnz .LBB296_11
	s_branch .LBB296_8
.LBB296_16:
	s_or_b64 exec, exec, s[4:5]
	s_mov_b64 s[4:5], 0
.LBB296_17:
	s_andn2_b64 vcc, exec, s[4:5]
	s_cbranch_vccnz .LBB296_29
; %bb.18:
	s_and_b64 exec, exec, s[0:1]
	s_cbranch_execz .LBB296_29
; %bb.19:
	v_subrev_co_u32_e32 v10, vcc, s2, v14
	s_mov_b32 s4, 0
	v_subb_co_u32_e64 v11, s[0:1], 0, 0, vcc
	s_mov_b64 s[0:1], 0
	v_mov_b32_e32 v14, s13
	v_mov_b32_e32 v15, s15
	;; [unrolled: 1-line block ×3, first 2 shown]
	s_branch .LBB296_21
.LBB296_20:                             ;   in Loop: Header=BB296_21 Depth=1
	s_or_b64 exec, exec, s[4:5]
	v_add_co_u32_e32 v0, vcc, s3, v0
	v_addc_co_u32_e32 v1, vcc, 0, v1, vcc
	v_cmp_le_i64_e32 vcc, s[8:9], v[0:1]
	s_or_b64 s[0:1], vcc, s[0:1]
	s_andn2_b64 exec, exec, s[0:1]
	s_cbranch_execz .LBB296_29
.LBB296_21:                             ; =>This Loop Header: Depth=1
                                        ;     Child Loop BB296_24 Depth 2
                                        ;       Child Loop BB296_26 Depth 3
                                        ;       Child Loop BB296_28 Depth 3
	v_lshlrev_b64 v[6:7], 3, v[0:1]
	v_add_co_u32_e32 v2, vcc, s14, v6
	v_addc_co_u32_e32 v3, vcc, v15, v7, vcc
	global_load_dwordx2 v[2:3], v[2:3], off
	v_add_co_u32_e32 v4, vcc, s12, v6
	v_addc_co_u32_e32 v5, vcc, v14, v7, vcc
	global_load_dwordx2 v[4:5], v[4:5], off
	s_waitcnt vmcnt(1)
	v_subrev_co_u32_e32 v2, vcc, s2, v2
	v_subb_co_u32_e32 v3, vcc, v3, v16, vcc
	s_waitcnt vmcnt(0)
	v_add_co_u32_e32 v4, vcc, v4, v10
	v_addc_co_u32_e32 v5, vcc, v5, v11, vcc
	v_cmp_lt_i64_e32 vcc, v[4:5], v[2:3]
	s_and_saveexec_b64 s[4:5], vcc
	s_cbranch_execz .LBB296_20
; %bb.22:                               ;   in Loop: Header=BB296_21 Depth=1
	v_mov_b32_e32 v8, s21
	v_add_co_u32_e32 v6, vcc, s20, v6
	v_addc_co_u32_e32 v7, vcc, v8, v7, vcc
	global_load_dwordx2 v[6:7], v[6:7], off
	s_mov_b64 s[6:7], 0
	s_waitcnt vmcnt(0)
	v_mul_f32_e64 v17, v7, -v13
	v_mul_f32_e32 v18, v12, v7
	v_fmac_f32_e32 v17, v12, v6
	v_fmac_f32_e32 v18, v13, v6
	v_mul_f32_e32 v19, 0x80000000, v18
	v_mul_f32_e32 v20, 0, v17
	s_branch .LBB296_24
.LBB296_23:                             ;   in Loop: Header=BB296_24 Depth=2
	s_or_b64 exec, exec, s[10:11]
	v_add_co_u32_e32 v4, vcc, 64, v4
	v_addc_co_u32_e32 v5, vcc, 0, v5, vcc
	v_cmp_ge_i64_e32 vcc, v[4:5], v[2:3]
	s_or_b64 s[6:7], vcc, s[6:7]
	s_andn2_b64 exec, exec, s[6:7]
	s_cbranch_execz .LBB296_20
.LBB296_24:                             ;   Parent Loop BB296_21 Depth=1
                                        ; =>  This Loop Header: Depth=2
                                        ;       Child Loop BB296_26 Depth 3
                                        ;       Child Loop BB296_28 Depth 3
	v_lshlrev_b64 v[6:7], 3, v[4:5]
	v_mov_b32_e32 v8, s17
	v_add_co_u32_e32 v6, vcc, s16, v6
	v_addc_co_u32_e32 v7, vcc, v8, v7, vcc
	global_load_dwordx2 v[6:7], v[6:7], off
	s_waitcnt vmcnt(0)
	v_subrev_co_u32_e32 v6, vcc, s2, v6
	v_subb_co_u32_e32 v7, vcc, v7, v16, vcc
	v_cmp_ne_u64_e32 vcc, v[6:7], v[0:1]
	s_and_saveexec_b64 s[10:11], vcc
	s_cbranch_execz .LBB296_23
; %bb.25:                               ;   in Loop: Header=BB296_24 Depth=2
	v_lshlrev_b64 v[8:9], 2, v[4:5]
	v_mov_b32_e32 v21, s19
	v_add_co_u32_e32 v8, vcc, s18, v8
	v_addc_co_u32_e32 v9, vcc, v21, v9, vcc
	v_lshlrev_b64 v[6:7], 3, v[6:7]
	global_load_dword v21, v[8:9], off
	v_mov_b32_e32 v8, s23
	v_add_co_u32_e32 v6, vcc, s22, v6
	v_addc_co_u32_e32 v7, vcc, v8, v7, vcc
	global_load_dword v9, v[6:7], off
	s_mov_b64 s[24:25], 0
	s_waitcnt vmcnt(1)
	v_fma_f32 v22, v17, v21, v19
.LBB296_26:                             ;   Parent Loop BB296_21 Depth=1
                                        ;     Parent Loop BB296_24 Depth=2
                                        ; =>    This Inner Loop Header: Depth=3
	s_waitcnt vmcnt(0)
	v_add_f32_e32 v8, v9, v22
	global_atomic_cmpswap v8, v[6:7], v[8:9], off glc
	s_waitcnt vmcnt(0)
	v_cmp_eq_u32_e32 vcc, v8, v9
	s_or_b64 s[24:25], vcc, s[24:25]
	v_mov_b32_e32 v9, v8
	s_andn2_b64 exec, exec, s[24:25]
	s_cbranch_execnz .LBB296_26
; %bb.27:                               ;   in Loop: Header=BB296_24 Depth=2
	s_or_b64 exec, exec, s[24:25]
	global_load_dword v9, v[6:7], off offset:4
	v_fma_f32 v21, v18, v21, v20
	s_mov_b64 s[24:25], 0
.LBB296_28:                             ;   Parent Loop BB296_21 Depth=1
                                        ;     Parent Loop BB296_24 Depth=2
                                        ; =>    This Inner Loop Header: Depth=3
	s_waitcnt vmcnt(0)
	v_add_f32_e32 v8, v9, v21
	global_atomic_cmpswap v8, v[6:7], v[8:9], off offset:4 glc
	s_waitcnt vmcnt(0)
	v_cmp_eq_u32_e32 vcc, v8, v9
	s_or_b64 s[24:25], vcc, s[24:25]
	v_mov_b32_e32 v9, v8
	s_andn2_b64 exec, exec, s[24:25]
	s_cbranch_execnz .LBB296_28
	s_branch .LBB296_23
.LBB296_29:
	s_endpgm
	.section	.rodata,"a",@progbits
	.p2align	6, 0x0
	.amdhsa_kernel _ZN9rocsparseL21csrmvt_general_kernelILj256ELj64Ellf21rocsparse_complex_numIfES2_S2_EEvbbT2_NS_24const_host_device_scalarIT6_EEPKT1_S9_PKS3_PKT3_PKT4_PT5_21rocsparse_index_base_b
		.amdhsa_group_segment_fixed_size 0
		.amdhsa_private_segment_fixed_size 0
		.amdhsa_kernarg_size 336
		.amdhsa_user_sgpr_count 6
		.amdhsa_user_sgpr_private_segment_buffer 1
		.amdhsa_user_sgpr_dispatch_ptr 0
		.amdhsa_user_sgpr_queue_ptr 0
		.amdhsa_user_sgpr_kernarg_segment_ptr 1
		.amdhsa_user_sgpr_dispatch_id 0
		.amdhsa_user_sgpr_flat_scratch_init 0
		.amdhsa_user_sgpr_kernarg_preload_length 0
		.amdhsa_user_sgpr_kernarg_preload_offset 0
		.amdhsa_user_sgpr_private_segment_size 0
		.amdhsa_uses_dynamic_stack 0
		.amdhsa_system_sgpr_private_segment_wavefront_offset 0
		.amdhsa_system_sgpr_workgroup_id_x 1
		.amdhsa_system_sgpr_workgroup_id_y 0
		.amdhsa_system_sgpr_workgroup_id_z 0
		.amdhsa_system_sgpr_workgroup_info 0
		.amdhsa_system_vgpr_workitem_id 0
		.amdhsa_next_free_vgpr 26
		.amdhsa_next_free_sgpr 28
		.amdhsa_accum_offset 28
		.amdhsa_reserve_vcc 1
		.amdhsa_reserve_flat_scratch 0
		.amdhsa_float_round_mode_32 0
		.amdhsa_float_round_mode_16_64 0
		.amdhsa_float_denorm_mode_32 3
		.amdhsa_float_denorm_mode_16_64 3
		.amdhsa_dx10_clamp 1
		.amdhsa_ieee_mode 1
		.amdhsa_fp16_overflow 0
		.amdhsa_tg_split 0
		.amdhsa_exception_fp_ieee_invalid_op 0
		.amdhsa_exception_fp_denorm_src 0
		.amdhsa_exception_fp_ieee_div_zero 0
		.amdhsa_exception_fp_ieee_overflow 0
		.amdhsa_exception_fp_ieee_underflow 0
		.amdhsa_exception_fp_ieee_inexact 0
		.amdhsa_exception_int_div_zero 0
	.end_amdhsa_kernel
	.section	.text._ZN9rocsparseL21csrmvt_general_kernelILj256ELj64Ellf21rocsparse_complex_numIfES2_S2_EEvbbT2_NS_24const_host_device_scalarIT6_EEPKT1_S9_PKS3_PKT3_PKT4_PT5_21rocsparse_index_base_b,"axG",@progbits,_ZN9rocsparseL21csrmvt_general_kernelILj256ELj64Ellf21rocsparse_complex_numIfES2_S2_EEvbbT2_NS_24const_host_device_scalarIT6_EEPKT1_S9_PKS3_PKT3_PKT4_PT5_21rocsparse_index_base_b,comdat
.Lfunc_end296:
	.size	_ZN9rocsparseL21csrmvt_general_kernelILj256ELj64Ellf21rocsparse_complex_numIfES2_S2_EEvbbT2_NS_24const_host_device_scalarIT6_EEPKT1_S9_PKS3_PKT3_PKT4_PT5_21rocsparse_index_base_b, .Lfunc_end296-_ZN9rocsparseL21csrmvt_general_kernelILj256ELj64Ellf21rocsparse_complex_numIfES2_S2_EEvbbT2_NS_24const_host_device_scalarIT6_EEPKT1_S9_PKS3_PKT3_PKT4_PT5_21rocsparse_index_base_b
                                        ; -- End function
	.section	.AMDGPU.csdata,"",@progbits
; Kernel info:
; codeLenInByte = 1156
; NumSgprs: 32
; NumVgprs: 26
; NumAgprs: 0
; TotalNumVgprs: 26
; ScratchSize: 0
; MemoryBound: 0
; FloatMode: 240
; IeeeMode: 1
; LDSByteSize: 0 bytes/workgroup (compile time only)
; SGPRBlocks: 3
; VGPRBlocks: 3
; NumSGPRsForWavesPerEU: 32
; NumVGPRsForWavesPerEU: 26
; AccumOffset: 28
; Occupancy: 8
; WaveLimiterHint : 1
; COMPUTE_PGM_RSRC2:SCRATCH_EN: 0
; COMPUTE_PGM_RSRC2:USER_SGPR: 6
; COMPUTE_PGM_RSRC2:TRAP_HANDLER: 0
; COMPUTE_PGM_RSRC2:TGID_X_EN: 1
; COMPUTE_PGM_RSRC2:TGID_Y_EN: 0
; COMPUTE_PGM_RSRC2:TGID_Z_EN: 0
; COMPUTE_PGM_RSRC2:TIDIG_COMP_CNT: 0
; COMPUTE_PGM_RSRC3_GFX90A:ACCUM_OFFSET: 6
; COMPUTE_PGM_RSRC3_GFX90A:TG_SPLIT: 0
	.section	.text._ZN9rocsparseL21csrmvn_general_kernelILj256ELj2EiifdddEEvbT2_NS_24const_host_device_scalarIT6_EEPKT1_S7_PKS1_PKT3_PKT4_S4_PT5_21rocsparse_index_base_b,"axG",@progbits,_ZN9rocsparseL21csrmvn_general_kernelILj256ELj2EiifdddEEvbT2_NS_24const_host_device_scalarIT6_EEPKT1_S7_PKS1_PKT3_PKT4_S4_PT5_21rocsparse_index_base_b,comdat
	.globl	_ZN9rocsparseL21csrmvn_general_kernelILj256ELj2EiifdddEEvbT2_NS_24const_host_device_scalarIT6_EEPKT1_S7_PKS1_PKT3_PKT4_S4_PT5_21rocsparse_index_base_b ; -- Begin function _ZN9rocsparseL21csrmvn_general_kernelILj256ELj2EiifdddEEvbT2_NS_24const_host_device_scalarIT6_EEPKT1_S7_PKS1_PKT3_PKT4_S4_PT5_21rocsparse_index_base_b
	.p2align	8
	.type	_ZN9rocsparseL21csrmvn_general_kernelILj256ELj2EiifdddEEvbT2_NS_24const_host_device_scalarIT6_EEPKT1_S7_PKS1_PKT3_PKT4_S4_PT5_21rocsparse_index_base_b,@function
_ZN9rocsparseL21csrmvn_general_kernelILj256ELj2EiifdddEEvbT2_NS_24const_host_device_scalarIT6_EEPKT1_S7_PKS1_PKT3_PKT4_S4_PT5_21rocsparse_index_base_b: ; @_ZN9rocsparseL21csrmvn_general_kernelILj256ELj2EiifdddEEvbT2_NS_24const_host_device_scalarIT6_EEPKT1_S7_PKS1_PKT3_PKT4_S4_PT5_21rocsparse_index_base_b
; %bb.0:
	s_load_dwordx2 s[20:21], s[4:5], 0x48
	s_load_dwordx4 s[16:19], s[4:5], 0x8
	s_load_dwordx2 s[0:1], s[4:5], 0x38
	s_waitcnt lgkmcnt(0)
	s_bitcmp1_b32 s21, 0
	s_cselect_b64 s[8:9], -1, 0
	s_xor_b64 s[2:3], s[8:9], -1
	s_and_b64 vcc, exec, s[8:9]
	v_pk_mov_b32 v[2:3], s[16:17], s[16:17] op_sel:[0,1]
	s_cbranch_vccnz .LBB297_2
; %bb.1:
	v_pk_mov_b32 v[2:3], s[16:17], s[16:17] op_sel:[0,1]
	flat_load_dwordx2 v[2:3], v[2:3]
.LBB297_2:
	s_andn2_b64 vcc, exec, s[2:3]
	v_pk_mov_b32 v[4:5], s[0:1], s[0:1] op_sel:[0,1]
	s_cbranch_vccnz .LBB297_4
; %bb.3:
	v_pk_mov_b32 v[4:5], s[0:1], s[0:1] op_sel:[0,1]
	flat_load_dwordx2 v[4:5], v[4:5]
.LBB297_4:
	s_waitcnt vmcnt(0) lgkmcnt(0)
	v_cmp_neq_f64_e32 vcc, 0, v[2:3]
	v_cmp_neq_f64_e64 s[0:1], 1.0, v[4:5]
	s_or_b64 s[0:1], vcc, s[0:1]
	s_and_saveexec_b64 s[2:3], s[0:1]
	s_cbranch_execz .LBB297_16
; %bb.5:
	s_load_dword s22, s[4:5], 0x4
	v_lshl_or_b32 v1, s6, 8, v0
	v_lshrrev_b32_e32 v6, 1, v1
	s_waitcnt lgkmcnt(0)
	v_cmp_gt_i32_e32 vcc, s22, v6
	s_and_b64 exec, exec, vcc
	s_cbranch_execz .LBB297_16
; %bb.6:
	s_load_dword s0, s[4:5], 0x50
	s_load_dwordx2 s[6:7], s[4:5], 0x40
	s_load_dwordx8 s[8:15], s[4:5], 0x18
	s_ashr_i32 s21, s20, 31
	v_and_b32_e32 v0, 1, v0
	s_waitcnt lgkmcnt(0)
	s_lshl_b32 s23, s0, 7
	s_lshl_b64 s[0:1], s[20:21], 3
	s_sub_u32 s21, s14, s0
	v_subrev_u32_e32 v10, s20, v0
	s_subb_u32 s24, s15, s1
	v_cmp_eq_u32_e32 vcc, 1, v0
	s_mov_b64 s[4:5], 0
	v_cmp_neq_f64_e64 s[0:1], 0, v[4:5]
	v_mov_b32_e32 v11, s19
	v_mov_b32_e32 v12, s9
	s_branch .LBB297_9
.LBB297_7:                              ;   in Loop: Header=BB297_9 Depth=1
	s_or_b64 exec, exec, s[2:3]
	global_store_dwordx2 v[8:9], v[0:1], off
.LBB297_8:                              ;   in Loop: Header=BB297_9 Depth=1
	s_or_b64 exec, exec, s[14:15]
	v_add_u32_e32 v6, s23, v6
	v_cmp_le_i32_e64 s[2:3], s22, v6
	s_or_b64 s[4:5], s[2:3], s[4:5]
	s_andn2_b64 exec, exec, s[4:5]
	s_cbranch_execz .LBB297_16
.LBB297_9:                              ; =>This Loop Header: Depth=1
                                        ;     Child Loop BB297_11 Depth 2
	v_ashrrev_i32_e32 v7, 31, v6
	v_lshlrev_b64 v[0:1], 2, v[6:7]
	v_add_co_u32_e64 v8, s[2:3], s18, v0
	v_addc_co_u32_e64 v9, s[2:3], v11, v1, s[2:3]
	v_add_co_u32_e64 v0, s[2:3], s8, v0
	v_addc_co_u32_e64 v1, s[2:3], v12, v1, s[2:3]
	global_load_dword v13, v[0:1], off
	global_load_dword v14, v[8:9], off
	v_pk_mov_b32 v[0:1], 0, 0
	s_waitcnt vmcnt(1)
	v_subrev_u32_e32 v13, s20, v13
	s_waitcnt vmcnt(0)
	v_add_u32_e32 v8, v14, v10
	v_cmp_lt_i32_e64 s[2:3], v8, v13
	s_and_saveexec_b64 s[14:15], s[2:3]
	s_cbranch_execz .LBB297_13
; %bb.10:                               ;   in Loop: Header=BB297_9 Depth=1
	s_mov_b64 s[16:17], 0
	v_pk_mov_b32 v[0:1], 0, 0
.LBB297_11:                             ;   Parent Loop BB297_9 Depth=1
                                        ; =>  This Inner Loop Header: Depth=2
	v_ashrrev_i32_e32 v9, 31, v8
	v_lshlrev_b64 v[14:15], 2, v[8:9]
	v_mov_b32_e32 v9, s11
	v_add_co_u32_e64 v16, s[2:3], s10, v14
	v_addc_co_u32_e64 v17, s[2:3], v9, v15, s[2:3]
	global_load_dword v16, v[16:17], off
	v_mov_b32_e32 v9, s13
	v_add_co_u32_e64 v14, s[2:3], s12, v14
	v_addc_co_u32_e64 v15, s[2:3], v9, v15, s[2:3]
	global_load_dword v9, v[14:15], off
	v_mov_b32_e32 v18, s24
	v_add_u32_e32 v8, 2, v8
	s_waitcnt vmcnt(1)
	v_ashrrev_i32_e32 v17, 31, v16
	v_lshlrev_b64 v[14:15], 3, v[16:17]
	v_add_co_u32_e64 v14, s[2:3], s21, v14
	v_addc_co_u32_e64 v15, s[2:3], v18, v15, s[2:3]
	global_load_dwordx2 v[14:15], v[14:15], off
	s_waitcnt vmcnt(1)
	v_cvt_f64_f32_e32 v[16:17], v9
	v_mul_f64 v[16:17], v[2:3], v[16:17]
	v_cmp_ge_i32_e64 s[2:3], v8, v13
	s_or_b64 s[16:17], s[2:3], s[16:17]
	s_waitcnt vmcnt(0)
	v_fmac_f64_e32 v[0:1], v[16:17], v[14:15]
	s_andn2_b64 exec, exec, s[16:17]
	s_cbranch_execnz .LBB297_11
; %bb.12:                               ;   in Loop: Header=BB297_9 Depth=1
	s_or_b64 exec, exec, s[16:17]
.LBB297_13:                             ;   in Loop: Header=BB297_9 Depth=1
	s_or_b64 exec, exec, s[14:15]
	v_mov_b32_dpp v8, v0 row_shr:1 row_mask:0xf bank_mask:0xf
	v_mov_b32_dpp v9, v1 row_shr:1 row_mask:0xf bank_mask:0xf
	s_and_saveexec_b64 s[14:15], vcc
	s_cbranch_execz .LBB297_8
; %bb.14:                               ;   in Loop: Header=BB297_9 Depth=1
	v_add_f64 v[0:1], v[0:1], v[8:9]
	v_lshlrev_b64 v[8:9], 3, v[6:7]
	v_mov_b32_e32 v7, s7
	v_add_co_u32_e64 v8, s[2:3], s6, v8
	v_addc_co_u32_e64 v9, s[2:3], v7, v9, s[2:3]
	s_and_saveexec_b64 s[2:3], s[0:1]
	s_cbranch_execz .LBB297_7
; %bb.15:                               ;   in Loop: Header=BB297_9 Depth=1
	global_load_dwordx2 v[14:15], v[8:9], off
	s_waitcnt vmcnt(0)
	v_fmac_f64_e32 v[0:1], v[4:5], v[14:15]
	s_branch .LBB297_7
.LBB297_16:
	s_endpgm
	.section	.rodata,"a",@progbits
	.p2align	6, 0x0
	.amdhsa_kernel _ZN9rocsparseL21csrmvn_general_kernelILj256ELj2EiifdddEEvbT2_NS_24const_host_device_scalarIT6_EEPKT1_S7_PKS1_PKT3_PKT4_S4_PT5_21rocsparse_index_base_b
		.amdhsa_group_segment_fixed_size 0
		.amdhsa_private_segment_fixed_size 0
		.amdhsa_kernarg_size 336
		.amdhsa_user_sgpr_count 6
		.amdhsa_user_sgpr_private_segment_buffer 1
		.amdhsa_user_sgpr_dispatch_ptr 0
		.amdhsa_user_sgpr_queue_ptr 0
		.amdhsa_user_sgpr_kernarg_segment_ptr 1
		.amdhsa_user_sgpr_dispatch_id 0
		.amdhsa_user_sgpr_flat_scratch_init 0
		.amdhsa_user_sgpr_kernarg_preload_length 0
		.amdhsa_user_sgpr_kernarg_preload_offset 0
		.amdhsa_user_sgpr_private_segment_size 0
		.amdhsa_uses_dynamic_stack 0
		.amdhsa_system_sgpr_private_segment_wavefront_offset 0
		.amdhsa_system_sgpr_workgroup_id_x 1
		.amdhsa_system_sgpr_workgroup_id_y 0
		.amdhsa_system_sgpr_workgroup_id_z 0
		.amdhsa_system_sgpr_workgroup_info 0
		.amdhsa_system_vgpr_workitem_id 0
		.amdhsa_next_free_vgpr 19
		.amdhsa_next_free_sgpr 25
		.amdhsa_accum_offset 20
		.amdhsa_reserve_vcc 1
		.amdhsa_reserve_flat_scratch 0
		.amdhsa_float_round_mode_32 0
		.amdhsa_float_round_mode_16_64 0
		.amdhsa_float_denorm_mode_32 3
		.amdhsa_float_denorm_mode_16_64 3
		.amdhsa_dx10_clamp 1
		.amdhsa_ieee_mode 1
		.amdhsa_fp16_overflow 0
		.amdhsa_tg_split 0
		.amdhsa_exception_fp_ieee_invalid_op 0
		.amdhsa_exception_fp_denorm_src 0
		.amdhsa_exception_fp_ieee_div_zero 0
		.amdhsa_exception_fp_ieee_overflow 0
		.amdhsa_exception_fp_ieee_underflow 0
		.amdhsa_exception_fp_ieee_inexact 0
		.amdhsa_exception_int_div_zero 0
	.end_amdhsa_kernel
	.section	.text._ZN9rocsparseL21csrmvn_general_kernelILj256ELj2EiifdddEEvbT2_NS_24const_host_device_scalarIT6_EEPKT1_S7_PKS1_PKT3_PKT4_S4_PT5_21rocsparse_index_base_b,"axG",@progbits,_ZN9rocsparseL21csrmvn_general_kernelILj256ELj2EiifdddEEvbT2_NS_24const_host_device_scalarIT6_EEPKT1_S7_PKS1_PKT3_PKT4_S4_PT5_21rocsparse_index_base_b,comdat
.Lfunc_end297:
	.size	_ZN9rocsparseL21csrmvn_general_kernelILj256ELj2EiifdddEEvbT2_NS_24const_host_device_scalarIT6_EEPKT1_S7_PKS1_PKT3_PKT4_S4_PT5_21rocsparse_index_base_b, .Lfunc_end297-_ZN9rocsparseL21csrmvn_general_kernelILj256ELj2EiifdddEEvbT2_NS_24const_host_device_scalarIT6_EEPKT1_S7_PKS1_PKT3_PKT4_S4_PT5_21rocsparse_index_base_b
                                        ; -- End function
	.section	.AMDGPU.csdata,"",@progbits
; Kernel info:
; codeLenInByte = 664
; NumSgprs: 29
; NumVgprs: 19
; NumAgprs: 0
; TotalNumVgprs: 19
; ScratchSize: 0
; MemoryBound: 1
; FloatMode: 240
; IeeeMode: 1
; LDSByteSize: 0 bytes/workgroup (compile time only)
; SGPRBlocks: 3
; VGPRBlocks: 2
; NumSGPRsForWavesPerEU: 29
; NumVGPRsForWavesPerEU: 19
; AccumOffset: 20
; Occupancy: 8
; WaveLimiterHint : 1
; COMPUTE_PGM_RSRC2:SCRATCH_EN: 0
; COMPUTE_PGM_RSRC2:USER_SGPR: 6
; COMPUTE_PGM_RSRC2:TRAP_HANDLER: 0
; COMPUTE_PGM_RSRC2:TGID_X_EN: 1
; COMPUTE_PGM_RSRC2:TGID_Y_EN: 0
; COMPUTE_PGM_RSRC2:TGID_Z_EN: 0
; COMPUTE_PGM_RSRC2:TIDIG_COMP_CNT: 0
; COMPUTE_PGM_RSRC3_GFX90A:ACCUM_OFFSET: 4
; COMPUTE_PGM_RSRC3_GFX90A:TG_SPLIT: 0
	.section	.text._ZN9rocsparseL21csrmvn_general_kernelILj256ELj4EiifdddEEvbT2_NS_24const_host_device_scalarIT6_EEPKT1_S7_PKS1_PKT3_PKT4_S4_PT5_21rocsparse_index_base_b,"axG",@progbits,_ZN9rocsparseL21csrmvn_general_kernelILj256ELj4EiifdddEEvbT2_NS_24const_host_device_scalarIT6_EEPKT1_S7_PKS1_PKT3_PKT4_S4_PT5_21rocsparse_index_base_b,comdat
	.globl	_ZN9rocsparseL21csrmvn_general_kernelILj256ELj4EiifdddEEvbT2_NS_24const_host_device_scalarIT6_EEPKT1_S7_PKS1_PKT3_PKT4_S4_PT5_21rocsparse_index_base_b ; -- Begin function _ZN9rocsparseL21csrmvn_general_kernelILj256ELj4EiifdddEEvbT2_NS_24const_host_device_scalarIT6_EEPKT1_S7_PKS1_PKT3_PKT4_S4_PT5_21rocsparse_index_base_b
	.p2align	8
	.type	_ZN9rocsparseL21csrmvn_general_kernelILj256ELj4EiifdddEEvbT2_NS_24const_host_device_scalarIT6_EEPKT1_S7_PKS1_PKT3_PKT4_S4_PT5_21rocsparse_index_base_b,@function
_ZN9rocsparseL21csrmvn_general_kernelILj256ELj4EiifdddEEvbT2_NS_24const_host_device_scalarIT6_EEPKT1_S7_PKS1_PKT3_PKT4_S4_PT5_21rocsparse_index_base_b: ; @_ZN9rocsparseL21csrmvn_general_kernelILj256ELj4EiifdddEEvbT2_NS_24const_host_device_scalarIT6_EEPKT1_S7_PKS1_PKT3_PKT4_S4_PT5_21rocsparse_index_base_b
; %bb.0:
	s_load_dwordx2 s[20:21], s[4:5], 0x48
	s_load_dwordx4 s[16:19], s[4:5], 0x8
	s_load_dwordx2 s[0:1], s[4:5], 0x38
	s_waitcnt lgkmcnt(0)
	s_bitcmp1_b32 s21, 0
	s_cselect_b64 s[8:9], -1, 0
	s_xor_b64 s[2:3], s[8:9], -1
	s_and_b64 vcc, exec, s[8:9]
	v_pk_mov_b32 v[2:3], s[16:17], s[16:17] op_sel:[0,1]
	s_cbranch_vccnz .LBB298_2
; %bb.1:
	v_pk_mov_b32 v[2:3], s[16:17], s[16:17] op_sel:[0,1]
	flat_load_dwordx2 v[2:3], v[2:3]
.LBB298_2:
	s_andn2_b64 vcc, exec, s[2:3]
	v_pk_mov_b32 v[4:5], s[0:1], s[0:1] op_sel:[0,1]
	s_cbranch_vccnz .LBB298_4
; %bb.3:
	v_pk_mov_b32 v[4:5], s[0:1], s[0:1] op_sel:[0,1]
	flat_load_dwordx2 v[4:5], v[4:5]
.LBB298_4:
	s_waitcnt vmcnt(0) lgkmcnt(0)
	v_cmp_neq_f64_e32 vcc, 0, v[2:3]
	v_cmp_neq_f64_e64 s[0:1], 1.0, v[4:5]
	s_or_b64 s[0:1], vcc, s[0:1]
	s_and_saveexec_b64 s[2:3], s[0:1]
	s_cbranch_execz .LBB298_16
; %bb.5:
	s_load_dword s22, s[4:5], 0x4
	v_lshl_or_b32 v1, s6, 8, v0
	v_lshrrev_b32_e32 v6, 2, v1
	s_waitcnt lgkmcnt(0)
	v_cmp_gt_i32_e32 vcc, s22, v6
	s_and_b64 exec, exec, vcc
	s_cbranch_execz .LBB298_16
; %bb.6:
	s_load_dword s0, s[4:5], 0x50
	s_load_dwordx2 s[6:7], s[4:5], 0x40
	s_load_dwordx8 s[8:15], s[4:5], 0x18
	s_ashr_i32 s21, s20, 31
	v_and_b32_e32 v0, 3, v0
	s_waitcnt lgkmcnt(0)
	s_lshl_b32 s23, s0, 6
	s_lshl_b64 s[0:1], s[20:21], 3
	s_sub_u32 s21, s14, s0
	v_subrev_u32_e32 v10, s20, v0
	s_subb_u32 s24, s15, s1
	v_cmp_eq_u32_e32 vcc, 3, v0
	s_mov_b64 s[4:5], 0
	v_cmp_neq_f64_e64 s[0:1], 0, v[4:5]
	v_mov_b32_e32 v11, s19
	v_mov_b32_e32 v12, s9
	s_branch .LBB298_9
.LBB298_7:                              ;   in Loop: Header=BB298_9 Depth=1
	s_or_b64 exec, exec, s[2:3]
	global_store_dwordx2 v[8:9], v[0:1], off
.LBB298_8:                              ;   in Loop: Header=BB298_9 Depth=1
	s_or_b64 exec, exec, s[14:15]
	v_add_u32_e32 v6, s23, v6
	v_cmp_le_i32_e64 s[2:3], s22, v6
	s_or_b64 s[4:5], s[2:3], s[4:5]
	s_andn2_b64 exec, exec, s[4:5]
	s_cbranch_execz .LBB298_16
.LBB298_9:                              ; =>This Loop Header: Depth=1
                                        ;     Child Loop BB298_11 Depth 2
	v_ashrrev_i32_e32 v7, 31, v6
	v_lshlrev_b64 v[0:1], 2, v[6:7]
	v_add_co_u32_e64 v8, s[2:3], s18, v0
	v_addc_co_u32_e64 v9, s[2:3], v11, v1, s[2:3]
	v_add_co_u32_e64 v0, s[2:3], s8, v0
	v_addc_co_u32_e64 v1, s[2:3], v12, v1, s[2:3]
	global_load_dword v13, v[0:1], off
	global_load_dword v14, v[8:9], off
	v_pk_mov_b32 v[0:1], 0, 0
	s_waitcnt vmcnt(1)
	v_subrev_u32_e32 v13, s20, v13
	s_waitcnt vmcnt(0)
	v_add_u32_e32 v8, v14, v10
	v_cmp_lt_i32_e64 s[2:3], v8, v13
	s_and_saveexec_b64 s[14:15], s[2:3]
	s_cbranch_execz .LBB298_13
; %bb.10:                               ;   in Loop: Header=BB298_9 Depth=1
	s_mov_b64 s[16:17], 0
	v_pk_mov_b32 v[0:1], 0, 0
.LBB298_11:                             ;   Parent Loop BB298_9 Depth=1
                                        ; =>  This Inner Loop Header: Depth=2
	v_ashrrev_i32_e32 v9, 31, v8
	v_lshlrev_b64 v[14:15], 2, v[8:9]
	v_mov_b32_e32 v9, s11
	v_add_co_u32_e64 v16, s[2:3], s10, v14
	v_addc_co_u32_e64 v17, s[2:3], v9, v15, s[2:3]
	global_load_dword v16, v[16:17], off
	v_mov_b32_e32 v9, s13
	v_add_co_u32_e64 v14, s[2:3], s12, v14
	v_addc_co_u32_e64 v15, s[2:3], v9, v15, s[2:3]
	global_load_dword v9, v[14:15], off
	v_mov_b32_e32 v18, s24
	v_add_u32_e32 v8, 4, v8
	s_waitcnt vmcnt(1)
	v_ashrrev_i32_e32 v17, 31, v16
	v_lshlrev_b64 v[14:15], 3, v[16:17]
	v_add_co_u32_e64 v14, s[2:3], s21, v14
	v_addc_co_u32_e64 v15, s[2:3], v18, v15, s[2:3]
	global_load_dwordx2 v[14:15], v[14:15], off
	s_waitcnt vmcnt(1)
	v_cvt_f64_f32_e32 v[16:17], v9
	v_mul_f64 v[16:17], v[2:3], v[16:17]
	v_cmp_ge_i32_e64 s[2:3], v8, v13
	s_or_b64 s[16:17], s[2:3], s[16:17]
	s_waitcnt vmcnt(0)
	v_fmac_f64_e32 v[0:1], v[16:17], v[14:15]
	s_andn2_b64 exec, exec, s[16:17]
	s_cbranch_execnz .LBB298_11
; %bb.12:                               ;   in Loop: Header=BB298_9 Depth=1
	s_or_b64 exec, exec, s[16:17]
.LBB298_13:                             ;   in Loop: Header=BB298_9 Depth=1
	s_or_b64 exec, exec, s[14:15]
	v_mov_b32_dpp v8, v0 row_shr:1 row_mask:0xf bank_mask:0xf
	v_mov_b32_dpp v9, v1 row_shr:1 row_mask:0xf bank_mask:0xf
	v_add_f64 v[0:1], v[0:1], v[8:9]
	s_nop 1
	v_mov_b32_dpp v8, v0 row_shr:2 row_mask:0xf bank_mask:0xf
	v_mov_b32_dpp v9, v1 row_shr:2 row_mask:0xf bank_mask:0xf
	s_and_saveexec_b64 s[14:15], vcc
	s_cbranch_execz .LBB298_8
; %bb.14:                               ;   in Loop: Header=BB298_9 Depth=1
	v_add_f64 v[0:1], v[0:1], v[8:9]
	v_lshlrev_b64 v[8:9], 3, v[6:7]
	v_mov_b32_e32 v7, s7
	v_add_co_u32_e64 v8, s[2:3], s6, v8
	v_addc_co_u32_e64 v9, s[2:3], v7, v9, s[2:3]
	s_and_saveexec_b64 s[2:3], s[0:1]
	s_cbranch_execz .LBB298_7
; %bb.15:                               ;   in Loop: Header=BB298_9 Depth=1
	global_load_dwordx2 v[14:15], v[8:9], off
	s_waitcnt vmcnt(0)
	v_fmac_f64_e32 v[0:1], v[4:5], v[14:15]
	s_branch .LBB298_7
.LBB298_16:
	s_endpgm
	.section	.rodata,"a",@progbits
	.p2align	6, 0x0
	.amdhsa_kernel _ZN9rocsparseL21csrmvn_general_kernelILj256ELj4EiifdddEEvbT2_NS_24const_host_device_scalarIT6_EEPKT1_S7_PKS1_PKT3_PKT4_S4_PT5_21rocsparse_index_base_b
		.amdhsa_group_segment_fixed_size 0
		.amdhsa_private_segment_fixed_size 0
		.amdhsa_kernarg_size 336
		.amdhsa_user_sgpr_count 6
		.amdhsa_user_sgpr_private_segment_buffer 1
		.amdhsa_user_sgpr_dispatch_ptr 0
		.amdhsa_user_sgpr_queue_ptr 0
		.amdhsa_user_sgpr_kernarg_segment_ptr 1
		.amdhsa_user_sgpr_dispatch_id 0
		.amdhsa_user_sgpr_flat_scratch_init 0
		.amdhsa_user_sgpr_kernarg_preload_length 0
		.amdhsa_user_sgpr_kernarg_preload_offset 0
		.amdhsa_user_sgpr_private_segment_size 0
		.amdhsa_uses_dynamic_stack 0
		.amdhsa_system_sgpr_private_segment_wavefront_offset 0
		.amdhsa_system_sgpr_workgroup_id_x 1
		.amdhsa_system_sgpr_workgroup_id_y 0
		.amdhsa_system_sgpr_workgroup_id_z 0
		.amdhsa_system_sgpr_workgroup_info 0
		.amdhsa_system_vgpr_workitem_id 0
		.amdhsa_next_free_vgpr 19
		.amdhsa_next_free_sgpr 25
		.amdhsa_accum_offset 20
		.amdhsa_reserve_vcc 1
		.amdhsa_reserve_flat_scratch 0
		.amdhsa_float_round_mode_32 0
		.amdhsa_float_round_mode_16_64 0
		.amdhsa_float_denorm_mode_32 3
		.amdhsa_float_denorm_mode_16_64 3
		.amdhsa_dx10_clamp 1
		.amdhsa_ieee_mode 1
		.amdhsa_fp16_overflow 0
		.amdhsa_tg_split 0
		.amdhsa_exception_fp_ieee_invalid_op 0
		.amdhsa_exception_fp_denorm_src 0
		.amdhsa_exception_fp_ieee_div_zero 0
		.amdhsa_exception_fp_ieee_overflow 0
		.amdhsa_exception_fp_ieee_underflow 0
		.amdhsa_exception_fp_ieee_inexact 0
		.amdhsa_exception_int_div_zero 0
	.end_amdhsa_kernel
	.section	.text._ZN9rocsparseL21csrmvn_general_kernelILj256ELj4EiifdddEEvbT2_NS_24const_host_device_scalarIT6_EEPKT1_S7_PKS1_PKT3_PKT4_S4_PT5_21rocsparse_index_base_b,"axG",@progbits,_ZN9rocsparseL21csrmvn_general_kernelILj256ELj4EiifdddEEvbT2_NS_24const_host_device_scalarIT6_EEPKT1_S7_PKS1_PKT3_PKT4_S4_PT5_21rocsparse_index_base_b,comdat
.Lfunc_end298:
	.size	_ZN9rocsparseL21csrmvn_general_kernelILj256ELj4EiifdddEEvbT2_NS_24const_host_device_scalarIT6_EEPKT1_S7_PKS1_PKT3_PKT4_S4_PT5_21rocsparse_index_base_b, .Lfunc_end298-_ZN9rocsparseL21csrmvn_general_kernelILj256ELj4EiifdddEEvbT2_NS_24const_host_device_scalarIT6_EEPKT1_S7_PKS1_PKT3_PKT4_S4_PT5_21rocsparse_index_base_b
                                        ; -- End function
	.section	.AMDGPU.csdata,"",@progbits
; Kernel info:
; codeLenInByte = 692
; NumSgprs: 29
; NumVgprs: 19
; NumAgprs: 0
; TotalNumVgprs: 19
; ScratchSize: 0
; MemoryBound: 1
; FloatMode: 240
; IeeeMode: 1
; LDSByteSize: 0 bytes/workgroup (compile time only)
; SGPRBlocks: 3
; VGPRBlocks: 2
; NumSGPRsForWavesPerEU: 29
; NumVGPRsForWavesPerEU: 19
; AccumOffset: 20
; Occupancy: 8
; WaveLimiterHint : 1
; COMPUTE_PGM_RSRC2:SCRATCH_EN: 0
; COMPUTE_PGM_RSRC2:USER_SGPR: 6
; COMPUTE_PGM_RSRC2:TRAP_HANDLER: 0
; COMPUTE_PGM_RSRC2:TGID_X_EN: 1
; COMPUTE_PGM_RSRC2:TGID_Y_EN: 0
; COMPUTE_PGM_RSRC2:TGID_Z_EN: 0
; COMPUTE_PGM_RSRC2:TIDIG_COMP_CNT: 0
; COMPUTE_PGM_RSRC3_GFX90A:ACCUM_OFFSET: 4
; COMPUTE_PGM_RSRC3_GFX90A:TG_SPLIT: 0
	.section	.text._ZN9rocsparseL21csrmvn_general_kernelILj256ELj8EiifdddEEvbT2_NS_24const_host_device_scalarIT6_EEPKT1_S7_PKS1_PKT3_PKT4_S4_PT5_21rocsparse_index_base_b,"axG",@progbits,_ZN9rocsparseL21csrmvn_general_kernelILj256ELj8EiifdddEEvbT2_NS_24const_host_device_scalarIT6_EEPKT1_S7_PKS1_PKT3_PKT4_S4_PT5_21rocsparse_index_base_b,comdat
	.globl	_ZN9rocsparseL21csrmvn_general_kernelILj256ELj8EiifdddEEvbT2_NS_24const_host_device_scalarIT6_EEPKT1_S7_PKS1_PKT3_PKT4_S4_PT5_21rocsparse_index_base_b ; -- Begin function _ZN9rocsparseL21csrmvn_general_kernelILj256ELj8EiifdddEEvbT2_NS_24const_host_device_scalarIT6_EEPKT1_S7_PKS1_PKT3_PKT4_S4_PT5_21rocsparse_index_base_b
	.p2align	8
	.type	_ZN9rocsparseL21csrmvn_general_kernelILj256ELj8EiifdddEEvbT2_NS_24const_host_device_scalarIT6_EEPKT1_S7_PKS1_PKT3_PKT4_S4_PT5_21rocsparse_index_base_b,@function
_ZN9rocsparseL21csrmvn_general_kernelILj256ELj8EiifdddEEvbT2_NS_24const_host_device_scalarIT6_EEPKT1_S7_PKS1_PKT3_PKT4_S4_PT5_21rocsparse_index_base_b: ; @_ZN9rocsparseL21csrmvn_general_kernelILj256ELj8EiifdddEEvbT2_NS_24const_host_device_scalarIT6_EEPKT1_S7_PKS1_PKT3_PKT4_S4_PT5_21rocsparse_index_base_b
; %bb.0:
	s_load_dwordx2 s[20:21], s[4:5], 0x48
	s_load_dwordx4 s[16:19], s[4:5], 0x8
	s_load_dwordx2 s[0:1], s[4:5], 0x38
	s_waitcnt lgkmcnt(0)
	s_bitcmp1_b32 s21, 0
	s_cselect_b64 s[8:9], -1, 0
	s_xor_b64 s[2:3], s[8:9], -1
	s_and_b64 vcc, exec, s[8:9]
	v_pk_mov_b32 v[2:3], s[16:17], s[16:17] op_sel:[0,1]
	s_cbranch_vccnz .LBB299_2
; %bb.1:
	v_pk_mov_b32 v[2:3], s[16:17], s[16:17] op_sel:[0,1]
	flat_load_dwordx2 v[2:3], v[2:3]
.LBB299_2:
	s_andn2_b64 vcc, exec, s[2:3]
	v_pk_mov_b32 v[4:5], s[0:1], s[0:1] op_sel:[0,1]
	s_cbranch_vccnz .LBB299_4
; %bb.3:
	v_pk_mov_b32 v[4:5], s[0:1], s[0:1] op_sel:[0,1]
	flat_load_dwordx2 v[4:5], v[4:5]
.LBB299_4:
	s_waitcnt vmcnt(0) lgkmcnt(0)
	v_cmp_neq_f64_e32 vcc, 0, v[2:3]
	v_cmp_neq_f64_e64 s[0:1], 1.0, v[4:5]
	s_or_b64 s[0:1], vcc, s[0:1]
	s_and_saveexec_b64 s[2:3], s[0:1]
	s_cbranch_execz .LBB299_16
; %bb.5:
	s_load_dword s22, s[4:5], 0x4
	v_lshl_or_b32 v1, s6, 8, v0
	v_lshrrev_b32_e32 v6, 3, v1
	s_waitcnt lgkmcnt(0)
	v_cmp_gt_i32_e32 vcc, s22, v6
	s_and_b64 exec, exec, vcc
	s_cbranch_execz .LBB299_16
; %bb.6:
	s_load_dword s0, s[4:5], 0x50
	s_load_dwordx2 s[6:7], s[4:5], 0x40
	s_load_dwordx8 s[8:15], s[4:5], 0x18
	s_ashr_i32 s21, s20, 31
	v_and_b32_e32 v0, 7, v0
	s_waitcnt lgkmcnt(0)
	s_lshl_b32 s23, s0, 5
	s_lshl_b64 s[0:1], s[20:21], 3
	s_sub_u32 s21, s14, s0
	v_subrev_u32_e32 v10, s20, v0
	s_subb_u32 s24, s15, s1
	v_cmp_eq_u32_e32 vcc, 7, v0
	s_mov_b64 s[4:5], 0
	v_cmp_neq_f64_e64 s[0:1], 0, v[4:5]
	v_mov_b32_e32 v11, s19
	v_mov_b32_e32 v12, s9
	s_branch .LBB299_9
.LBB299_7:                              ;   in Loop: Header=BB299_9 Depth=1
	s_or_b64 exec, exec, s[2:3]
	global_store_dwordx2 v[8:9], v[0:1], off
.LBB299_8:                              ;   in Loop: Header=BB299_9 Depth=1
	s_or_b64 exec, exec, s[14:15]
	v_add_u32_e32 v6, s23, v6
	v_cmp_le_i32_e64 s[2:3], s22, v6
	s_or_b64 s[4:5], s[2:3], s[4:5]
	s_andn2_b64 exec, exec, s[4:5]
	s_cbranch_execz .LBB299_16
.LBB299_9:                              ; =>This Loop Header: Depth=1
                                        ;     Child Loop BB299_11 Depth 2
	v_ashrrev_i32_e32 v7, 31, v6
	v_lshlrev_b64 v[0:1], 2, v[6:7]
	v_add_co_u32_e64 v8, s[2:3], s18, v0
	v_addc_co_u32_e64 v9, s[2:3], v11, v1, s[2:3]
	v_add_co_u32_e64 v0, s[2:3], s8, v0
	v_addc_co_u32_e64 v1, s[2:3], v12, v1, s[2:3]
	global_load_dword v13, v[0:1], off
	global_load_dword v14, v[8:9], off
	v_pk_mov_b32 v[0:1], 0, 0
	s_waitcnt vmcnt(1)
	v_subrev_u32_e32 v13, s20, v13
	s_waitcnt vmcnt(0)
	v_add_u32_e32 v8, v14, v10
	v_cmp_lt_i32_e64 s[2:3], v8, v13
	s_and_saveexec_b64 s[14:15], s[2:3]
	s_cbranch_execz .LBB299_13
; %bb.10:                               ;   in Loop: Header=BB299_9 Depth=1
	s_mov_b64 s[16:17], 0
	v_pk_mov_b32 v[0:1], 0, 0
.LBB299_11:                             ;   Parent Loop BB299_9 Depth=1
                                        ; =>  This Inner Loop Header: Depth=2
	v_ashrrev_i32_e32 v9, 31, v8
	v_lshlrev_b64 v[14:15], 2, v[8:9]
	v_mov_b32_e32 v9, s11
	v_add_co_u32_e64 v16, s[2:3], s10, v14
	v_addc_co_u32_e64 v17, s[2:3], v9, v15, s[2:3]
	global_load_dword v16, v[16:17], off
	v_mov_b32_e32 v9, s13
	v_add_co_u32_e64 v14, s[2:3], s12, v14
	v_addc_co_u32_e64 v15, s[2:3], v9, v15, s[2:3]
	global_load_dword v9, v[14:15], off
	v_mov_b32_e32 v18, s24
	v_add_u32_e32 v8, 8, v8
	s_waitcnt vmcnt(1)
	v_ashrrev_i32_e32 v17, 31, v16
	v_lshlrev_b64 v[14:15], 3, v[16:17]
	v_add_co_u32_e64 v14, s[2:3], s21, v14
	v_addc_co_u32_e64 v15, s[2:3], v18, v15, s[2:3]
	global_load_dwordx2 v[14:15], v[14:15], off
	s_waitcnt vmcnt(1)
	v_cvt_f64_f32_e32 v[16:17], v9
	v_mul_f64 v[16:17], v[2:3], v[16:17]
	v_cmp_ge_i32_e64 s[2:3], v8, v13
	s_or_b64 s[16:17], s[2:3], s[16:17]
	s_waitcnt vmcnt(0)
	v_fmac_f64_e32 v[0:1], v[16:17], v[14:15]
	s_andn2_b64 exec, exec, s[16:17]
	s_cbranch_execnz .LBB299_11
; %bb.12:                               ;   in Loop: Header=BB299_9 Depth=1
	s_or_b64 exec, exec, s[16:17]
.LBB299_13:                             ;   in Loop: Header=BB299_9 Depth=1
	s_or_b64 exec, exec, s[14:15]
	v_mov_b32_dpp v8, v0 row_shr:1 row_mask:0xf bank_mask:0xf
	v_mov_b32_dpp v9, v1 row_shr:1 row_mask:0xf bank_mask:0xf
	v_add_f64 v[0:1], v[0:1], v[8:9]
	s_nop 1
	v_mov_b32_dpp v8, v0 row_shr:2 row_mask:0xf bank_mask:0xf
	v_mov_b32_dpp v9, v1 row_shr:2 row_mask:0xf bank_mask:0xf
	v_add_f64 v[0:1], v[0:1], v[8:9]
	s_nop 1
	v_mov_b32_dpp v8, v0 row_shr:4 row_mask:0xf bank_mask:0xe
	v_mov_b32_dpp v9, v1 row_shr:4 row_mask:0xf bank_mask:0xe
	s_and_saveexec_b64 s[14:15], vcc
	s_cbranch_execz .LBB299_8
; %bb.14:                               ;   in Loop: Header=BB299_9 Depth=1
	v_add_f64 v[0:1], v[0:1], v[8:9]
	v_lshlrev_b64 v[8:9], 3, v[6:7]
	v_mov_b32_e32 v7, s7
	v_add_co_u32_e64 v8, s[2:3], s6, v8
	v_addc_co_u32_e64 v9, s[2:3], v7, v9, s[2:3]
	s_and_saveexec_b64 s[2:3], s[0:1]
	s_cbranch_execz .LBB299_7
; %bb.15:                               ;   in Loop: Header=BB299_9 Depth=1
	global_load_dwordx2 v[14:15], v[8:9], off
	s_waitcnt vmcnt(0)
	v_fmac_f64_e32 v[0:1], v[4:5], v[14:15]
	s_branch .LBB299_7
.LBB299_16:
	s_endpgm
	.section	.rodata,"a",@progbits
	.p2align	6, 0x0
	.amdhsa_kernel _ZN9rocsparseL21csrmvn_general_kernelILj256ELj8EiifdddEEvbT2_NS_24const_host_device_scalarIT6_EEPKT1_S7_PKS1_PKT3_PKT4_S4_PT5_21rocsparse_index_base_b
		.amdhsa_group_segment_fixed_size 0
		.amdhsa_private_segment_fixed_size 0
		.amdhsa_kernarg_size 336
		.amdhsa_user_sgpr_count 6
		.amdhsa_user_sgpr_private_segment_buffer 1
		.amdhsa_user_sgpr_dispatch_ptr 0
		.amdhsa_user_sgpr_queue_ptr 0
		.amdhsa_user_sgpr_kernarg_segment_ptr 1
		.amdhsa_user_sgpr_dispatch_id 0
		.amdhsa_user_sgpr_flat_scratch_init 0
		.amdhsa_user_sgpr_kernarg_preload_length 0
		.amdhsa_user_sgpr_kernarg_preload_offset 0
		.amdhsa_user_sgpr_private_segment_size 0
		.amdhsa_uses_dynamic_stack 0
		.amdhsa_system_sgpr_private_segment_wavefront_offset 0
		.amdhsa_system_sgpr_workgroup_id_x 1
		.amdhsa_system_sgpr_workgroup_id_y 0
		.amdhsa_system_sgpr_workgroup_id_z 0
		.amdhsa_system_sgpr_workgroup_info 0
		.amdhsa_system_vgpr_workitem_id 0
		.amdhsa_next_free_vgpr 19
		.amdhsa_next_free_sgpr 25
		.amdhsa_accum_offset 20
		.amdhsa_reserve_vcc 1
		.amdhsa_reserve_flat_scratch 0
		.amdhsa_float_round_mode_32 0
		.amdhsa_float_round_mode_16_64 0
		.amdhsa_float_denorm_mode_32 3
		.amdhsa_float_denorm_mode_16_64 3
		.amdhsa_dx10_clamp 1
		.amdhsa_ieee_mode 1
		.amdhsa_fp16_overflow 0
		.amdhsa_tg_split 0
		.amdhsa_exception_fp_ieee_invalid_op 0
		.amdhsa_exception_fp_denorm_src 0
		.amdhsa_exception_fp_ieee_div_zero 0
		.amdhsa_exception_fp_ieee_overflow 0
		.amdhsa_exception_fp_ieee_underflow 0
		.amdhsa_exception_fp_ieee_inexact 0
		.amdhsa_exception_int_div_zero 0
	.end_amdhsa_kernel
	.section	.text._ZN9rocsparseL21csrmvn_general_kernelILj256ELj8EiifdddEEvbT2_NS_24const_host_device_scalarIT6_EEPKT1_S7_PKS1_PKT3_PKT4_S4_PT5_21rocsparse_index_base_b,"axG",@progbits,_ZN9rocsparseL21csrmvn_general_kernelILj256ELj8EiifdddEEvbT2_NS_24const_host_device_scalarIT6_EEPKT1_S7_PKS1_PKT3_PKT4_S4_PT5_21rocsparse_index_base_b,comdat
.Lfunc_end299:
	.size	_ZN9rocsparseL21csrmvn_general_kernelILj256ELj8EiifdddEEvbT2_NS_24const_host_device_scalarIT6_EEPKT1_S7_PKS1_PKT3_PKT4_S4_PT5_21rocsparse_index_base_b, .Lfunc_end299-_ZN9rocsparseL21csrmvn_general_kernelILj256ELj8EiifdddEEvbT2_NS_24const_host_device_scalarIT6_EEPKT1_S7_PKS1_PKT3_PKT4_S4_PT5_21rocsparse_index_base_b
                                        ; -- End function
	.section	.AMDGPU.csdata,"",@progbits
; Kernel info:
; codeLenInByte = 720
; NumSgprs: 29
; NumVgprs: 19
; NumAgprs: 0
; TotalNumVgprs: 19
; ScratchSize: 0
; MemoryBound: 1
; FloatMode: 240
; IeeeMode: 1
; LDSByteSize: 0 bytes/workgroup (compile time only)
; SGPRBlocks: 3
; VGPRBlocks: 2
; NumSGPRsForWavesPerEU: 29
; NumVGPRsForWavesPerEU: 19
; AccumOffset: 20
; Occupancy: 8
; WaveLimiterHint : 1
; COMPUTE_PGM_RSRC2:SCRATCH_EN: 0
; COMPUTE_PGM_RSRC2:USER_SGPR: 6
; COMPUTE_PGM_RSRC2:TRAP_HANDLER: 0
; COMPUTE_PGM_RSRC2:TGID_X_EN: 1
; COMPUTE_PGM_RSRC2:TGID_Y_EN: 0
; COMPUTE_PGM_RSRC2:TGID_Z_EN: 0
; COMPUTE_PGM_RSRC2:TIDIG_COMP_CNT: 0
; COMPUTE_PGM_RSRC3_GFX90A:ACCUM_OFFSET: 4
; COMPUTE_PGM_RSRC3_GFX90A:TG_SPLIT: 0
	.section	.text._ZN9rocsparseL21csrmvn_general_kernelILj256ELj16EiifdddEEvbT2_NS_24const_host_device_scalarIT6_EEPKT1_S7_PKS1_PKT3_PKT4_S4_PT5_21rocsparse_index_base_b,"axG",@progbits,_ZN9rocsparseL21csrmvn_general_kernelILj256ELj16EiifdddEEvbT2_NS_24const_host_device_scalarIT6_EEPKT1_S7_PKS1_PKT3_PKT4_S4_PT5_21rocsparse_index_base_b,comdat
	.globl	_ZN9rocsparseL21csrmvn_general_kernelILj256ELj16EiifdddEEvbT2_NS_24const_host_device_scalarIT6_EEPKT1_S7_PKS1_PKT3_PKT4_S4_PT5_21rocsparse_index_base_b ; -- Begin function _ZN9rocsparseL21csrmvn_general_kernelILj256ELj16EiifdddEEvbT2_NS_24const_host_device_scalarIT6_EEPKT1_S7_PKS1_PKT3_PKT4_S4_PT5_21rocsparse_index_base_b
	.p2align	8
	.type	_ZN9rocsparseL21csrmvn_general_kernelILj256ELj16EiifdddEEvbT2_NS_24const_host_device_scalarIT6_EEPKT1_S7_PKS1_PKT3_PKT4_S4_PT5_21rocsparse_index_base_b,@function
_ZN9rocsparseL21csrmvn_general_kernelILj256ELj16EiifdddEEvbT2_NS_24const_host_device_scalarIT6_EEPKT1_S7_PKS1_PKT3_PKT4_S4_PT5_21rocsparse_index_base_b: ; @_ZN9rocsparseL21csrmvn_general_kernelILj256ELj16EiifdddEEvbT2_NS_24const_host_device_scalarIT6_EEPKT1_S7_PKS1_PKT3_PKT4_S4_PT5_21rocsparse_index_base_b
; %bb.0:
	s_load_dwordx2 s[20:21], s[4:5], 0x48
	s_load_dwordx4 s[16:19], s[4:5], 0x8
	s_load_dwordx2 s[0:1], s[4:5], 0x38
	s_waitcnt lgkmcnt(0)
	s_bitcmp1_b32 s21, 0
	s_cselect_b64 s[8:9], -1, 0
	s_xor_b64 s[2:3], s[8:9], -1
	s_and_b64 vcc, exec, s[8:9]
	v_pk_mov_b32 v[2:3], s[16:17], s[16:17] op_sel:[0,1]
	s_cbranch_vccnz .LBB300_2
; %bb.1:
	v_pk_mov_b32 v[2:3], s[16:17], s[16:17] op_sel:[0,1]
	flat_load_dwordx2 v[2:3], v[2:3]
.LBB300_2:
	s_andn2_b64 vcc, exec, s[2:3]
	v_pk_mov_b32 v[4:5], s[0:1], s[0:1] op_sel:[0,1]
	s_cbranch_vccnz .LBB300_4
; %bb.3:
	v_pk_mov_b32 v[4:5], s[0:1], s[0:1] op_sel:[0,1]
	flat_load_dwordx2 v[4:5], v[4:5]
.LBB300_4:
	s_waitcnt vmcnt(0) lgkmcnt(0)
	v_cmp_neq_f64_e32 vcc, 0, v[2:3]
	v_cmp_neq_f64_e64 s[0:1], 1.0, v[4:5]
	s_or_b64 s[0:1], vcc, s[0:1]
	s_and_saveexec_b64 s[2:3], s[0:1]
	s_cbranch_execz .LBB300_16
; %bb.5:
	s_load_dword s22, s[4:5], 0x4
	v_lshl_or_b32 v1, s6, 8, v0
	v_lshrrev_b32_e32 v6, 4, v1
	s_waitcnt lgkmcnt(0)
	v_cmp_gt_i32_e32 vcc, s22, v6
	s_and_b64 exec, exec, vcc
	s_cbranch_execz .LBB300_16
; %bb.6:
	s_load_dword s0, s[4:5], 0x50
	s_load_dwordx2 s[6:7], s[4:5], 0x40
	s_load_dwordx8 s[8:15], s[4:5], 0x18
	s_ashr_i32 s21, s20, 31
	v_and_b32_e32 v0, 15, v0
	s_waitcnt lgkmcnt(0)
	s_lshl_b32 s23, s0, 4
	s_lshl_b64 s[0:1], s[20:21], 3
	s_sub_u32 s21, s14, s0
	v_subrev_u32_e32 v10, s20, v0
	s_subb_u32 s24, s15, s1
	v_cmp_eq_u32_e32 vcc, 15, v0
	s_mov_b64 s[4:5], 0
	v_cmp_neq_f64_e64 s[0:1], 0, v[4:5]
	v_mov_b32_e32 v11, s19
	v_mov_b32_e32 v12, s9
	s_branch .LBB300_9
.LBB300_7:                              ;   in Loop: Header=BB300_9 Depth=1
	s_or_b64 exec, exec, s[2:3]
	global_store_dwordx2 v[8:9], v[0:1], off
.LBB300_8:                              ;   in Loop: Header=BB300_9 Depth=1
	s_or_b64 exec, exec, s[14:15]
	v_add_u32_e32 v6, s23, v6
	v_cmp_le_i32_e64 s[2:3], s22, v6
	s_or_b64 s[4:5], s[2:3], s[4:5]
	s_andn2_b64 exec, exec, s[4:5]
	s_cbranch_execz .LBB300_16
.LBB300_9:                              ; =>This Loop Header: Depth=1
                                        ;     Child Loop BB300_11 Depth 2
	v_ashrrev_i32_e32 v7, 31, v6
	v_lshlrev_b64 v[0:1], 2, v[6:7]
	v_add_co_u32_e64 v8, s[2:3], s18, v0
	v_addc_co_u32_e64 v9, s[2:3], v11, v1, s[2:3]
	v_add_co_u32_e64 v0, s[2:3], s8, v0
	v_addc_co_u32_e64 v1, s[2:3], v12, v1, s[2:3]
	global_load_dword v13, v[0:1], off
	global_load_dword v14, v[8:9], off
	v_pk_mov_b32 v[0:1], 0, 0
	s_waitcnt vmcnt(1)
	v_subrev_u32_e32 v13, s20, v13
	s_waitcnt vmcnt(0)
	v_add_u32_e32 v8, v14, v10
	v_cmp_lt_i32_e64 s[2:3], v8, v13
	s_and_saveexec_b64 s[14:15], s[2:3]
	s_cbranch_execz .LBB300_13
; %bb.10:                               ;   in Loop: Header=BB300_9 Depth=1
	s_mov_b64 s[16:17], 0
	v_pk_mov_b32 v[0:1], 0, 0
.LBB300_11:                             ;   Parent Loop BB300_9 Depth=1
                                        ; =>  This Inner Loop Header: Depth=2
	v_ashrrev_i32_e32 v9, 31, v8
	v_lshlrev_b64 v[14:15], 2, v[8:9]
	v_mov_b32_e32 v9, s11
	v_add_co_u32_e64 v16, s[2:3], s10, v14
	v_addc_co_u32_e64 v17, s[2:3], v9, v15, s[2:3]
	global_load_dword v16, v[16:17], off
	v_mov_b32_e32 v9, s13
	v_add_co_u32_e64 v14, s[2:3], s12, v14
	v_addc_co_u32_e64 v15, s[2:3], v9, v15, s[2:3]
	global_load_dword v9, v[14:15], off
	v_mov_b32_e32 v18, s24
	v_add_u32_e32 v8, 16, v8
	s_waitcnt vmcnt(1)
	v_ashrrev_i32_e32 v17, 31, v16
	v_lshlrev_b64 v[14:15], 3, v[16:17]
	v_add_co_u32_e64 v14, s[2:3], s21, v14
	v_addc_co_u32_e64 v15, s[2:3], v18, v15, s[2:3]
	global_load_dwordx2 v[14:15], v[14:15], off
	s_waitcnt vmcnt(1)
	v_cvt_f64_f32_e32 v[16:17], v9
	v_mul_f64 v[16:17], v[2:3], v[16:17]
	v_cmp_ge_i32_e64 s[2:3], v8, v13
	s_or_b64 s[16:17], s[2:3], s[16:17]
	s_waitcnt vmcnt(0)
	v_fmac_f64_e32 v[0:1], v[16:17], v[14:15]
	s_andn2_b64 exec, exec, s[16:17]
	s_cbranch_execnz .LBB300_11
; %bb.12:                               ;   in Loop: Header=BB300_9 Depth=1
	s_or_b64 exec, exec, s[16:17]
.LBB300_13:                             ;   in Loop: Header=BB300_9 Depth=1
	s_or_b64 exec, exec, s[14:15]
	v_mov_b32_dpp v8, v0 row_shr:1 row_mask:0xf bank_mask:0xf
	v_mov_b32_dpp v9, v1 row_shr:1 row_mask:0xf bank_mask:0xf
	v_add_f64 v[0:1], v[0:1], v[8:9]
	s_nop 1
	v_mov_b32_dpp v8, v0 row_shr:2 row_mask:0xf bank_mask:0xf
	v_mov_b32_dpp v9, v1 row_shr:2 row_mask:0xf bank_mask:0xf
	v_add_f64 v[0:1], v[0:1], v[8:9]
	s_nop 1
	;; [unrolled: 4-line block ×3, first 2 shown]
	v_mov_b32_dpp v8, v0 row_shr:8 row_mask:0xf bank_mask:0xc
	v_mov_b32_dpp v9, v1 row_shr:8 row_mask:0xf bank_mask:0xc
	s_and_saveexec_b64 s[14:15], vcc
	s_cbranch_execz .LBB300_8
; %bb.14:                               ;   in Loop: Header=BB300_9 Depth=1
	v_add_f64 v[0:1], v[0:1], v[8:9]
	v_lshlrev_b64 v[8:9], 3, v[6:7]
	v_mov_b32_e32 v7, s7
	v_add_co_u32_e64 v8, s[2:3], s6, v8
	v_addc_co_u32_e64 v9, s[2:3], v7, v9, s[2:3]
	s_and_saveexec_b64 s[2:3], s[0:1]
	s_cbranch_execz .LBB300_7
; %bb.15:                               ;   in Loop: Header=BB300_9 Depth=1
	global_load_dwordx2 v[14:15], v[8:9], off
	s_waitcnt vmcnt(0)
	v_fmac_f64_e32 v[0:1], v[4:5], v[14:15]
	s_branch .LBB300_7
.LBB300_16:
	s_endpgm
	.section	.rodata,"a",@progbits
	.p2align	6, 0x0
	.amdhsa_kernel _ZN9rocsparseL21csrmvn_general_kernelILj256ELj16EiifdddEEvbT2_NS_24const_host_device_scalarIT6_EEPKT1_S7_PKS1_PKT3_PKT4_S4_PT5_21rocsparse_index_base_b
		.amdhsa_group_segment_fixed_size 0
		.amdhsa_private_segment_fixed_size 0
		.amdhsa_kernarg_size 336
		.amdhsa_user_sgpr_count 6
		.amdhsa_user_sgpr_private_segment_buffer 1
		.amdhsa_user_sgpr_dispatch_ptr 0
		.amdhsa_user_sgpr_queue_ptr 0
		.amdhsa_user_sgpr_kernarg_segment_ptr 1
		.amdhsa_user_sgpr_dispatch_id 0
		.amdhsa_user_sgpr_flat_scratch_init 0
		.amdhsa_user_sgpr_kernarg_preload_length 0
		.amdhsa_user_sgpr_kernarg_preload_offset 0
		.amdhsa_user_sgpr_private_segment_size 0
		.amdhsa_uses_dynamic_stack 0
		.amdhsa_system_sgpr_private_segment_wavefront_offset 0
		.amdhsa_system_sgpr_workgroup_id_x 1
		.amdhsa_system_sgpr_workgroup_id_y 0
		.amdhsa_system_sgpr_workgroup_id_z 0
		.amdhsa_system_sgpr_workgroup_info 0
		.amdhsa_system_vgpr_workitem_id 0
		.amdhsa_next_free_vgpr 19
		.amdhsa_next_free_sgpr 25
		.amdhsa_accum_offset 20
		.amdhsa_reserve_vcc 1
		.amdhsa_reserve_flat_scratch 0
		.amdhsa_float_round_mode_32 0
		.amdhsa_float_round_mode_16_64 0
		.amdhsa_float_denorm_mode_32 3
		.amdhsa_float_denorm_mode_16_64 3
		.amdhsa_dx10_clamp 1
		.amdhsa_ieee_mode 1
		.amdhsa_fp16_overflow 0
		.amdhsa_tg_split 0
		.amdhsa_exception_fp_ieee_invalid_op 0
		.amdhsa_exception_fp_denorm_src 0
		.amdhsa_exception_fp_ieee_div_zero 0
		.amdhsa_exception_fp_ieee_overflow 0
		.amdhsa_exception_fp_ieee_underflow 0
		.amdhsa_exception_fp_ieee_inexact 0
		.amdhsa_exception_int_div_zero 0
	.end_amdhsa_kernel
	.section	.text._ZN9rocsparseL21csrmvn_general_kernelILj256ELj16EiifdddEEvbT2_NS_24const_host_device_scalarIT6_EEPKT1_S7_PKS1_PKT3_PKT4_S4_PT5_21rocsparse_index_base_b,"axG",@progbits,_ZN9rocsparseL21csrmvn_general_kernelILj256ELj16EiifdddEEvbT2_NS_24const_host_device_scalarIT6_EEPKT1_S7_PKS1_PKT3_PKT4_S4_PT5_21rocsparse_index_base_b,comdat
.Lfunc_end300:
	.size	_ZN9rocsparseL21csrmvn_general_kernelILj256ELj16EiifdddEEvbT2_NS_24const_host_device_scalarIT6_EEPKT1_S7_PKS1_PKT3_PKT4_S4_PT5_21rocsparse_index_base_b, .Lfunc_end300-_ZN9rocsparseL21csrmvn_general_kernelILj256ELj16EiifdddEEvbT2_NS_24const_host_device_scalarIT6_EEPKT1_S7_PKS1_PKT3_PKT4_S4_PT5_21rocsparse_index_base_b
                                        ; -- End function
	.section	.AMDGPU.csdata,"",@progbits
; Kernel info:
; codeLenInByte = 748
; NumSgprs: 29
; NumVgprs: 19
; NumAgprs: 0
; TotalNumVgprs: 19
; ScratchSize: 0
; MemoryBound: 1
; FloatMode: 240
; IeeeMode: 1
; LDSByteSize: 0 bytes/workgroup (compile time only)
; SGPRBlocks: 3
; VGPRBlocks: 2
; NumSGPRsForWavesPerEU: 29
; NumVGPRsForWavesPerEU: 19
; AccumOffset: 20
; Occupancy: 8
; WaveLimiterHint : 1
; COMPUTE_PGM_RSRC2:SCRATCH_EN: 0
; COMPUTE_PGM_RSRC2:USER_SGPR: 6
; COMPUTE_PGM_RSRC2:TRAP_HANDLER: 0
; COMPUTE_PGM_RSRC2:TGID_X_EN: 1
; COMPUTE_PGM_RSRC2:TGID_Y_EN: 0
; COMPUTE_PGM_RSRC2:TGID_Z_EN: 0
; COMPUTE_PGM_RSRC2:TIDIG_COMP_CNT: 0
; COMPUTE_PGM_RSRC3_GFX90A:ACCUM_OFFSET: 4
; COMPUTE_PGM_RSRC3_GFX90A:TG_SPLIT: 0
	.section	.text._ZN9rocsparseL21csrmvn_general_kernelILj256ELj32EiifdddEEvbT2_NS_24const_host_device_scalarIT6_EEPKT1_S7_PKS1_PKT3_PKT4_S4_PT5_21rocsparse_index_base_b,"axG",@progbits,_ZN9rocsparseL21csrmvn_general_kernelILj256ELj32EiifdddEEvbT2_NS_24const_host_device_scalarIT6_EEPKT1_S7_PKS1_PKT3_PKT4_S4_PT5_21rocsparse_index_base_b,comdat
	.globl	_ZN9rocsparseL21csrmvn_general_kernelILj256ELj32EiifdddEEvbT2_NS_24const_host_device_scalarIT6_EEPKT1_S7_PKS1_PKT3_PKT4_S4_PT5_21rocsparse_index_base_b ; -- Begin function _ZN9rocsparseL21csrmvn_general_kernelILj256ELj32EiifdddEEvbT2_NS_24const_host_device_scalarIT6_EEPKT1_S7_PKS1_PKT3_PKT4_S4_PT5_21rocsparse_index_base_b
	.p2align	8
	.type	_ZN9rocsparseL21csrmvn_general_kernelILj256ELj32EiifdddEEvbT2_NS_24const_host_device_scalarIT6_EEPKT1_S7_PKS1_PKT3_PKT4_S4_PT5_21rocsparse_index_base_b,@function
_ZN9rocsparseL21csrmvn_general_kernelILj256ELj32EiifdddEEvbT2_NS_24const_host_device_scalarIT6_EEPKT1_S7_PKS1_PKT3_PKT4_S4_PT5_21rocsparse_index_base_b: ; @_ZN9rocsparseL21csrmvn_general_kernelILj256ELj32EiifdddEEvbT2_NS_24const_host_device_scalarIT6_EEPKT1_S7_PKS1_PKT3_PKT4_S4_PT5_21rocsparse_index_base_b
; %bb.0:
	s_load_dwordx2 s[20:21], s[4:5], 0x48
	s_load_dwordx4 s[16:19], s[4:5], 0x8
	s_load_dwordx2 s[0:1], s[4:5], 0x38
	s_waitcnt lgkmcnt(0)
	s_bitcmp1_b32 s21, 0
	s_cselect_b64 s[8:9], -1, 0
	s_xor_b64 s[2:3], s[8:9], -1
	s_and_b64 vcc, exec, s[8:9]
	v_pk_mov_b32 v[2:3], s[16:17], s[16:17] op_sel:[0,1]
	s_cbranch_vccnz .LBB301_2
; %bb.1:
	v_pk_mov_b32 v[2:3], s[16:17], s[16:17] op_sel:[0,1]
	flat_load_dwordx2 v[2:3], v[2:3]
.LBB301_2:
	s_andn2_b64 vcc, exec, s[2:3]
	v_pk_mov_b32 v[4:5], s[0:1], s[0:1] op_sel:[0,1]
	s_cbranch_vccnz .LBB301_4
; %bb.3:
	v_pk_mov_b32 v[4:5], s[0:1], s[0:1] op_sel:[0,1]
	flat_load_dwordx2 v[4:5], v[4:5]
.LBB301_4:
	s_waitcnt vmcnt(0) lgkmcnt(0)
	v_cmp_neq_f64_e32 vcc, 0, v[2:3]
	v_cmp_neq_f64_e64 s[0:1], 1.0, v[4:5]
	s_or_b64 s[0:1], vcc, s[0:1]
	s_and_saveexec_b64 s[2:3], s[0:1]
	s_cbranch_execz .LBB301_16
; %bb.5:
	s_load_dword s22, s[4:5], 0x4
	v_lshl_or_b32 v1, s6, 8, v0
	v_lshrrev_b32_e32 v6, 5, v1
	s_waitcnt lgkmcnt(0)
	v_cmp_gt_i32_e32 vcc, s22, v6
	s_and_b64 exec, exec, vcc
	s_cbranch_execz .LBB301_16
; %bb.6:
	s_load_dword s0, s[4:5], 0x50
	s_load_dwordx2 s[6:7], s[4:5], 0x40
	s_load_dwordx8 s[8:15], s[4:5], 0x18
	s_ashr_i32 s21, s20, 31
	v_and_b32_e32 v0, 31, v0
	s_waitcnt lgkmcnt(0)
	s_lshl_b32 s23, s0, 3
	s_lshl_b64 s[0:1], s[20:21], 3
	s_sub_u32 s21, s14, s0
	v_subrev_u32_e32 v10, s20, v0
	s_subb_u32 s24, s15, s1
	v_cmp_eq_u32_e32 vcc, 31, v0
	s_mov_b64 s[4:5], 0
	v_cmp_neq_f64_e64 s[0:1], 0, v[4:5]
	v_mov_b32_e32 v11, s19
	v_mov_b32_e32 v12, s9
	s_branch .LBB301_9
.LBB301_7:                              ;   in Loop: Header=BB301_9 Depth=1
	s_or_b64 exec, exec, s[2:3]
	global_store_dwordx2 v[8:9], v[0:1], off
.LBB301_8:                              ;   in Loop: Header=BB301_9 Depth=1
	s_or_b64 exec, exec, s[14:15]
	v_add_u32_e32 v6, s23, v6
	v_cmp_le_i32_e64 s[2:3], s22, v6
	s_or_b64 s[4:5], s[2:3], s[4:5]
	s_andn2_b64 exec, exec, s[4:5]
	s_cbranch_execz .LBB301_16
.LBB301_9:                              ; =>This Loop Header: Depth=1
                                        ;     Child Loop BB301_11 Depth 2
	v_ashrrev_i32_e32 v7, 31, v6
	v_lshlrev_b64 v[0:1], 2, v[6:7]
	v_add_co_u32_e64 v8, s[2:3], s18, v0
	v_addc_co_u32_e64 v9, s[2:3], v11, v1, s[2:3]
	v_add_co_u32_e64 v0, s[2:3], s8, v0
	v_addc_co_u32_e64 v1, s[2:3], v12, v1, s[2:3]
	global_load_dword v13, v[0:1], off
	global_load_dword v14, v[8:9], off
	v_pk_mov_b32 v[0:1], 0, 0
	s_waitcnt vmcnt(1)
	v_subrev_u32_e32 v13, s20, v13
	s_waitcnt vmcnt(0)
	v_add_u32_e32 v8, v14, v10
	v_cmp_lt_i32_e64 s[2:3], v8, v13
	s_and_saveexec_b64 s[14:15], s[2:3]
	s_cbranch_execz .LBB301_13
; %bb.10:                               ;   in Loop: Header=BB301_9 Depth=1
	s_mov_b64 s[16:17], 0
	v_pk_mov_b32 v[0:1], 0, 0
.LBB301_11:                             ;   Parent Loop BB301_9 Depth=1
                                        ; =>  This Inner Loop Header: Depth=2
	v_ashrrev_i32_e32 v9, 31, v8
	v_lshlrev_b64 v[14:15], 2, v[8:9]
	v_mov_b32_e32 v9, s11
	v_add_co_u32_e64 v16, s[2:3], s10, v14
	v_addc_co_u32_e64 v17, s[2:3], v9, v15, s[2:3]
	global_load_dword v16, v[16:17], off
	v_mov_b32_e32 v9, s13
	v_add_co_u32_e64 v14, s[2:3], s12, v14
	v_addc_co_u32_e64 v15, s[2:3], v9, v15, s[2:3]
	global_load_dword v9, v[14:15], off
	v_mov_b32_e32 v18, s24
	v_add_u32_e32 v8, 32, v8
	s_waitcnt vmcnt(1)
	v_ashrrev_i32_e32 v17, 31, v16
	v_lshlrev_b64 v[14:15], 3, v[16:17]
	v_add_co_u32_e64 v14, s[2:3], s21, v14
	v_addc_co_u32_e64 v15, s[2:3], v18, v15, s[2:3]
	global_load_dwordx2 v[14:15], v[14:15], off
	s_waitcnt vmcnt(1)
	v_cvt_f64_f32_e32 v[16:17], v9
	v_mul_f64 v[16:17], v[2:3], v[16:17]
	v_cmp_ge_i32_e64 s[2:3], v8, v13
	s_or_b64 s[16:17], s[2:3], s[16:17]
	s_waitcnt vmcnt(0)
	v_fmac_f64_e32 v[0:1], v[16:17], v[14:15]
	s_andn2_b64 exec, exec, s[16:17]
	s_cbranch_execnz .LBB301_11
; %bb.12:                               ;   in Loop: Header=BB301_9 Depth=1
	s_or_b64 exec, exec, s[16:17]
.LBB301_13:                             ;   in Loop: Header=BB301_9 Depth=1
	s_or_b64 exec, exec, s[14:15]
	v_mov_b32_dpp v8, v0 row_shr:1 row_mask:0xf bank_mask:0xf
	v_mov_b32_dpp v9, v1 row_shr:1 row_mask:0xf bank_mask:0xf
	v_add_f64 v[0:1], v[0:1], v[8:9]
	s_nop 1
	v_mov_b32_dpp v8, v0 row_shr:2 row_mask:0xf bank_mask:0xf
	v_mov_b32_dpp v9, v1 row_shr:2 row_mask:0xf bank_mask:0xf
	v_add_f64 v[0:1], v[0:1], v[8:9]
	s_nop 1
	;; [unrolled: 4-line block ×4, first 2 shown]
	v_mov_b32_dpp v8, v0 row_bcast:15 row_mask:0xa bank_mask:0xf
	v_mov_b32_dpp v9, v1 row_bcast:15 row_mask:0xa bank_mask:0xf
	s_and_saveexec_b64 s[14:15], vcc
	s_cbranch_execz .LBB301_8
; %bb.14:                               ;   in Loop: Header=BB301_9 Depth=1
	v_add_f64 v[0:1], v[0:1], v[8:9]
	v_lshlrev_b64 v[8:9], 3, v[6:7]
	v_mov_b32_e32 v7, s7
	v_add_co_u32_e64 v8, s[2:3], s6, v8
	v_addc_co_u32_e64 v9, s[2:3], v7, v9, s[2:3]
	s_and_saveexec_b64 s[2:3], s[0:1]
	s_cbranch_execz .LBB301_7
; %bb.15:                               ;   in Loop: Header=BB301_9 Depth=1
	global_load_dwordx2 v[14:15], v[8:9], off
	s_waitcnt vmcnt(0)
	v_fmac_f64_e32 v[0:1], v[4:5], v[14:15]
	s_branch .LBB301_7
.LBB301_16:
	s_endpgm
	.section	.rodata,"a",@progbits
	.p2align	6, 0x0
	.amdhsa_kernel _ZN9rocsparseL21csrmvn_general_kernelILj256ELj32EiifdddEEvbT2_NS_24const_host_device_scalarIT6_EEPKT1_S7_PKS1_PKT3_PKT4_S4_PT5_21rocsparse_index_base_b
		.amdhsa_group_segment_fixed_size 0
		.amdhsa_private_segment_fixed_size 0
		.amdhsa_kernarg_size 336
		.amdhsa_user_sgpr_count 6
		.amdhsa_user_sgpr_private_segment_buffer 1
		.amdhsa_user_sgpr_dispatch_ptr 0
		.amdhsa_user_sgpr_queue_ptr 0
		.amdhsa_user_sgpr_kernarg_segment_ptr 1
		.amdhsa_user_sgpr_dispatch_id 0
		.amdhsa_user_sgpr_flat_scratch_init 0
		.amdhsa_user_sgpr_kernarg_preload_length 0
		.amdhsa_user_sgpr_kernarg_preload_offset 0
		.amdhsa_user_sgpr_private_segment_size 0
		.amdhsa_uses_dynamic_stack 0
		.amdhsa_system_sgpr_private_segment_wavefront_offset 0
		.amdhsa_system_sgpr_workgroup_id_x 1
		.amdhsa_system_sgpr_workgroup_id_y 0
		.amdhsa_system_sgpr_workgroup_id_z 0
		.amdhsa_system_sgpr_workgroup_info 0
		.amdhsa_system_vgpr_workitem_id 0
		.amdhsa_next_free_vgpr 19
		.amdhsa_next_free_sgpr 25
		.amdhsa_accum_offset 20
		.amdhsa_reserve_vcc 1
		.amdhsa_reserve_flat_scratch 0
		.amdhsa_float_round_mode_32 0
		.amdhsa_float_round_mode_16_64 0
		.amdhsa_float_denorm_mode_32 3
		.amdhsa_float_denorm_mode_16_64 3
		.amdhsa_dx10_clamp 1
		.amdhsa_ieee_mode 1
		.amdhsa_fp16_overflow 0
		.amdhsa_tg_split 0
		.amdhsa_exception_fp_ieee_invalid_op 0
		.amdhsa_exception_fp_denorm_src 0
		.amdhsa_exception_fp_ieee_div_zero 0
		.amdhsa_exception_fp_ieee_overflow 0
		.amdhsa_exception_fp_ieee_underflow 0
		.amdhsa_exception_fp_ieee_inexact 0
		.amdhsa_exception_int_div_zero 0
	.end_amdhsa_kernel
	.section	.text._ZN9rocsparseL21csrmvn_general_kernelILj256ELj32EiifdddEEvbT2_NS_24const_host_device_scalarIT6_EEPKT1_S7_PKS1_PKT3_PKT4_S4_PT5_21rocsparse_index_base_b,"axG",@progbits,_ZN9rocsparseL21csrmvn_general_kernelILj256ELj32EiifdddEEvbT2_NS_24const_host_device_scalarIT6_EEPKT1_S7_PKS1_PKT3_PKT4_S4_PT5_21rocsparse_index_base_b,comdat
.Lfunc_end301:
	.size	_ZN9rocsparseL21csrmvn_general_kernelILj256ELj32EiifdddEEvbT2_NS_24const_host_device_scalarIT6_EEPKT1_S7_PKS1_PKT3_PKT4_S4_PT5_21rocsparse_index_base_b, .Lfunc_end301-_ZN9rocsparseL21csrmvn_general_kernelILj256ELj32EiifdddEEvbT2_NS_24const_host_device_scalarIT6_EEPKT1_S7_PKS1_PKT3_PKT4_S4_PT5_21rocsparse_index_base_b
                                        ; -- End function
	.section	.AMDGPU.csdata,"",@progbits
; Kernel info:
; codeLenInByte = 776
; NumSgprs: 29
; NumVgprs: 19
; NumAgprs: 0
; TotalNumVgprs: 19
; ScratchSize: 0
; MemoryBound: 1
; FloatMode: 240
; IeeeMode: 1
; LDSByteSize: 0 bytes/workgroup (compile time only)
; SGPRBlocks: 3
; VGPRBlocks: 2
; NumSGPRsForWavesPerEU: 29
; NumVGPRsForWavesPerEU: 19
; AccumOffset: 20
; Occupancy: 8
; WaveLimiterHint : 1
; COMPUTE_PGM_RSRC2:SCRATCH_EN: 0
; COMPUTE_PGM_RSRC2:USER_SGPR: 6
; COMPUTE_PGM_RSRC2:TRAP_HANDLER: 0
; COMPUTE_PGM_RSRC2:TGID_X_EN: 1
; COMPUTE_PGM_RSRC2:TGID_Y_EN: 0
; COMPUTE_PGM_RSRC2:TGID_Z_EN: 0
; COMPUTE_PGM_RSRC2:TIDIG_COMP_CNT: 0
; COMPUTE_PGM_RSRC3_GFX90A:ACCUM_OFFSET: 4
; COMPUTE_PGM_RSRC3_GFX90A:TG_SPLIT: 0
	.section	.text._ZN9rocsparseL21csrmvn_general_kernelILj256ELj64EiifdddEEvbT2_NS_24const_host_device_scalarIT6_EEPKT1_S7_PKS1_PKT3_PKT4_S4_PT5_21rocsparse_index_base_b,"axG",@progbits,_ZN9rocsparseL21csrmvn_general_kernelILj256ELj64EiifdddEEvbT2_NS_24const_host_device_scalarIT6_EEPKT1_S7_PKS1_PKT3_PKT4_S4_PT5_21rocsparse_index_base_b,comdat
	.globl	_ZN9rocsparseL21csrmvn_general_kernelILj256ELj64EiifdddEEvbT2_NS_24const_host_device_scalarIT6_EEPKT1_S7_PKS1_PKT3_PKT4_S4_PT5_21rocsparse_index_base_b ; -- Begin function _ZN9rocsparseL21csrmvn_general_kernelILj256ELj64EiifdddEEvbT2_NS_24const_host_device_scalarIT6_EEPKT1_S7_PKS1_PKT3_PKT4_S4_PT5_21rocsparse_index_base_b
	.p2align	8
	.type	_ZN9rocsparseL21csrmvn_general_kernelILj256ELj64EiifdddEEvbT2_NS_24const_host_device_scalarIT6_EEPKT1_S7_PKS1_PKT3_PKT4_S4_PT5_21rocsparse_index_base_b,@function
_ZN9rocsparseL21csrmvn_general_kernelILj256ELj64EiifdddEEvbT2_NS_24const_host_device_scalarIT6_EEPKT1_S7_PKS1_PKT3_PKT4_S4_PT5_21rocsparse_index_base_b: ; @_ZN9rocsparseL21csrmvn_general_kernelILj256ELj64EiifdddEEvbT2_NS_24const_host_device_scalarIT6_EEPKT1_S7_PKS1_PKT3_PKT4_S4_PT5_21rocsparse_index_base_b
; %bb.0:
	s_load_dwordx2 s[20:21], s[4:5], 0x48
	s_load_dwordx4 s[16:19], s[4:5], 0x8
	s_load_dwordx2 s[0:1], s[4:5], 0x38
	s_waitcnt lgkmcnt(0)
	s_bitcmp1_b32 s21, 0
	s_cselect_b64 s[8:9], -1, 0
	s_xor_b64 s[2:3], s[8:9], -1
	s_and_b64 vcc, exec, s[8:9]
	v_pk_mov_b32 v[2:3], s[16:17], s[16:17] op_sel:[0,1]
	s_cbranch_vccnz .LBB302_2
; %bb.1:
	v_pk_mov_b32 v[2:3], s[16:17], s[16:17] op_sel:[0,1]
	flat_load_dwordx2 v[2:3], v[2:3]
.LBB302_2:
	s_andn2_b64 vcc, exec, s[2:3]
	v_pk_mov_b32 v[4:5], s[0:1], s[0:1] op_sel:[0,1]
	s_cbranch_vccnz .LBB302_4
; %bb.3:
	v_pk_mov_b32 v[4:5], s[0:1], s[0:1] op_sel:[0,1]
	flat_load_dwordx2 v[4:5], v[4:5]
.LBB302_4:
	s_waitcnt vmcnt(0) lgkmcnt(0)
	v_cmp_neq_f64_e32 vcc, 0, v[2:3]
	v_cmp_neq_f64_e64 s[0:1], 1.0, v[4:5]
	s_or_b64 s[0:1], vcc, s[0:1]
	s_and_saveexec_b64 s[2:3], s[0:1]
	s_cbranch_execz .LBB302_16
; %bb.5:
	s_load_dword s22, s[4:5], 0x4
	v_lshl_or_b32 v1, s6, 8, v0
	v_lshrrev_b32_e32 v6, 6, v1
	s_waitcnt lgkmcnt(0)
	v_cmp_gt_i32_e32 vcc, s22, v6
	s_and_b64 exec, exec, vcc
	s_cbranch_execz .LBB302_16
; %bb.6:
	s_load_dword s0, s[4:5], 0x50
	s_load_dwordx2 s[6:7], s[4:5], 0x40
	s_load_dwordx8 s[8:15], s[4:5], 0x18
	s_ashr_i32 s21, s20, 31
	v_and_b32_e32 v0, 63, v0
	s_waitcnt lgkmcnt(0)
	s_lshl_b32 s23, s0, 2
	s_lshl_b64 s[0:1], s[20:21], 3
	s_sub_u32 s21, s14, s0
	v_subrev_u32_e32 v10, s20, v0
	s_subb_u32 s24, s15, s1
	v_cmp_eq_u32_e32 vcc, 63, v0
	s_mov_b64 s[4:5], 0
	v_cmp_neq_f64_e64 s[0:1], 0, v[4:5]
	v_mov_b32_e32 v11, s19
	v_mov_b32_e32 v12, s9
	s_branch .LBB302_9
.LBB302_7:                              ;   in Loop: Header=BB302_9 Depth=1
	s_or_b64 exec, exec, s[2:3]
	global_store_dwordx2 v[8:9], v[0:1], off
.LBB302_8:                              ;   in Loop: Header=BB302_9 Depth=1
	s_or_b64 exec, exec, s[14:15]
	v_add_u32_e32 v6, s23, v6
	v_cmp_le_i32_e64 s[2:3], s22, v6
	s_or_b64 s[4:5], s[2:3], s[4:5]
	s_andn2_b64 exec, exec, s[4:5]
	s_cbranch_execz .LBB302_16
.LBB302_9:                              ; =>This Loop Header: Depth=1
                                        ;     Child Loop BB302_11 Depth 2
	v_ashrrev_i32_e32 v7, 31, v6
	v_lshlrev_b64 v[0:1], 2, v[6:7]
	v_add_co_u32_e64 v8, s[2:3], s18, v0
	v_addc_co_u32_e64 v9, s[2:3], v11, v1, s[2:3]
	v_add_co_u32_e64 v0, s[2:3], s8, v0
	v_addc_co_u32_e64 v1, s[2:3], v12, v1, s[2:3]
	global_load_dword v13, v[0:1], off
	global_load_dword v14, v[8:9], off
	v_pk_mov_b32 v[0:1], 0, 0
	s_waitcnt vmcnt(1)
	v_subrev_u32_e32 v13, s20, v13
	s_waitcnt vmcnt(0)
	v_add_u32_e32 v8, v14, v10
	v_cmp_lt_i32_e64 s[2:3], v8, v13
	s_and_saveexec_b64 s[14:15], s[2:3]
	s_cbranch_execz .LBB302_13
; %bb.10:                               ;   in Loop: Header=BB302_9 Depth=1
	s_mov_b64 s[16:17], 0
	v_pk_mov_b32 v[0:1], 0, 0
.LBB302_11:                             ;   Parent Loop BB302_9 Depth=1
                                        ; =>  This Inner Loop Header: Depth=2
	v_ashrrev_i32_e32 v9, 31, v8
	v_lshlrev_b64 v[14:15], 2, v[8:9]
	v_mov_b32_e32 v9, s11
	v_add_co_u32_e64 v16, s[2:3], s10, v14
	v_addc_co_u32_e64 v17, s[2:3], v9, v15, s[2:3]
	global_load_dword v16, v[16:17], off
	v_mov_b32_e32 v9, s13
	v_add_co_u32_e64 v14, s[2:3], s12, v14
	v_addc_co_u32_e64 v15, s[2:3], v9, v15, s[2:3]
	global_load_dword v9, v[14:15], off
	v_mov_b32_e32 v18, s24
	v_add_u32_e32 v8, 64, v8
	s_waitcnt vmcnt(1)
	v_ashrrev_i32_e32 v17, 31, v16
	v_lshlrev_b64 v[14:15], 3, v[16:17]
	v_add_co_u32_e64 v14, s[2:3], s21, v14
	v_addc_co_u32_e64 v15, s[2:3], v18, v15, s[2:3]
	global_load_dwordx2 v[14:15], v[14:15], off
	s_waitcnt vmcnt(1)
	v_cvt_f64_f32_e32 v[16:17], v9
	v_mul_f64 v[16:17], v[2:3], v[16:17]
	v_cmp_ge_i32_e64 s[2:3], v8, v13
	s_or_b64 s[16:17], s[2:3], s[16:17]
	s_waitcnt vmcnt(0)
	v_fmac_f64_e32 v[0:1], v[16:17], v[14:15]
	s_andn2_b64 exec, exec, s[16:17]
	s_cbranch_execnz .LBB302_11
; %bb.12:                               ;   in Loop: Header=BB302_9 Depth=1
	s_or_b64 exec, exec, s[16:17]
.LBB302_13:                             ;   in Loop: Header=BB302_9 Depth=1
	s_or_b64 exec, exec, s[14:15]
	v_mov_b32_dpp v8, v0 row_shr:1 row_mask:0xf bank_mask:0xf
	v_mov_b32_dpp v9, v1 row_shr:1 row_mask:0xf bank_mask:0xf
	v_add_f64 v[0:1], v[0:1], v[8:9]
	s_nop 1
	v_mov_b32_dpp v8, v0 row_shr:2 row_mask:0xf bank_mask:0xf
	v_mov_b32_dpp v9, v1 row_shr:2 row_mask:0xf bank_mask:0xf
	v_add_f64 v[0:1], v[0:1], v[8:9]
	s_nop 1
	v_mov_b32_dpp v8, v0 row_shr:4 row_mask:0xf bank_mask:0xe
	v_mov_b32_dpp v9, v1 row_shr:4 row_mask:0xf bank_mask:0xe
	v_add_f64 v[0:1], v[0:1], v[8:9]
	s_nop 1
	v_mov_b32_dpp v8, v0 row_shr:8 row_mask:0xf bank_mask:0xc
	v_mov_b32_dpp v9, v1 row_shr:8 row_mask:0xf bank_mask:0xc
	v_add_f64 v[0:1], v[0:1], v[8:9]
	s_nop 1
	v_mov_b32_dpp v8, v0 row_bcast:15 row_mask:0xa bank_mask:0xf
	v_mov_b32_dpp v9, v1 row_bcast:15 row_mask:0xa bank_mask:0xf
	v_add_f64 v[0:1], v[0:1], v[8:9]
	s_nop 1
	v_mov_b32_dpp v8, v0 row_bcast:31 row_mask:0xc bank_mask:0xf
	v_mov_b32_dpp v9, v1 row_bcast:31 row_mask:0xc bank_mask:0xf
	s_and_saveexec_b64 s[14:15], vcc
	s_cbranch_execz .LBB302_8
; %bb.14:                               ;   in Loop: Header=BB302_9 Depth=1
	v_add_f64 v[0:1], v[0:1], v[8:9]
	v_lshlrev_b64 v[8:9], 3, v[6:7]
	v_mov_b32_e32 v7, s7
	v_add_co_u32_e64 v8, s[2:3], s6, v8
	v_addc_co_u32_e64 v9, s[2:3], v7, v9, s[2:3]
	s_and_saveexec_b64 s[2:3], s[0:1]
	s_cbranch_execz .LBB302_7
; %bb.15:                               ;   in Loop: Header=BB302_9 Depth=1
	global_load_dwordx2 v[14:15], v[8:9], off
	s_waitcnt vmcnt(0)
	v_fmac_f64_e32 v[0:1], v[4:5], v[14:15]
	s_branch .LBB302_7
.LBB302_16:
	s_endpgm
	.section	.rodata,"a",@progbits
	.p2align	6, 0x0
	.amdhsa_kernel _ZN9rocsparseL21csrmvn_general_kernelILj256ELj64EiifdddEEvbT2_NS_24const_host_device_scalarIT6_EEPKT1_S7_PKS1_PKT3_PKT4_S4_PT5_21rocsparse_index_base_b
		.amdhsa_group_segment_fixed_size 0
		.amdhsa_private_segment_fixed_size 0
		.amdhsa_kernarg_size 336
		.amdhsa_user_sgpr_count 6
		.amdhsa_user_sgpr_private_segment_buffer 1
		.amdhsa_user_sgpr_dispatch_ptr 0
		.amdhsa_user_sgpr_queue_ptr 0
		.amdhsa_user_sgpr_kernarg_segment_ptr 1
		.amdhsa_user_sgpr_dispatch_id 0
		.amdhsa_user_sgpr_flat_scratch_init 0
		.amdhsa_user_sgpr_kernarg_preload_length 0
		.amdhsa_user_sgpr_kernarg_preload_offset 0
		.amdhsa_user_sgpr_private_segment_size 0
		.amdhsa_uses_dynamic_stack 0
		.amdhsa_system_sgpr_private_segment_wavefront_offset 0
		.amdhsa_system_sgpr_workgroup_id_x 1
		.amdhsa_system_sgpr_workgroup_id_y 0
		.amdhsa_system_sgpr_workgroup_id_z 0
		.amdhsa_system_sgpr_workgroup_info 0
		.amdhsa_system_vgpr_workitem_id 0
		.amdhsa_next_free_vgpr 19
		.amdhsa_next_free_sgpr 25
		.amdhsa_accum_offset 20
		.amdhsa_reserve_vcc 1
		.amdhsa_reserve_flat_scratch 0
		.amdhsa_float_round_mode_32 0
		.amdhsa_float_round_mode_16_64 0
		.amdhsa_float_denorm_mode_32 3
		.amdhsa_float_denorm_mode_16_64 3
		.amdhsa_dx10_clamp 1
		.amdhsa_ieee_mode 1
		.amdhsa_fp16_overflow 0
		.amdhsa_tg_split 0
		.amdhsa_exception_fp_ieee_invalid_op 0
		.amdhsa_exception_fp_denorm_src 0
		.amdhsa_exception_fp_ieee_div_zero 0
		.amdhsa_exception_fp_ieee_overflow 0
		.amdhsa_exception_fp_ieee_underflow 0
		.amdhsa_exception_fp_ieee_inexact 0
		.amdhsa_exception_int_div_zero 0
	.end_amdhsa_kernel
	.section	.text._ZN9rocsparseL21csrmvn_general_kernelILj256ELj64EiifdddEEvbT2_NS_24const_host_device_scalarIT6_EEPKT1_S7_PKS1_PKT3_PKT4_S4_PT5_21rocsparse_index_base_b,"axG",@progbits,_ZN9rocsparseL21csrmvn_general_kernelILj256ELj64EiifdddEEvbT2_NS_24const_host_device_scalarIT6_EEPKT1_S7_PKS1_PKT3_PKT4_S4_PT5_21rocsparse_index_base_b,comdat
.Lfunc_end302:
	.size	_ZN9rocsparseL21csrmvn_general_kernelILj256ELj64EiifdddEEvbT2_NS_24const_host_device_scalarIT6_EEPKT1_S7_PKS1_PKT3_PKT4_S4_PT5_21rocsparse_index_base_b, .Lfunc_end302-_ZN9rocsparseL21csrmvn_general_kernelILj256ELj64EiifdddEEvbT2_NS_24const_host_device_scalarIT6_EEPKT1_S7_PKS1_PKT3_PKT4_S4_PT5_21rocsparse_index_base_b
                                        ; -- End function
	.section	.AMDGPU.csdata,"",@progbits
; Kernel info:
; codeLenInByte = 804
; NumSgprs: 29
; NumVgprs: 19
; NumAgprs: 0
; TotalNumVgprs: 19
; ScratchSize: 0
; MemoryBound: 1
; FloatMode: 240
; IeeeMode: 1
; LDSByteSize: 0 bytes/workgroup (compile time only)
; SGPRBlocks: 3
; VGPRBlocks: 2
; NumSGPRsForWavesPerEU: 29
; NumVGPRsForWavesPerEU: 19
; AccumOffset: 20
; Occupancy: 8
; WaveLimiterHint : 1
; COMPUTE_PGM_RSRC2:SCRATCH_EN: 0
; COMPUTE_PGM_RSRC2:USER_SGPR: 6
; COMPUTE_PGM_RSRC2:TRAP_HANDLER: 0
; COMPUTE_PGM_RSRC2:TGID_X_EN: 1
; COMPUTE_PGM_RSRC2:TGID_Y_EN: 0
; COMPUTE_PGM_RSRC2:TGID_Z_EN: 0
; COMPUTE_PGM_RSRC2:TIDIG_COMP_CNT: 0
; COMPUTE_PGM_RSRC3_GFX90A:ACCUM_OFFSET: 4
; COMPUTE_PGM_RSRC3_GFX90A:TG_SPLIT: 0
	.section	.text._ZN9rocsparseL21csrmvt_general_kernelILj256ELj4EiifdddEEvbbT2_NS_24const_host_device_scalarIT6_EEPKT1_S7_PKS1_PKT3_PKT4_PT5_21rocsparse_index_base_b,"axG",@progbits,_ZN9rocsparseL21csrmvt_general_kernelILj256ELj4EiifdddEEvbbT2_NS_24const_host_device_scalarIT6_EEPKT1_S7_PKS1_PKT3_PKT4_PT5_21rocsparse_index_base_b,comdat
	.globl	_ZN9rocsparseL21csrmvt_general_kernelILj256ELj4EiifdddEEvbbT2_NS_24const_host_device_scalarIT6_EEPKT1_S7_PKS1_PKT3_PKT4_PT5_21rocsparse_index_base_b ; -- Begin function _ZN9rocsparseL21csrmvt_general_kernelILj256ELj4EiifdddEEvbbT2_NS_24const_host_device_scalarIT6_EEPKT1_S7_PKS1_PKT3_PKT4_PT5_21rocsparse_index_base_b
	.p2align	8
	.type	_ZN9rocsparseL21csrmvt_general_kernelILj256ELj4EiifdddEEvbbT2_NS_24const_host_device_scalarIT6_EEPKT1_S7_PKS1_PKT3_PKT4_PT5_21rocsparse_index_base_b,@function
_ZN9rocsparseL21csrmvt_general_kernelILj256ELj4EiifdddEEvbbT2_NS_24const_host_device_scalarIT6_EEPKT1_S7_PKS1_PKT3_PKT4_PT5_21rocsparse_index_base_b: ; @_ZN9rocsparseL21csrmvt_general_kernelILj256ELj4EiifdddEEvbbT2_NS_24const_host_device_scalarIT6_EEPKT1_S7_PKS1_PKT3_PKT4_PT5_21rocsparse_index_base_b
; %bb.0:
	s_load_dwordx2 s[16:17], s[4:5], 0x40
	s_load_dwordx4 s[0:3], s[4:5], 0x8
	s_waitcnt lgkmcnt(0)
	s_bitcmp1_b32 s17, 0
	s_cselect_b64 s[8:9], -1, 0
	s_and_b64 vcc, exec, s[8:9]
	v_pk_mov_b32 v[4:5], s[0:1], s[0:1] op_sel:[0,1]
	s_cbranch_vccnz .LBB303_2
; %bb.1:
	v_pk_mov_b32 v[2:3], s[0:1], s[0:1] op_sel:[0,1]
	flat_load_dwordx2 v[4:5], v[2:3]
.LBB303_2:
	s_waitcnt vmcnt(0) lgkmcnt(0)
	v_cmp_neq_f64_e32 vcc, 0, v[4:5]
	s_and_saveexec_b64 s[0:1], vcc
	s_cbranch_execz .LBB303_23
; %bb.3:
	s_load_dwordx2 s[18:19], s[4:5], 0x0
	s_load_dword s0, s[4:5], 0x48
	s_load_dwordx2 s[20:21], s[4:5], 0x38
	s_load_dwordx8 s[8:15], s[4:5], 0x18
	v_and_b32_e32 v7, 3, v0
	v_lshl_or_b32 v0, s6, 8, v0
	s_waitcnt lgkmcnt(0)
	s_and_b32 s1, s18, 1
	s_lshl_b32 s17, s0, 6
	v_lshrrev_b32_e32 v6, 2, v0
	s_cmp_eq_u32 s1, 0
	v_cmp_gt_i32_e64 s[0:1], s19, v6
	s_mov_b64 s[4:5], -1
	s_cbranch_scc0 .LBB303_13
; %bb.4:
	s_and_saveexec_b64 s[4:5], s[0:1]
	s_cbranch_execz .LBB303_12
; %bb.5:
	v_subrev_u32_e32 v18, s16, v7
	s_mov_b64 s[6:7], 0
	v_mov_b32_e32 v19, s3
	v_mov_b32_e32 v20, s9
	;; [unrolled: 1-line block ×3, first 2 shown]
	s_branch .LBB303_7
.LBB303_6:                              ;   in Loop: Header=BB303_7 Depth=1
	s_or_b64 exec, exec, s[22:23]
	v_add_u32_e32 v8, s17, v8
	v_cmp_le_i32_e32 vcc, s19, v8
	s_or_b64 s[6:7], vcc, s[6:7]
	s_andn2_b64 exec, exec, s[6:7]
	s_cbranch_execz .LBB303_12
.LBB303_7:                              ; =>This Loop Header: Depth=1
                                        ;     Child Loop BB303_9 Depth 2
                                        ;       Child Loop BB303_10 Depth 3
	v_ashrrev_i32_e32 v9, 31, v8
	v_lshlrev_b64 v[0:1], 2, v[8:9]
	v_add_co_u32_e32 v2, vcc, s2, v0
	v_addc_co_u32_e32 v3, vcc, v19, v1, vcc
	v_add_co_u32_e32 v0, vcc, s8, v0
	v_addc_co_u32_e32 v1, vcc, v20, v1, vcc
	global_load_dword v10, v[0:1], off
	global_load_dword v11, v[2:3], off
	s_waitcnt vmcnt(1)
	v_subrev_u32_e32 v21, s16, v10
	s_waitcnt vmcnt(0)
	v_add_u32_e32 v10, v11, v18
	v_cmp_lt_i32_e32 vcc, v10, v21
	s_and_saveexec_b64 s[22:23], vcc
	s_cbranch_execz .LBB303_6
; %bb.8:                                ;   in Loop: Header=BB303_7 Depth=1
	v_lshlrev_b64 v[0:1], 3, v[8:9]
	v_mov_b32_e32 v2, s15
	v_add_co_u32_e32 v0, vcc, s14, v0
	v_addc_co_u32_e32 v1, vcc, v2, v1, vcc
	global_load_dwordx2 v[0:1], v[0:1], off
	s_mov_b64 s[24:25], 0
	s_waitcnt vmcnt(0)
	v_mul_f64 v[12:13], v[4:5], v[0:1]
.LBB303_9:                              ;   Parent Loop BB303_7 Depth=1
                                        ; =>  This Loop Header: Depth=2
                                        ;       Child Loop BB303_10 Depth 3
	v_ashrrev_i32_e32 v11, 31, v10
	v_lshlrev_b64 v[0:1], 2, v[10:11]
	v_mov_b32_e32 v3, s11
	v_add_co_u32_e32 v2, vcc, s10, v0
	v_addc_co_u32_e32 v3, vcc, v3, v1, vcc
	global_load_dword v2, v[2:3], off
	v_mov_b32_e32 v3, s13
	v_add_co_u32_e32 v0, vcc, s12, v0
	v_addc_co_u32_e32 v1, vcc, v3, v1, vcc
	global_load_dword v11, v[0:1], off
	v_mov_b32_e32 v9, s21
	s_mov_b64 s[26:27], 0
	s_waitcnt vmcnt(1)
	v_subrev_u32_e32 v0, s16, v2
	v_ashrrev_i32_e32 v1, 31, v0
	v_lshlrev_b64 v[0:1], 3, v[0:1]
	v_add_co_u32_e32 v14, vcc, s20, v0
	v_addc_co_u32_e32 v15, vcc, v9, v1, vcc
	global_load_dwordx2 v[2:3], v[14:15], off
	s_waitcnt vmcnt(1)
	v_cvt_f64_f32_e32 v[0:1], v11
	v_mul_f64 v[16:17], v[12:13], v[0:1]
.LBB303_10:                             ;   Parent Loop BB303_7 Depth=1
                                        ;     Parent Loop BB303_9 Depth=2
                                        ; =>    This Inner Loop Header: Depth=3
	s_waitcnt vmcnt(0)
	v_add_f64 v[0:1], v[2:3], v[16:17]
	global_atomic_cmpswap_x2 v[0:1], v[14:15], v[0:3], off glc
	s_waitcnt vmcnt(0)
	v_cmp_eq_u64_e32 vcc, v[0:1], v[2:3]
	s_or_b64 s[26:27], vcc, s[26:27]
	v_pk_mov_b32 v[2:3], v[0:1], v[0:1] op_sel:[0,1]
	s_andn2_b64 exec, exec, s[26:27]
	s_cbranch_execnz .LBB303_10
; %bb.11:                               ;   in Loop: Header=BB303_9 Depth=2
	s_or_b64 exec, exec, s[26:27]
	v_add_u32_e32 v10, 4, v10
	v_cmp_ge_i32_e32 vcc, v10, v21
	s_or_b64 s[24:25], vcc, s[24:25]
	s_andn2_b64 exec, exec, s[24:25]
	s_cbranch_execnz .LBB303_9
	s_branch .LBB303_6
.LBB303_12:
	s_or_b64 exec, exec, s[4:5]
	s_mov_b64 s[4:5], 0
.LBB303_13:
	s_andn2_b64 vcc, exec, s[4:5]
	s_cbranch_vccnz .LBB303_23
; %bb.14:
	s_and_b64 exec, exec, s[0:1]
	s_cbranch_execz .LBB303_23
; %bb.15:
	v_subrev_u32_e32 v16, s16, v7
	s_mov_b64 s[0:1], 0
	v_mov_b32_e32 v17, s3
	v_mov_b32_e32 v18, s9
	s_branch .LBB303_17
.LBB303_16:                             ;   in Loop: Header=BB303_17 Depth=1
	s_or_b64 exec, exec, s[4:5]
	v_add_u32_e32 v6, s17, v6
	v_cmp_le_i32_e32 vcc, s19, v6
	s_or_b64 s[0:1], vcc, s[0:1]
	s_andn2_b64 exec, exec, s[0:1]
	s_cbranch_execz .LBB303_23
.LBB303_17:                             ; =>This Loop Header: Depth=1
                                        ;     Child Loop BB303_20 Depth 2
                                        ;       Child Loop BB303_22 Depth 3
	v_ashrrev_i32_e32 v7, 31, v6
	v_lshlrev_b64 v[0:1], 2, v[6:7]
	v_add_co_u32_e32 v2, vcc, s2, v0
	v_addc_co_u32_e32 v3, vcc, v17, v1, vcc
	v_add_co_u32_e32 v0, vcc, s8, v0
	v_addc_co_u32_e32 v1, vcc, v18, v1, vcc
	global_load_dword v8, v[0:1], off
	global_load_dword v9, v[2:3], off
	s_waitcnt vmcnt(1)
	v_subrev_u32_e32 v19, s16, v8
	s_waitcnt vmcnt(0)
	v_add_u32_e32 v8, v9, v16
	v_cmp_lt_i32_e32 vcc, v8, v19
	s_and_saveexec_b64 s[4:5], vcc
	s_cbranch_execz .LBB303_16
; %bb.18:                               ;   in Loop: Header=BB303_17 Depth=1
	v_lshlrev_b64 v[0:1], 3, v[6:7]
	v_mov_b32_e32 v2, s15
	v_add_co_u32_e32 v0, vcc, s14, v0
	v_addc_co_u32_e32 v1, vcc, v2, v1, vcc
	global_load_dwordx2 v[0:1], v[0:1], off
	s_mov_b64 s[6:7], 0
	s_waitcnt vmcnt(0)
	v_mul_f64 v[10:11], v[4:5], v[0:1]
	s_branch .LBB303_20
.LBB303_19:                             ;   in Loop: Header=BB303_20 Depth=2
	s_or_b64 exec, exec, s[22:23]
	v_add_u32_e32 v8, 4, v8
	v_cmp_ge_i32_e32 vcc, v8, v19
	s_or_b64 s[6:7], vcc, s[6:7]
	s_andn2_b64 exec, exec, s[6:7]
	s_cbranch_execz .LBB303_16
.LBB303_20:                             ;   Parent Loop BB303_17 Depth=1
                                        ; =>  This Loop Header: Depth=2
                                        ;       Child Loop BB303_22 Depth 3
	v_ashrrev_i32_e32 v9, 31, v8
	v_lshlrev_b64 v[0:1], 2, v[8:9]
	v_mov_b32_e32 v3, s11
	v_add_co_u32_e32 v2, vcc, s10, v0
	v_addc_co_u32_e32 v3, vcc, v3, v1, vcc
	global_load_dword v2, v[2:3], off
	s_waitcnt vmcnt(0)
	v_subrev_u32_e32 v2, s16, v2
	v_cmp_ne_u32_e32 vcc, v2, v6
	s_and_saveexec_b64 s[22:23], vcc
	s_cbranch_execz .LBB303_19
; %bb.21:                               ;   in Loop: Header=BB303_20 Depth=2
	v_mov_b32_e32 v3, s13
	v_add_co_u32_e32 v0, vcc, s12, v0
	v_addc_co_u32_e32 v1, vcc, v3, v1, vcc
	v_ashrrev_i32_e32 v3, 31, v2
	v_lshlrev_b64 v[2:3], 3, v[2:3]
	v_mov_b32_e32 v7, s21
	global_load_dword v0, v[0:1], off
	v_add_co_u32_e32 v12, vcc, s20, v2
	v_addc_co_u32_e32 v13, vcc, v7, v3, vcc
	global_load_dwordx2 v[2:3], v[12:13], off
	s_mov_b64 s[24:25], 0
	s_waitcnt vmcnt(1)
	v_cvt_f64_f32_e32 v[0:1], v0
	v_mul_f64 v[14:15], v[10:11], v[0:1]
.LBB303_22:                             ;   Parent Loop BB303_17 Depth=1
                                        ;     Parent Loop BB303_20 Depth=2
                                        ; =>    This Inner Loop Header: Depth=3
	s_waitcnt vmcnt(0)
	v_add_f64 v[0:1], v[2:3], v[14:15]
	global_atomic_cmpswap_x2 v[0:1], v[12:13], v[0:3], off glc
	s_waitcnt vmcnt(0)
	v_cmp_eq_u64_e32 vcc, v[0:1], v[2:3]
	s_or_b64 s[24:25], vcc, s[24:25]
	v_pk_mov_b32 v[2:3], v[0:1], v[0:1] op_sel:[0,1]
	s_andn2_b64 exec, exec, s[24:25]
	s_cbranch_execnz .LBB303_22
	s_branch .LBB303_19
.LBB303_23:
	s_endpgm
	.section	.rodata,"a",@progbits
	.p2align	6, 0x0
	.amdhsa_kernel _ZN9rocsparseL21csrmvt_general_kernelILj256ELj4EiifdddEEvbbT2_NS_24const_host_device_scalarIT6_EEPKT1_S7_PKS1_PKT3_PKT4_PT5_21rocsparse_index_base_b
		.amdhsa_group_segment_fixed_size 0
		.amdhsa_private_segment_fixed_size 0
		.amdhsa_kernarg_size 328
		.amdhsa_user_sgpr_count 6
		.amdhsa_user_sgpr_private_segment_buffer 1
		.amdhsa_user_sgpr_dispatch_ptr 0
		.amdhsa_user_sgpr_queue_ptr 0
		.amdhsa_user_sgpr_kernarg_segment_ptr 1
		.amdhsa_user_sgpr_dispatch_id 0
		.amdhsa_user_sgpr_flat_scratch_init 0
		.amdhsa_user_sgpr_kernarg_preload_length 0
		.amdhsa_user_sgpr_kernarg_preload_offset 0
		.amdhsa_user_sgpr_private_segment_size 0
		.amdhsa_uses_dynamic_stack 0
		.amdhsa_system_sgpr_private_segment_wavefront_offset 0
		.amdhsa_system_sgpr_workgroup_id_x 1
		.amdhsa_system_sgpr_workgroup_id_y 0
		.amdhsa_system_sgpr_workgroup_id_z 0
		.amdhsa_system_sgpr_workgroup_info 0
		.amdhsa_system_vgpr_workitem_id 0
		.amdhsa_next_free_vgpr 22
		.amdhsa_next_free_sgpr 28
		.amdhsa_accum_offset 24
		.amdhsa_reserve_vcc 1
		.amdhsa_reserve_flat_scratch 0
		.amdhsa_float_round_mode_32 0
		.amdhsa_float_round_mode_16_64 0
		.amdhsa_float_denorm_mode_32 3
		.amdhsa_float_denorm_mode_16_64 3
		.amdhsa_dx10_clamp 1
		.amdhsa_ieee_mode 1
		.amdhsa_fp16_overflow 0
		.amdhsa_tg_split 0
		.amdhsa_exception_fp_ieee_invalid_op 0
		.amdhsa_exception_fp_denorm_src 0
		.amdhsa_exception_fp_ieee_div_zero 0
		.amdhsa_exception_fp_ieee_overflow 0
		.amdhsa_exception_fp_ieee_underflow 0
		.amdhsa_exception_fp_ieee_inexact 0
		.amdhsa_exception_int_div_zero 0
	.end_amdhsa_kernel
	.section	.text._ZN9rocsparseL21csrmvt_general_kernelILj256ELj4EiifdddEEvbbT2_NS_24const_host_device_scalarIT6_EEPKT1_S7_PKS1_PKT3_PKT4_PT5_21rocsparse_index_base_b,"axG",@progbits,_ZN9rocsparseL21csrmvt_general_kernelILj256ELj4EiifdddEEvbbT2_NS_24const_host_device_scalarIT6_EEPKT1_S7_PKS1_PKT3_PKT4_PT5_21rocsparse_index_base_b,comdat
.Lfunc_end303:
	.size	_ZN9rocsparseL21csrmvt_general_kernelILj256ELj4EiifdddEEvbbT2_NS_24const_host_device_scalarIT6_EEPKT1_S7_PKS1_PKT3_PKT4_PT5_21rocsparse_index_base_b, .Lfunc_end303-_ZN9rocsparseL21csrmvt_general_kernelILj256ELj4EiifdddEEvbbT2_NS_24const_host_device_scalarIT6_EEPKT1_S7_PKS1_PKT3_PKT4_PT5_21rocsparse_index_base_b
                                        ; -- End function
	.section	.AMDGPU.csdata,"",@progbits
; Kernel info:
; codeLenInByte = 908
; NumSgprs: 32
; NumVgprs: 22
; NumAgprs: 0
; TotalNumVgprs: 22
; ScratchSize: 0
; MemoryBound: 0
; FloatMode: 240
; IeeeMode: 1
; LDSByteSize: 0 bytes/workgroup (compile time only)
; SGPRBlocks: 3
; VGPRBlocks: 2
; NumSGPRsForWavesPerEU: 32
; NumVGPRsForWavesPerEU: 22
; AccumOffset: 24
; Occupancy: 8
; WaveLimiterHint : 1
; COMPUTE_PGM_RSRC2:SCRATCH_EN: 0
; COMPUTE_PGM_RSRC2:USER_SGPR: 6
; COMPUTE_PGM_RSRC2:TRAP_HANDLER: 0
; COMPUTE_PGM_RSRC2:TGID_X_EN: 1
; COMPUTE_PGM_RSRC2:TGID_Y_EN: 0
; COMPUTE_PGM_RSRC2:TGID_Z_EN: 0
; COMPUTE_PGM_RSRC2:TIDIG_COMP_CNT: 0
; COMPUTE_PGM_RSRC3_GFX90A:ACCUM_OFFSET: 5
; COMPUTE_PGM_RSRC3_GFX90A:TG_SPLIT: 0
	.section	.text._ZN9rocsparseL21csrmvt_general_kernelILj256ELj8EiifdddEEvbbT2_NS_24const_host_device_scalarIT6_EEPKT1_S7_PKS1_PKT3_PKT4_PT5_21rocsparse_index_base_b,"axG",@progbits,_ZN9rocsparseL21csrmvt_general_kernelILj256ELj8EiifdddEEvbbT2_NS_24const_host_device_scalarIT6_EEPKT1_S7_PKS1_PKT3_PKT4_PT5_21rocsparse_index_base_b,comdat
	.globl	_ZN9rocsparseL21csrmvt_general_kernelILj256ELj8EiifdddEEvbbT2_NS_24const_host_device_scalarIT6_EEPKT1_S7_PKS1_PKT3_PKT4_PT5_21rocsparse_index_base_b ; -- Begin function _ZN9rocsparseL21csrmvt_general_kernelILj256ELj8EiifdddEEvbbT2_NS_24const_host_device_scalarIT6_EEPKT1_S7_PKS1_PKT3_PKT4_PT5_21rocsparse_index_base_b
	.p2align	8
	.type	_ZN9rocsparseL21csrmvt_general_kernelILj256ELj8EiifdddEEvbbT2_NS_24const_host_device_scalarIT6_EEPKT1_S7_PKS1_PKT3_PKT4_PT5_21rocsparse_index_base_b,@function
_ZN9rocsparseL21csrmvt_general_kernelILj256ELj8EiifdddEEvbbT2_NS_24const_host_device_scalarIT6_EEPKT1_S7_PKS1_PKT3_PKT4_PT5_21rocsparse_index_base_b: ; @_ZN9rocsparseL21csrmvt_general_kernelILj256ELj8EiifdddEEvbbT2_NS_24const_host_device_scalarIT6_EEPKT1_S7_PKS1_PKT3_PKT4_PT5_21rocsparse_index_base_b
; %bb.0:
	s_load_dwordx2 s[16:17], s[4:5], 0x40
	s_load_dwordx4 s[0:3], s[4:5], 0x8
	s_waitcnt lgkmcnt(0)
	s_bitcmp1_b32 s17, 0
	s_cselect_b64 s[8:9], -1, 0
	s_and_b64 vcc, exec, s[8:9]
	v_pk_mov_b32 v[4:5], s[0:1], s[0:1] op_sel:[0,1]
	s_cbranch_vccnz .LBB304_2
; %bb.1:
	v_pk_mov_b32 v[2:3], s[0:1], s[0:1] op_sel:[0,1]
	flat_load_dwordx2 v[4:5], v[2:3]
.LBB304_2:
	s_waitcnt vmcnt(0) lgkmcnt(0)
	v_cmp_neq_f64_e32 vcc, 0, v[4:5]
	s_and_saveexec_b64 s[0:1], vcc
	s_cbranch_execz .LBB304_23
; %bb.3:
	s_load_dwordx2 s[18:19], s[4:5], 0x0
	s_load_dword s0, s[4:5], 0x48
	s_load_dwordx2 s[20:21], s[4:5], 0x38
	s_load_dwordx8 s[8:15], s[4:5], 0x18
	v_and_b32_e32 v7, 7, v0
	v_lshl_or_b32 v0, s6, 8, v0
	s_waitcnt lgkmcnt(0)
	s_and_b32 s1, s18, 1
	s_lshl_b32 s17, s0, 5
	v_lshrrev_b32_e32 v6, 3, v0
	s_cmp_eq_u32 s1, 0
	v_cmp_gt_i32_e64 s[0:1], s19, v6
	s_mov_b64 s[4:5], -1
	s_cbranch_scc0 .LBB304_13
; %bb.4:
	s_and_saveexec_b64 s[4:5], s[0:1]
	s_cbranch_execz .LBB304_12
; %bb.5:
	v_subrev_u32_e32 v18, s16, v7
	s_mov_b64 s[6:7], 0
	v_mov_b32_e32 v19, s3
	v_mov_b32_e32 v20, s9
	;; [unrolled: 1-line block ×3, first 2 shown]
	s_branch .LBB304_7
.LBB304_6:                              ;   in Loop: Header=BB304_7 Depth=1
	s_or_b64 exec, exec, s[22:23]
	v_add_u32_e32 v8, s17, v8
	v_cmp_le_i32_e32 vcc, s19, v8
	s_or_b64 s[6:7], vcc, s[6:7]
	s_andn2_b64 exec, exec, s[6:7]
	s_cbranch_execz .LBB304_12
.LBB304_7:                              ; =>This Loop Header: Depth=1
                                        ;     Child Loop BB304_9 Depth 2
                                        ;       Child Loop BB304_10 Depth 3
	v_ashrrev_i32_e32 v9, 31, v8
	v_lshlrev_b64 v[0:1], 2, v[8:9]
	v_add_co_u32_e32 v2, vcc, s2, v0
	v_addc_co_u32_e32 v3, vcc, v19, v1, vcc
	v_add_co_u32_e32 v0, vcc, s8, v0
	v_addc_co_u32_e32 v1, vcc, v20, v1, vcc
	global_load_dword v10, v[0:1], off
	global_load_dword v11, v[2:3], off
	s_waitcnt vmcnt(1)
	v_subrev_u32_e32 v21, s16, v10
	s_waitcnt vmcnt(0)
	v_add_u32_e32 v10, v11, v18
	v_cmp_lt_i32_e32 vcc, v10, v21
	s_and_saveexec_b64 s[22:23], vcc
	s_cbranch_execz .LBB304_6
; %bb.8:                                ;   in Loop: Header=BB304_7 Depth=1
	v_lshlrev_b64 v[0:1], 3, v[8:9]
	v_mov_b32_e32 v2, s15
	v_add_co_u32_e32 v0, vcc, s14, v0
	v_addc_co_u32_e32 v1, vcc, v2, v1, vcc
	global_load_dwordx2 v[0:1], v[0:1], off
	s_mov_b64 s[24:25], 0
	s_waitcnt vmcnt(0)
	v_mul_f64 v[12:13], v[4:5], v[0:1]
.LBB304_9:                              ;   Parent Loop BB304_7 Depth=1
                                        ; =>  This Loop Header: Depth=2
                                        ;       Child Loop BB304_10 Depth 3
	v_ashrrev_i32_e32 v11, 31, v10
	v_lshlrev_b64 v[0:1], 2, v[10:11]
	v_mov_b32_e32 v3, s11
	v_add_co_u32_e32 v2, vcc, s10, v0
	v_addc_co_u32_e32 v3, vcc, v3, v1, vcc
	global_load_dword v2, v[2:3], off
	v_mov_b32_e32 v3, s13
	v_add_co_u32_e32 v0, vcc, s12, v0
	v_addc_co_u32_e32 v1, vcc, v3, v1, vcc
	global_load_dword v11, v[0:1], off
	v_mov_b32_e32 v9, s21
	s_mov_b64 s[26:27], 0
	s_waitcnt vmcnt(1)
	v_subrev_u32_e32 v0, s16, v2
	v_ashrrev_i32_e32 v1, 31, v0
	v_lshlrev_b64 v[0:1], 3, v[0:1]
	v_add_co_u32_e32 v14, vcc, s20, v0
	v_addc_co_u32_e32 v15, vcc, v9, v1, vcc
	global_load_dwordx2 v[2:3], v[14:15], off
	s_waitcnt vmcnt(1)
	v_cvt_f64_f32_e32 v[0:1], v11
	v_mul_f64 v[16:17], v[12:13], v[0:1]
.LBB304_10:                             ;   Parent Loop BB304_7 Depth=1
                                        ;     Parent Loop BB304_9 Depth=2
                                        ; =>    This Inner Loop Header: Depth=3
	s_waitcnt vmcnt(0)
	v_add_f64 v[0:1], v[2:3], v[16:17]
	global_atomic_cmpswap_x2 v[0:1], v[14:15], v[0:3], off glc
	s_waitcnt vmcnt(0)
	v_cmp_eq_u64_e32 vcc, v[0:1], v[2:3]
	s_or_b64 s[26:27], vcc, s[26:27]
	v_pk_mov_b32 v[2:3], v[0:1], v[0:1] op_sel:[0,1]
	s_andn2_b64 exec, exec, s[26:27]
	s_cbranch_execnz .LBB304_10
; %bb.11:                               ;   in Loop: Header=BB304_9 Depth=2
	s_or_b64 exec, exec, s[26:27]
	v_add_u32_e32 v10, 8, v10
	v_cmp_ge_i32_e32 vcc, v10, v21
	s_or_b64 s[24:25], vcc, s[24:25]
	s_andn2_b64 exec, exec, s[24:25]
	s_cbranch_execnz .LBB304_9
	s_branch .LBB304_6
.LBB304_12:
	s_or_b64 exec, exec, s[4:5]
	s_mov_b64 s[4:5], 0
.LBB304_13:
	s_andn2_b64 vcc, exec, s[4:5]
	s_cbranch_vccnz .LBB304_23
; %bb.14:
	s_and_b64 exec, exec, s[0:1]
	s_cbranch_execz .LBB304_23
; %bb.15:
	v_subrev_u32_e32 v16, s16, v7
	s_mov_b64 s[0:1], 0
	v_mov_b32_e32 v17, s3
	v_mov_b32_e32 v18, s9
	s_branch .LBB304_17
.LBB304_16:                             ;   in Loop: Header=BB304_17 Depth=1
	s_or_b64 exec, exec, s[4:5]
	v_add_u32_e32 v6, s17, v6
	v_cmp_le_i32_e32 vcc, s19, v6
	s_or_b64 s[0:1], vcc, s[0:1]
	s_andn2_b64 exec, exec, s[0:1]
	s_cbranch_execz .LBB304_23
.LBB304_17:                             ; =>This Loop Header: Depth=1
                                        ;     Child Loop BB304_20 Depth 2
                                        ;       Child Loop BB304_22 Depth 3
	v_ashrrev_i32_e32 v7, 31, v6
	v_lshlrev_b64 v[0:1], 2, v[6:7]
	v_add_co_u32_e32 v2, vcc, s2, v0
	v_addc_co_u32_e32 v3, vcc, v17, v1, vcc
	v_add_co_u32_e32 v0, vcc, s8, v0
	v_addc_co_u32_e32 v1, vcc, v18, v1, vcc
	global_load_dword v8, v[0:1], off
	global_load_dword v9, v[2:3], off
	s_waitcnt vmcnt(1)
	v_subrev_u32_e32 v19, s16, v8
	s_waitcnt vmcnt(0)
	v_add_u32_e32 v8, v9, v16
	v_cmp_lt_i32_e32 vcc, v8, v19
	s_and_saveexec_b64 s[4:5], vcc
	s_cbranch_execz .LBB304_16
; %bb.18:                               ;   in Loop: Header=BB304_17 Depth=1
	v_lshlrev_b64 v[0:1], 3, v[6:7]
	v_mov_b32_e32 v2, s15
	v_add_co_u32_e32 v0, vcc, s14, v0
	v_addc_co_u32_e32 v1, vcc, v2, v1, vcc
	global_load_dwordx2 v[0:1], v[0:1], off
	s_mov_b64 s[6:7], 0
	s_waitcnt vmcnt(0)
	v_mul_f64 v[10:11], v[4:5], v[0:1]
	s_branch .LBB304_20
.LBB304_19:                             ;   in Loop: Header=BB304_20 Depth=2
	s_or_b64 exec, exec, s[22:23]
	v_add_u32_e32 v8, 8, v8
	v_cmp_ge_i32_e32 vcc, v8, v19
	s_or_b64 s[6:7], vcc, s[6:7]
	s_andn2_b64 exec, exec, s[6:7]
	s_cbranch_execz .LBB304_16
.LBB304_20:                             ;   Parent Loop BB304_17 Depth=1
                                        ; =>  This Loop Header: Depth=2
                                        ;       Child Loop BB304_22 Depth 3
	v_ashrrev_i32_e32 v9, 31, v8
	v_lshlrev_b64 v[0:1], 2, v[8:9]
	v_mov_b32_e32 v3, s11
	v_add_co_u32_e32 v2, vcc, s10, v0
	v_addc_co_u32_e32 v3, vcc, v3, v1, vcc
	global_load_dword v2, v[2:3], off
	s_waitcnt vmcnt(0)
	v_subrev_u32_e32 v2, s16, v2
	v_cmp_ne_u32_e32 vcc, v2, v6
	s_and_saveexec_b64 s[22:23], vcc
	s_cbranch_execz .LBB304_19
; %bb.21:                               ;   in Loop: Header=BB304_20 Depth=2
	v_mov_b32_e32 v3, s13
	v_add_co_u32_e32 v0, vcc, s12, v0
	v_addc_co_u32_e32 v1, vcc, v3, v1, vcc
	v_ashrrev_i32_e32 v3, 31, v2
	v_lshlrev_b64 v[2:3], 3, v[2:3]
	v_mov_b32_e32 v7, s21
	global_load_dword v0, v[0:1], off
	v_add_co_u32_e32 v12, vcc, s20, v2
	v_addc_co_u32_e32 v13, vcc, v7, v3, vcc
	global_load_dwordx2 v[2:3], v[12:13], off
	s_mov_b64 s[24:25], 0
	s_waitcnt vmcnt(1)
	v_cvt_f64_f32_e32 v[0:1], v0
	v_mul_f64 v[14:15], v[10:11], v[0:1]
.LBB304_22:                             ;   Parent Loop BB304_17 Depth=1
                                        ;     Parent Loop BB304_20 Depth=2
                                        ; =>    This Inner Loop Header: Depth=3
	s_waitcnt vmcnt(0)
	v_add_f64 v[0:1], v[2:3], v[14:15]
	global_atomic_cmpswap_x2 v[0:1], v[12:13], v[0:3], off glc
	s_waitcnt vmcnt(0)
	v_cmp_eq_u64_e32 vcc, v[0:1], v[2:3]
	s_or_b64 s[24:25], vcc, s[24:25]
	v_pk_mov_b32 v[2:3], v[0:1], v[0:1] op_sel:[0,1]
	s_andn2_b64 exec, exec, s[24:25]
	s_cbranch_execnz .LBB304_22
	s_branch .LBB304_19
.LBB304_23:
	s_endpgm
	.section	.rodata,"a",@progbits
	.p2align	6, 0x0
	.amdhsa_kernel _ZN9rocsparseL21csrmvt_general_kernelILj256ELj8EiifdddEEvbbT2_NS_24const_host_device_scalarIT6_EEPKT1_S7_PKS1_PKT3_PKT4_PT5_21rocsparse_index_base_b
		.amdhsa_group_segment_fixed_size 0
		.amdhsa_private_segment_fixed_size 0
		.amdhsa_kernarg_size 328
		.amdhsa_user_sgpr_count 6
		.amdhsa_user_sgpr_private_segment_buffer 1
		.amdhsa_user_sgpr_dispatch_ptr 0
		.amdhsa_user_sgpr_queue_ptr 0
		.amdhsa_user_sgpr_kernarg_segment_ptr 1
		.amdhsa_user_sgpr_dispatch_id 0
		.amdhsa_user_sgpr_flat_scratch_init 0
		.amdhsa_user_sgpr_kernarg_preload_length 0
		.amdhsa_user_sgpr_kernarg_preload_offset 0
		.amdhsa_user_sgpr_private_segment_size 0
		.amdhsa_uses_dynamic_stack 0
		.amdhsa_system_sgpr_private_segment_wavefront_offset 0
		.amdhsa_system_sgpr_workgroup_id_x 1
		.amdhsa_system_sgpr_workgroup_id_y 0
		.amdhsa_system_sgpr_workgroup_id_z 0
		.amdhsa_system_sgpr_workgroup_info 0
		.amdhsa_system_vgpr_workitem_id 0
		.amdhsa_next_free_vgpr 22
		.amdhsa_next_free_sgpr 28
		.amdhsa_accum_offset 24
		.amdhsa_reserve_vcc 1
		.amdhsa_reserve_flat_scratch 0
		.amdhsa_float_round_mode_32 0
		.amdhsa_float_round_mode_16_64 0
		.amdhsa_float_denorm_mode_32 3
		.amdhsa_float_denorm_mode_16_64 3
		.amdhsa_dx10_clamp 1
		.amdhsa_ieee_mode 1
		.amdhsa_fp16_overflow 0
		.amdhsa_tg_split 0
		.amdhsa_exception_fp_ieee_invalid_op 0
		.amdhsa_exception_fp_denorm_src 0
		.amdhsa_exception_fp_ieee_div_zero 0
		.amdhsa_exception_fp_ieee_overflow 0
		.amdhsa_exception_fp_ieee_underflow 0
		.amdhsa_exception_fp_ieee_inexact 0
		.amdhsa_exception_int_div_zero 0
	.end_amdhsa_kernel
	.section	.text._ZN9rocsparseL21csrmvt_general_kernelILj256ELj8EiifdddEEvbbT2_NS_24const_host_device_scalarIT6_EEPKT1_S7_PKS1_PKT3_PKT4_PT5_21rocsparse_index_base_b,"axG",@progbits,_ZN9rocsparseL21csrmvt_general_kernelILj256ELj8EiifdddEEvbbT2_NS_24const_host_device_scalarIT6_EEPKT1_S7_PKS1_PKT3_PKT4_PT5_21rocsparse_index_base_b,comdat
.Lfunc_end304:
	.size	_ZN9rocsparseL21csrmvt_general_kernelILj256ELj8EiifdddEEvbbT2_NS_24const_host_device_scalarIT6_EEPKT1_S7_PKS1_PKT3_PKT4_PT5_21rocsparse_index_base_b, .Lfunc_end304-_ZN9rocsparseL21csrmvt_general_kernelILj256ELj8EiifdddEEvbbT2_NS_24const_host_device_scalarIT6_EEPKT1_S7_PKS1_PKT3_PKT4_PT5_21rocsparse_index_base_b
                                        ; -- End function
	.section	.AMDGPU.csdata,"",@progbits
; Kernel info:
; codeLenInByte = 908
; NumSgprs: 32
; NumVgprs: 22
; NumAgprs: 0
; TotalNumVgprs: 22
; ScratchSize: 0
; MemoryBound: 0
; FloatMode: 240
; IeeeMode: 1
; LDSByteSize: 0 bytes/workgroup (compile time only)
; SGPRBlocks: 3
; VGPRBlocks: 2
; NumSGPRsForWavesPerEU: 32
; NumVGPRsForWavesPerEU: 22
; AccumOffset: 24
; Occupancy: 8
; WaveLimiterHint : 1
; COMPUTE_PGM_RSRC2:SCRATCH_EN: 0
; COMPUTE_PGM_RSRC2:USER_SGPR: 6
; COMPUTE_PGM_RSRC2:TRAP_HANDLER: 0
; COMPUTE_PGM_RSRC2:TGID_X_EN: 1
; COMPUTE_PGM_RSRC2:TGID_Y_EN: 0
; COMPUTE_PGM_RSRC2:TGID_Z_EN: 0
; COMPUTE_PGM_RSRC2:TIDIG_COMP_CNT: 0
; COMPUTE_PGM_RSRC3_GFX90A:ACCUM_OFFSET: 5
; COMPUTE_PGM_RSRC3_GFX90A:TG_SPLIT: 0
	.section	.text._ZN9rocsparseL21csrmvt_general_kernelILj256ELj16EiifdddEEvbbT2_NS_24const_host_device_scalarIT6_EEPKT1_S7_PKS1_PKT3_PKT4_PT5_21rocsparse_index_base_b,"axG",@progbits,_ZN9rocsparseL21csrmvt_general_kernelILj256ELj16EiifdddEEvbbT2_NS_24const_host_device_scalarIT6_EEPKT1_S7_PKS1_PKT3_PKT4_PT5_21rocsparse_index_base_b,comdat
	.globl	_ZN9rocsparseL21csrmvt_general_kernelILj256ELj16EiifdddEEvbbT2_NS_24const_host_device_scalarIT6_EEPKT1_S7_PKS1_PKT3_PKT4_PT5_21rocsparse_index_base_b ; -- Begin function _ZN9rocsparseL21csrmvt_general_kernelILj256ELj16EiifdddEEvbbT2_NS_24const_host_device_scalarIT6_EEPKT1_S7_PKS1_PKT3_PKT4_PT5_21rocsparse_index_base_b
	.p2align	8
	.type	_ZN9rocsparseL21csrmvt_general_kernelILj256ELj16EiifdddEEvbbT2_NS_24const_host_device_scalarIT6_EEPKT1_S7_PKS1_PKT3_PKT4_PT5_21rocsparse_index_base_b,@function
_ZN9rocsparseL21csrmvt_general_kernelILj256ELj16EiifdddEEvbbT2_NS_24const_host_device_scalarIT6_EEPKT1_S7_PKS1_PKT3_PKT4_PT5_21rocsparse_index_base_b: ; @_ZN9rocsparseL21csrmvt_general_kernelILj256ELj16EiifdddEEvbbT2_NS_24const_host_device_scalarIT6_EEPKT1_S7_PKS1_PKT3_PKT4_PT5_21rocsparse_index_base_b
; %bb.0:
	s_load_dwordx2 s[16:17], s[4:5], 0x40
	s_load_dwordx4 s[0:3], s[4:5], 0x8
	s_waitcnt lgkmcnt(0)
	s_bitcmp1_b32 s17, 0
	s_cselect_b64 s[8:9], -1, 0
	s_and_b64 vcc, exec, s[8:9]
	v_pk_mov_b32 v[4:5], s[0:1], s[0:1] op_sel:[0,1]
	s_cbranch_vccnz .LBB305_2
; %bb.1:
	v_pk_mov_b32 v[2:3], s[0:1], s[0:1] op_sel:[0,1]
	flat_load_dwordx2 v[4:5], v[2:3]
.LBB305_2:
	s_waitcnt vmcnt(0) lgkmcnt(0)
	v_cmp_neq_f64_e32 vcc, 0, v[4:5]
	s_and_saveexec_b64 s[0:1], vcc
	s_cbranch_execz .LBB305_23
; %bb.3:
	s_load_dwordx2 s[18:19], s[4:5], 0x0
	s_load_dword s0, s[4:5], 0x48
	s_load_dwordx2 s[20:21], s[4:5], 0x38
	s_load_dwordx8 s[8:15], s[4:5], 0x18
	v_and_b32_e32 v7, 15, v0
	v_lshl_or_b32 v0, s6, 8, v0
	s_waitcnt lgkmcnt(0)
	s_and_b32 s1, s18, 1
	s_lshl_b32 s17, s0, 4
	v_lshrrev_b32_e32 v6, 4, v0
	s_cmp_eq_u32 s1, 0
	v_cmp_gt_i32_e64 s[0:1], s19, v6
	s_mov_b64 s[4:5], -1
	s_cbranch_scc0 .LBB305_13
; %bb.4:
	s_and_saveexec_b64 s[4:5], s[0:1]
	s_cbranch_execz .LBB305_12
; %bb.5:
	v_subrev_u32_e32 v18, s16, v7
	s_mov_b64 s[6:7], 0
	v_mov_b32_e32 v19, s3
	v_mov_b32_e32 v20, s9
	;; [unrolled: 1-line block ×3, first 2 shown]
	s_branch .LBB305_7
.LBB305_6:                              ;   in Loop: Header=BB305_7 Depth=1
	s_or_b64 exec, exec, s[22:23]
	v_add_u32_e32 v8, s17, v8
	v_cmp_le_i32_e32 vcc, s19, v8
	s_or_b64 s[6:7], vcc, s[6:7]
	s_andn2_b64 exec, exec, s[6:7]
	s_cbranch_execz .LBB305_12
.LBB305_7:                              ; =>This Loop Header: Depth=1
                                        ;     Child Loop BB305_9 Depth 2
                                        ;       Child Loop BB305_10 Depth 3
	v_ashrrev_i32_e32 v9, 31, v8
	v_lshlrev_b64 v[0:1], 2, v[8:9]
	v_add_co_u32_e32 v2, vcc, s2, v0
	v_addc_co_u32_e32 v3, vcc, v19, v1, vcc
	v_add_co_u32_e32 v0, vcc, s8, v0
	v_addc_co_u32_e32 v1, vcc, v20, v1, vcc
	global_load_dword v10, v[0:1], off
	global_load_dword v11, v[2:3], off
	s_waitcnt vmcnt(1)
	v_subrev_u32_e32 v21, s16, v10
	s_waitcnt vmcnt(0)
	v_add_u32_e32 v10, v11, v18
	v_cmp_lt_i32_e32 vcc, v10, v21
	s_and_saveexec_b64 s[22:23], vcc
	s_cbranch_execz .LBB305_6
; %bb.8:                                ;   in Loop: Header=BB305_7 Depth=1
	v_lshlrev_b64 v[0:1], 3, v[8:9]
	v_mov_b32_e32 v2, s15
	v_add_co_u32_e32 v0, vcc, s14, v0
	v_addc_co_u32_e32 v1, vcc, v2, v1, vcc
	global_load_dwordx2 v[0:1], v[0:1], off
	s_mov_b64 s[24:25], 0
	s_waitcnt vmcnt(0)
	v_mul_f64 v[12:13], v[4:5], v[0:1]
.LBB305_9:                              ;   Parent Loop BB305_7 Depth=1
                                        ; =>  This Loop Header: Depth=2
                                        ;       Child Loop BB305_10 Depth 3
	v_ashrrev_i32_e32 v11, 31, v10
	v_lshlrev_b64 v[0:1], 2, v[10:11]
	v_mov_b32_e32 v3, s11
	v_add_co_u32_e32 v2, vcc, s10, v0
	v_addc_co_u32_e32 v3, vcc, v3, v1, vcc
	global_load_dword v2, v[2:3], off
	v_mov_b32_e32 v3, s13
	v_add_co_u32_e32 v0, vcc, s12, v0
	v_addc_co_u32_e32 v1, vcc, v3, v1, vcc
	global_load_dword v11, v[0:1], off
	v_mov_b32_e32 v9, s21
	s_mov_b64 s[26:27], 0
	s_waitcnt vmcnt(1)
	v_subrev_u32_e32 v0, s16, v2
	v_ashrrev_i32_e32 v1, 31, v0
	v_lshlrev_b64 v[0:1], 3, v[0:1]
	v_add_co_u32_e32 v14, vcc, s20, v0
	v_addc_co_u32_e32 v15, vcc, v9, v1, vcc
	global_load_dwordx2 v[2:3], v[14:15], off
	s_waitcnt vmcnt(1)
	v_cvt_f64_f32_e32 v[0:1], v11
	v_mul_f64 v[16:17], v[12:13], v[0:1]
.LBB305_10:                             ;   Parent Loop BB305_7 Depth=1
                                        ;     Parent Loop BB305_9 Depth=2
                                        ; =>    This Inner Loop Header: Depth=3
	s_waitcnt vmcnt(0)
	v_add_f64 v[0:1], v[2:3], v[16:17]
	global_atomic_cmpswap_x2 v[0:1], v[14:15], v[0:3], off glc
	s_waitcnt vmcnt(0)
	v_cmp_eq_u64_e32 vcc, v[0:1], v[2:3]
	s_or_b64 s[26:27], vcc, s[26:27]
	v_pk_mov_b32 v[2:3], v[0:1], v[0:1] op_sel:[0,1]
	s_andn2_b64 exec, exec, s[26:27]
	s_cbranch_execnz .LBB305_10
; %bb.11:                               ;   in Loop: Header=BB305_9 Depth=2
	s_or_b64 exec, exec, s[26:27]
	v_add_u32_e32 v10, 16, v10
	v_cmp_ge_i32_e32 vcc, v10, v21
	s_or_b64 s[24:25], vcc, s[24:25]
	s_andn2_b64 exec, exec, s[24:25]
	s_cbranch_execnz .LBB305_9
	s_branch .LBB305_6
.LBB305_12:
	s_or_b64 exec, exec, s[4:5]
	s_mov_b64 s[4:5], 0
.LBB305_13:
	s_andn2_b64 vcc, exec, s[4:5]
	s_cbranch_vccnz .LBB305_23
; %bb.14:
	s_and_b64 exec, exec, s[0:1]
	s_cbranch_execz .LBB305_23
; %bb.15:
	v_subrev_u32_e32 v16, s16, v7
	s_mov_b64 s[0:1], 0
	v_mov_b32_e32 v17, s3
	v_mov_b32_e32 v18, s9
	s_branch .LBB305_17
.LBB305_16:                             ;   in Loop: Header=BB305_17 Depth=1
	s_or_b64 exec, exec, s[4:5]
	v_add_u32_e32 v6, s17, v6
	v_cmp_le_i32_e32 vcc, s19, v6
	s_or_b64 s[0:1], vcc, s[0:1]
	s_andn2_b64 exec, exec, s[0:1]
	s_cbranch_execz .LBB305_23
.LBB305_17:                             ; =>This Loop Header: Depth=1
                                        ;     Child Loop BB305_20 Depth 2
                                        ;       Child Loop BB305_22 Depth 3
	v_ashrrev_i32_e32 v7, 31, v6
	v_lshlrev_b64 v[0:1], 2, v[6:7]
	v_add_co_u32_e32 v2, vcc, s2, v0
	v_addc_co_u32_e32 v3, vcc, v17, v1, vcc
	v_add_co_u32_e32 v0, vcc, s8, v0
	v_addc_co_u32_e32 v1, vcc, v18, v1, vcc
	global_load_dword v8, v[0:1], off
	global_load_dword v9, v[2:3], off
	s_waitcnt vmcnt(1)
	v_subrev_u32_e32 v19, s16, v8
	s_waitcnt vmcnt(0)
	v_add_u32_e32 v8, v9, v16
	v_cmp_lt_i32_e32 vcc, v8, v19
	s_and_saveexec_b64 s[4:5], vcc
	s_cbranch_execz .LBB305_16
; %bb.18:                               ;   in Loop: Header=BB305_17 Depth=1
	v_lshlrev_b64 v[0:1], 3, v[6:7]
	v_mov_b32_e32 v2, s15
	v_add_co_u32_e32 v0, vcc, s14, v0
	v_addc_co_u32_e32 v1, vcc, v2, v1, vcc
	global_load_dwordx2 v[0:1], v[0:1], off
	s_mov_b64 s[6:7], 0
	s_waitcnt vmcnt(0)
	v_mul_f64 v[10:11], v[4:5], v[0:1]
	s_branch .LBB305_20
.LBB305_19:                             ;   in Loop: Header=BB305_20 Depth=2
	s_or_b64 exec, exec, s[22:23]
	v_add_u32_e32 v8, 16, v8
	v_cmp_ge_i32_e32 vcc, v8, v19
	s_or_b64 s[6:7], vcc, s[6:7]
	s_andn2_b64 exec, exec, s[6:7]
	s_cbranch_execz .LBB305_16
.LBB305_20:                             ;   Parent Loop BB305_17 Depth=1
                                        ; =>  This Loop Header: Depth=2
                                        ;       Child Loop BB305_22 Depth 3
	v_ashrrev_i32_e32 v9, 31, v8
	v_lshlrev_b64 v[0:1], 2, v[8:9]
	v_mov_b32_e32 v3, s11
	v_add_co_u32_e32 v2, vcc, s10, v0
	v_addc_co_u32_e32 v3, vcc, v3, v1, vcc
	global_load_dword v2, v[2:3], off
	s_waitcnt vmcnt(0)
	v_subrev_u32_e32 v2, s16, v2
	v_cmp_ne_u32_e32 vcc, v2, v6
	s_and_saveexec_b64 s[22:23], vcc
	s_cbranch_execz .LBB305_19
; %bb.21:                               ;   in Loop: Header=BB305_20 Depth=2
	v_mov_b32_e32 v3, s13
	v_add_co_u32_e32 v0, vcc, s12, v0
	v_addc_co_u32_e32 v1, vcc, v3, v1, vcc
	v_ashrrev_i32_e32 v3, 31, v2
	v_lshlrev_b64 v[2:3], 3, v[2:3]
	v_mov_b32_e32 v7, s21
	global_load_dword v0, v[0:1], off
	v_add_co_u32_e32 v12, vcc, s20, v2
	v_addc_co_u32_e32 v13, vcc, v7, v3, vcc
	global_load_dwordx2 v[2:3], v[12:13], off
	s_mov_b64 s[24:25], 0
	s_waitcnt vmcnt(1)
	v_cvt_f64_f32_e32 v[0:1], v0
	v_mul_f64 v[14:15], v[10:11], v[0:1]
.LBB305_22:                             ;   Parent Loop BB305_17 Depth=1
                                        ;     Parent Loop BB305_20 Depth=2
                                        ; =>    This Inner Loop Header: Depth=3
	s_waitcnt vmcnt(0)
	v_add_f64 v[0:1], v[2:3], v[14:15]
	global_atomic_cmpswap_x2 v[0:1], v[12:13], v[0:3], off glc
	s_waitcnt vmcnt(0)
	v_cmp_eq_u64_e32 vcc, v[0:1], v[2:3]
	s_or_b64 s[24:25], vcc, s[24:25]
	v_pk_mov_b32 v[2:3], v[0:1], v[0:1] op_sel:[0,1]
	s_andn2_b64 exec, exec, s[24:25]
	s_cbranch_execnz .LBB305_22
	s_branch .LBB305_19
.LBB305_23:
	s_endpgm
	.section	.rodata,"a",@progbits
	.p2align	6, 0x0
	.amdhsa_kernel _ZN9rocsparseL21csrmvt_general_kernelILj256ELj16EiifdddEEvbbT2_NS_24const_host_device_scalarIT6_EEPKT1_S7_PKS1_PKT3_PKT4_PT5_21rocsparse_index_base_b
		.amdhsa_group_segment_fixed_size 0
		.amdhsa_private_segment_fixed_size 0
		.amdhsa_kernarg_size 328
		.amdhsa_user_sgpr_count 6
		.amdhsa_user_sgpr_private_segment_buffer 1
		.amdhsa_user_sgpr_dispatch_ptr 0
		.amdhsa_user_sgpr_queue_ptr 0
		.amdhsa_user_sgpr_kernarg_segment_ptr 1
		.amdhsa_user_sgpr_dispatch_id 0
		.amdhsa_user_sgpr_flat_scratch_init 0
		.amdhsa_user_sgpr_kernarg_preload_length 0
		.amdhsa_user_sgpr_kernarg_preload_offset 0
		.amdhsa_user_sgpr_private_segment_size 0
		.amdhsa_uses_dynamic_stack 0
		.amdhsa_system_sgpr_private_segment_wavefront_offset 0
		.amdhsa_system_sgpr_workgroup_id_x 1
		.amdhsa_system_sgpr_workgroup_id_y 0
		.amdhsa_system_sgpr_workgroup_id_z 0
		.amdhsa_system_sgpr_workgroup_info 0
		.amdhsa_system_vgpr_workitem_id 0
		.amdhsa_next_free_vgpr 22
		.amdhsa_next_free_sgpr 28
		.amdhsa_accum_offset 24
		.amdhsa_reserve_vcc 1
		.amdhsa_reserve_flat_scratch 0
		.amdhsa_float_round_mode_32 0
		.amdhsa_float_round_mode_16_64 0
		.amdhsa_float_denorm_mode_32 3
		.amdhsa_float_denorm_mode_16_64 3
		.amdhsa_dx10_clamp 1
		.amdhsa_ieee_mode 1
		.amdhsa_fp16_overflow 0
		.amdhsa_tg_split 0
		.amdhsa_exception_fp_ieee_invalid_op 0
		.amdhsa_exception_fp_denorm_src 0
		.amdhsa_exception_fp_ieee_div_zero 0
		.amdhsa_exception_fp_ieee_overflow 0
		.amdhsa_exception_fp_ieee_underflow 0
		.amdhsa_exception_fp_ieee_inexact 0
		.amdhsa_exception_int_div_zero 0
	.end_amdhsa_kernel
	.section	.text._ZN9rocsparseL21csrmvt_general_kernelILj256ELj16EiifdddEEvbbT2_NS_24const_host_device_scalarIT6_EEPKT1_S7_PKS1_PKT3_PKT4_PT5_21rocsparse_index_base_b,"axG",@progbits,_ZN9rocsparseL21csrmvt_general_kernelILj256ELj16EiifdddEEvbbT2_NS_24const_host_device_scalarIT6_EEPKT1_S7_PKS1_PKT3_PKT4_PT5_21rocsparse_index_base_b,comdat
.Lfunc_end305:
	.size	_ZN9rocsparseL21csrmvt_general_kernelILj256ELj16EiifdddEEvbbT2_NS_24const_host_device_scalarIT6_EEPKT1_S7_PKS1_PKT3_PKT4_PT5_21rocsparse_index_base_b, .Lfunc_end305-_ZN9rocsparseL21csrmvt_general_kernelILj256ELj16EiifdddEEvbbT2_NS_24const_host_device_scalarIT6_EEPKT1_S7_PKS1_PKT3_PKT4_PT5_21rocsparse_index_base_b
                                        ; -- End function
	.section	.AMDGPU.csdata,"",@progbits
; Kernel info:
; codeLenInByte = 908
; NumSgprs: 32
; NumVgprs: 22
; NumAgprs: 0
; TotalNumVgprs: 22
; ScratchSize: 0
; MemoryBound: 0
; FloatMode: 240
; IeeeMode: 1
; LDSByteSize: 0 bytes/workgroup (compile time only)
; SGPRBlocks: 3
; VGPRBlocks: 2
; NumSGPRsForWavesPerEU: 32
; NumVGPRsForWavesPerEU: 22
; AccumOffset: 24
; Occupancy: 8
; WaveLimiterHint : 1
; COMPUTE_PGM_RSRC2:SCRATCH_EN: 0
; COMPUTE_PGM_RSRC2:USER_SGPR: 6
; COMPUTE_PGM_RSRC2:TRAP_HANDLER: 0
; COMPUTE_PGM_RSRC2:TGID_X_EN: 1
; COMPUTE_PGM_RSRC2:TGID_Y_EN: 0
; COMPUTE_PGM_RSRC2:TGID_Z_EN: 0
; COMPUTE_PGM_RSRC2:TIDIG_COMP_CNT: 0
; COMPUTE_PGM_RSRC3_GFX90A:ACCUM_OFFSET: 5
; COMPUTE_PGM_RSRC3_GFX90A:TG_SPLIT: 0
	.section	.text._ZN9rocsparseL21csrmvt_general_kernelILj256ELj32EiifdddEEvbbT2_NS_24const_host_device_scalarIT6_EEPKT1_S7_PKS1_PKT3_PKT4_PT5_21rocsparse_index_base_b,"axG",@progbits,_ZN9rocsparseL21csrmvt_general_kernelILj256ELj32EiifdddEEvbbT2_NS_24const_host_device_scalarIT6_EEPKT1_S7_PKS1_PKT3_PKT4_PT5_21rocsparse_index_base_b,comdat
	.globl	_ZN9rocsparseL21csrmvt_general_kernelILj256ELj32EiifdddEEvbbT2_NS_24const_host_device_scalarIT6_EEPKT1_S7_PKS1_PKT3_PKT4_PT5_21rocsparse_index_base_b ; -- Begin function _ZN9rocsparseL21csrmvt_general_kernelILj256ELj32EiifdddEEvbbT2_NS_24const_host_device_scalarIT6_EEPKT1_S7_PKS1_PKT3_PKT4_PT5_21rocsparse_index_base_b
	.p2align	8
	.type	_ZN9rocsparseL21csrmvt_general_kernelILj256ELj32EiifdddEEvbbT2_NS_24const_host_device_scalarIT6_EEPKT1_S7_PKS1_PKT3_PKT4_PT5_21rocsparse_index_base_b,@function
_ZN9rocsparseL21csrmvt_general_kernelILj256ELj32EiifdddEEvbbT2_NS_24const_host_device_scalarIT6_EEPKT1_S7_PKS1_PKT3_PKT4_PT5_21rocsparse_index_base_b: ; @_ZN9rocsparseL21csrmvt_general_kernelILj256ELj32EiifdddEEvbbT2_NS_24const_host_device_scalarIT6_EEPKT1_S7_PKS1_PKT3_PKT4_PT5_21rocsparse_index_base_b
; %bb.0:
	s_load_dwordx2 s[16:17], s[4:5], 0x40
	s_load_dwordx4 s[0:3], s[4:5], 0x8
	s_waitcnt lgkmcnt(0)
	s_bitcmp1_b32 s17, 0
	s_cselect_b64 s[8:9], -1, 0
	s_and_b64 vcc, exec, s[8:9]
	v_pk_mov_b32 v[4:5], s[0:1], s[0:1] op_sel:[0,1]
	s_cbranch_vccnz .LBB306_2
; %bb.1:
	v_pk_mov_b32 v[2:3], s[0:1], s[0:1] op_sel:[0,1]
	flat_load_dwordx2 v[4:5], v[2:3]
.LBB306_2:
	s_waitcnt vmcnt(0) lgkmcnt(0)
	v_cmp_neq_f64_e32 vcc, 0, v[4:5]
	s_and_saveexec_b64 s[0:1], vcc
	s_cbranch_execz .LBB306_23
; %bb.3:
	s_load_dwordx2 s[18:19], s[4:5], 0x0
	s_load_dword s0, s[4:5], 0x48
	s_load_dwordx2 s[20:21], s[4:5], 0x38
	s_load_dwordx8 s[8:15], s[4:5], 0x18
	v_and_b32_e32 v7, 31, v0
	v_lshl_or_b32 v0, s6, 8, v0
	s_waitcnt lgkmcnt(0)
	s_and_b32 s1, s18, 1
	s_lshl_b32 s17, s0, 3
	v_lshrrev_b32_e32 v6, 5, v0
	s_cmp_eq_u32 s1, 0
	v_cmp_gt_i32_e64 s[0:1], s19, v6
	s_mov_b64 s[4:5], -1
	s_cbranch_scc0 .LBB306_13
; %bb.4:
	s_and_saveexec_b64 s[4:5], s[0:1]
	s_cbranch_execz .LBB306_12
; %bb.5:
	v_subrev_u32_e32 v18, s16, v7
	s_mov_b64 s[6:7], 0
	v_mov_b32_e32 v19, s3
	v_mov_b32_e32 v20, s9
	;; [unrolled: 1-line block ×3, first 2 shown]
	s_branch .LBB306_7
.LBB306_6:                              ;   in Loop: Header=BB306_7 Depth=1
	s_or_b64 exec, exec, s[22:23]
	v_add_u32_e32 v8, s17, v8
	v_cmp_le_i32_e32 vcc, s19, v8
	s_or_b64 s[6:7], vcc, s[6:7]
	s_andn2_b64 exec, exec, s[6:7]
	s_cbranch_execz .LBB306_12
.LBB306_7:                              ; =>This Loop Header: Depth=1
                                        ;     Child Loop BB306_9 Depth 2
                                        ;       Child Loop BB306_10 Depth 3
	v_ashrrev_i32_e32 v9, 31, v8
	v_lshlrev_b64 v[0:1], 2, v[8:9]
	v_add_co_u32_e32 v2, vcc, s2, v0
	v_addc_co_u32_e32 v3, vcc, v19, v1, vcc
	v_add_co_u32_e32 v0, vcc, s8, v0
	v_addc_co_u32_e32 v1, vcc, v20, v1, vcc
	global_load_dword v10, v[0:1], off
	global_load_dword v11, v[2:3], off
	s_waitcnt vmcnt(1)
	v_subrev_u32_e32 v21, s16, v10
	s_waitcnt vmcnt(0)
	v_add_u32_e32 v10, v11, v18
	v_cmp_lt_i32_e32 vcc, v10, v21
	s_and_saveexec_b64 s[22:23], vcc
	s_cbranch_execz .LBB306_6
; %bb.8:                                ;   in Loop: Header=BB306_7 Depth=1
	v_lshlrev_b64 v[0:1], 3, v[8:9]
	v_mov_b32_e32 v2, s15
	v_add_co_u32_e32 v0, vcc, s14, v0
	v_addc_co_u32_e32 v1, vcc, v2, v1, vcc
	global_load_dwordx2 v[0:1], v[0:1], off
	s_mov_b64 s[24:25], 0
	s_waitcnt vmcnt(0)
	v_mul_f64 v[12:13], v[4:5], v[0:1]
.LBB306_9:                              ;   Parent Loop BB306_7 Depth=1
                                        ; =>  This Loop Header: Depth=2
                                        ;       Child Loop BB306_10 Depth 3
	v_ashrrev_i32_e32 v11, 31, v10
	v_lshlrev_b64 v[0:1], 2, v[10:11]
	v_mov_b32_e32 v3, s11
	v_add_co_u32_e32 v2, vcc, s10, v0
	v_addc_co_u32_e32 v3, vcc, v3, v1, vcc
	global_load_dword v2, v[2:3], off
	v_mov_b32_e32 v3, s13
	v_add_co_u32_e32 v0, vcc, s12, v0
	v_addc_co_u32_e32 v1, vcc, v3, v1, vcc
	global_load_dword v11, v[0:1], off
	v_mov_b32_e32 v9, s21
	s_mov_b64 s[26:27], 0
	s_waitcnt vmcnt(1)
	v_subrev_u32_e32 v0, s16, v2
	v_ashrrev_i32_e32 v1, 31, v0
	v_lshlrev_b64 v[0:1], 3, v[0:1]
	v_add_co_u32_e32 v14, vcc, s20, v0
	v_addc_co_u32_e32 v15, vcc, v9, v1, vcc
	global_load_dwordx2 v[2:3], v[14:15], off
	s_waitcnt vmcnt(1)
	v_cvt_f64_f32_e32 v[0:1], v11
	v_mul_f64 v[16:17], v[12:13], v[0:1]
.LBB306_10:                             ;   Parent Loop BB306_7 Depth=1
                                        ;     Parent Loop BB306_9 Depth=2
                                        ; =>    This Inner Loop Header: Depth=3
	s_waitcnt vmcnt(0)
	v_add_f64 v[0:1], v[2:3], v[16:17]
	global_atomic_cmpswap_x2 v[0:1], v[14:15], v[0:3], off glc
	s_waitcnt vmcnt(0)
	v_cmp_eq_u64_e32 vcc, v[0:1], v[2:3]
	s_or_b64 s[26:27], vcc, s[26:27]
	v_pk_mov_b32 v[2:3], v[0:1], v[0:1] op_sel:[0,1]
	s_andn2_b64 exec, exec, s[26:27]
	s_cbranch_execnz .LBB306_10
; %bb.11:                               ;   in Loop: Header=BB306_9 Depth=2
	s_or_b64 exec, exec, s[26:27]
	v_add_u32_e32 v10, 32, v10
	v_cmp_ge_i32_e32 vcc, v10, v21
	s_or_b64 s[24:25], vcc, s[24:25]
	s_andn2_b64 exec, exec, s[24:25]
	s_cbranch_execnz .LBB306_9
	s_branch .LBB306_6
.LBB306_12:
	s_or_b64 exec, exec, s[4:5]
	s_mov_b64 s[4:5], 0
.LBB306_13:
	s_andn2_b64 vcc, exec, s[4:5]
	s_cbranch_vccnz .LBB306_23
; %bb.14:
	s_and_b64 exec, exec, s[0:1]
	s_cbranch_execz .LBB306_23
; %bb.15:
	v_subrev_u32_e32 v16, s16, v7
	s_mov_b64 s[0:1], 0
	v_mov_b32_e32 v17, s3
	v_mov_b32_e32 v18, s9
	s_branch .LBB306_17
.LBB306_16:                             ;   in Loop: Header=BB306_17 Depth=1
	s_or_b64 exec, exec, s[4:5]
	v_add_u32_e32 v6, s17, v6
	v_cmp_le_i32_e32 vcc, s19, v6
	s_or_b64 s[0:1], vcc, s[0:1]
	s_andn2_b64 exec, exec, s[0:1]
	s_cbranch_execz .LBB306_23
.LBB306_17:                             ; =>This Loop Header: Depth=1
                                        ;     Child Loop BB306_20 Depth 2
                                        ;       Child Loop BB306_22 Depth 3
	v_ashrrev_i32_e32 v7, 31, v6
	v_lshlrev_b64 v[0:1], 2, v[6:7]
	v_add_co_u32_e32 v2, vcc, s2, v0
	v_addc_co_u32_e32 v3, vcc, v17, v1, vcc
	v_add_co_u32_e32 v0, vcc, s8, v0
	v_addc_co_u32_e32 v1, vcc, v18, v1, vcc
	global_load_dword v8, v[0:1], off
	global_load_dword v9, v[2:3], off
	s_waitcnt vmcnt(1)
	v_subrev_u32_e32 v19, s16, v8
	s_waitcnt vmcnt(0)
	v_add_u32_e32 v8, v9, v16
	v_cmp_lt_i32_e32 vcc, v8, v19
	s_and_saveexec_b64 s[4:5], vcc
	s_cbranch_execz .LBB306_16
; %bb.18:                               ;   in Loop: Header=BB306_17 Depth=1
	v_lshlrev_b64 v[0:1], 3, v[6:7]
	v_mov_b32_e32 v2, s15
	v_add_co_u32_e32 v0, vcc, s14, v0
	v_addc_co_u32_e32 v1, vcc, v2, v1, vcc
	global_load_dwordx2 v[0:1], v[0:1], off
	s_mov_b64 s[6:7], 0
	s_waitcnt vmcnt(0)
	v_mul_f64 v[10:11], v[4:5], v[0:1]
	s_branch .LBB306_20
.LBB306_19:                             ;   in Loop: Header=BB306_20 Depth=2
	s_or_b64 exec, exec, s[22:23]
	v_add_u32_e32 v8, 32, v8
	v_cmp_ge_i32_e32 vcc, v8, v19
	s_or_b64 s[6:7], vcc, s[6:7]
	s_andn2_b64 exec, exec, s[6:7]
	s_cbranch_execz .LBB306_16
.LBB306_20:                             ;   Parent Loop BB306_17 Depth=1
                                        ; =>  This Loop Header: Depth=2
                                        ;       Child Loop BB306_22 Depth 3
	v_ashrrev_i32_e32 v9, 31, v8
	v_lshlrev_b64 v[0:1], 2, v[8:9]
	v_mov_b32_e32 v3, s11
	v_add_co_u32_e32 v2, vcc, s10, v0
	v_addc_co_u32_e32 v3, vcc, v3, v1, vcc
	global_load_dword v2, v[2:3], off
	s_waitcnt vmcnt(0)
	v_subrev_u32_e32 v2, s16, v2
	v_cmp_ne_u32_e32 vcc, v2, v6
	s_and_saveexec_b64 s[22:23], vcc
	s_cbranch_execz .LBB306_19
; %bb.21:                               ;   in Loop: Header=BB306_20 Depth=2
	v_mov_b32_e32 v3, s13
	v_add_co_u32_e32 v0, vcc, s12, v0
	v_addc_co_u32_e32 v1, vcc, v3, v1, vcc
	v_ashrrev_i32_e32 v3, 31, v2
	v_lshlrev_b64 v[2:3], 3, v[2:3]
	v_mov_b32_e32 v7, s21
	global_load_dword v0, v[0:1], off
	v_add_co_u32_e32 v12, vcc, s20, v2
	v_addc_co_u32_e32 v13, vcc, v7, v3, vcc
	global_load_dwordx2 v[2:3], v[12:13], off
	s_mov_b64 s[24:25], 0
	s_waitcnt vmcnt(1)
	v_cvt_f64_f32_e32 v[0:1], v0
	v_mul_f64 v[14:15], v[10:11], v[0:1]
.LBB306_22:                             ;   Parent Loop BB306_17 Depth=1
                                        ;     Parent Loop BB306_20 Depth=2
                                        ; =>    This Inner Loop Header: Depth=3
	s_waitcnt vmcnt(0)
	v_add_f64 v[0:1], v[2:3], v[14:15]
	global_atomic_cmpswap_x2 v[0:1], v[12:13], v[0:3], off glc
	s_waitcnt vmcnt(0)
	v_cmp_eq_u64_e32 vcc, v[0:1], v[2:3]
	s_or_b64 s[24:25], vcc, s[24:25]
	v_pk_mov_b32 v[2:3], v[0:1], v[0:1] op_sel:[0,1]
	s_andn2_b64 exec, exec, s[24:25]
	s_cbranch_execnz .LBB306_22
	s_branch .LBB306_19
.LBB306_23:
	s_endpgm
	.section	.rodata,"a",@progbits
	.p2align	6, 0x0
	.amdhsa_kernel _ZN9rocsparseL21csrmvt_general_kernelILj256ELj32EiifdddEEvbbT2_NS_24const_host_device_scalarIT6_EEPKT1_S7_PKS1_PKT3_PKT4_PT5_21rocsparse_index_base_b
		.amdhsa_group_segment_fixed_size 0
		.amdhsa_private_segment_fixed_size 0
		.amdhsa_kernarg_size 328
		.amdhsa_user_sgpr_count 6
		.amdhsa_user_sgpr_private_segment_buffer 1
		.amdhsa_user_sgpr_dispatch_ptr 0
		.amdhsa_user_sgpr_queue_ptr 0
		.amdhsa_user_sgpr_kernarg_segment_ptr 1
		.amdhsa_user_sgpr_dispatch_id 0
		.amdhsa_user_sgpr_flat_scratch_init 0
		.amdhsa_user_sgpr_kernarg_preload_length 0
		.amdhsa_user_sgpr_kernarg_preload_offset 0
		.amdhsa_user_sgpr_private_segment_size 0
		.amdhsa_uses_dynamic_stack 0
		.amdhsa_system_sgpr_private_segment_wavefront_offset 0
		.amdhsa_system_sgpr_workgroup_id_x 1
		.amdhsa_system_sgpr_workgroup_id_y 0
		.amdhsa_system_sgpr_workgroup_id_z 0
		.amdhsa_system_sgpr_workgroup_info 0
		.amdhsa_system_vgpr_workitem_id 0
		.amdhsa_next_free_vgpr 22
		.amdhsa_next_free_sgpr 28
		.amdhsa_accum_offset 24
		.amdhsa_reserve_vcc 1
		.amdhsa_reserve_flat_scratch 0
		.amdhsa_float_round_mode_32 0
		.amdhsa_float_round_mode_16_64 0
		.amdhsa_float_denorm_mode_32 3
		.amdhsa_float_denorm_mode_16_64 3
		.amdhsa_dx10_clamp 1
		.amdhsa_ieee_mode 1
		.amdhsa_fp16_overflow 0
		.amdhsa_tg_split 0
		.amdhsa_exception_fp_ieee_invalid_op 0
		.amdhsa_exception_fp_denorm_src 0
		.amdhsa_exception_fp_ieee_div_zero 0
		.amdhsa_exception_fp_ieee_overflow 0
		.amdhsa_exception_fp_ieee_underflow 0
		.amdhsa_exception_fp_ieee_inexact 0
		.amdhsa_exception_int_div_zero 0
	.end_amdhsa_kernel
	.section	.text._ZN9rocsparseL21csrmvt_general_kernelILj256ELj32EiifdddEEvbbT2_NS_24const_host_device_scalarIT6_EEPKT1_S7_PKS1_PKT3_PKT4_PT5_21rocsparse_index_base_b,"axG",@progbits,_ZN9rocsparseL21csrmvt_general_kernelILj256ELj32EiifdddEEvbbT2_NS_24const_host_device_scalarIT6_EEPKT1_S7_PKS1_PKT3_PKT4_PT5_21rocsparse_index_base_b,comdat
.Lfunc_end306:
	.size	_ZN9rocsparseL21csrmvt_general_kernelILj256ELj32EiifdddEEvbbT2_NS_24const_host_device_scalarIT6_EEPKT1_S7_PKS1_PKT3_PKT4_PT5_21rocsparse_index_base_b, .Lfunc_end306-_ZN9rocsparseL21csrmvt_general_kernelILj256ELj32EiifdddEEvbbT2_NS_24const_host_device_scalarIT6_EEPKT1_S7_PKS1_PKT3_PKT4_PT5_21rocsparse_index_base_b
                                        ; -- End function
	.section	.AMDGPU.csdata,"",@progbits
; Kernel info:
; codeLenInByte = 908
; NumSgprs: 32
; NumVgprs: 22
; NumAgprs: 0
; TotalNumVgprs: 22
; ScratchSize: 0
; MemoryBound: 0
; FloatMode: 240
; IeeeMode: 1
; LDSByteSize: 0 bytes/workgroup (compile time only)
; SGPRBlocks: 3
; VGPRBlocks: 2
; NumSGPRsForWavesPerEU: 32
; NumVGPRsForWavesPerEU: 22
; AccumOffset: 24
; Occupancy: 8
; WaveLimiterHint : 1
; COMPUTE_PGM_RSRC2:SCRATCH_EN: 0
; COMPUTE_PGM_RSRC2:USER_SGPR: 6
; COMPUTE_PGM_RSRC2:TRAP_HANDLER: 0
; COMPUTE_PGM_RSRC2:TGID_X_EN: 1
; COMPUTE_PGM_RSRC2:TGID_Y_EN: 0
; COMPUTE_PGM_RSRC2:TGID_Z_EN: 0
; COMPUTE_PGM_RSRC2:TIDIG_COMP_CNT: 0
; COMPUTE_PGM_RSRC3_GFX90A:ACCUM_OFFSET: 5
; COMPUTE_PGM_RSRC3_GFX90A:TG_SPLIT: 0
	.section	.text._ZN9rocsparseL21csrmvt_general_kernelILj256ELj64EiifdddEEvbbT2_NS_24const_host_device_scalarIT6_EEPKT1_S7_PKS1_PKT3_PKT4_PT5_21rocsparse_index_base_b,"axG",@progbits,_ZN9rocsparseL21csrmvt_general_kernelILj256ELj64EiifdddEEvbbT2_NS_24const_host_device_scalarIT6_EEPKT1_S7_PKS1_PKT3_PKT4_PT5_21rocsparse_index_base_b,comdat
	.globl	_ZN9rocsparseL21csrmvt_general_kernelILj256ELj64EiifdddEEvbbT2_NS_24const_host_device_scalarIT6_EEPKT1_S7_PKS1_PKT3_PKT4_PT5_21rocsparse_index_base_b ; -- Begin function _ZN9rocsparseL21csrmvt_general_kernelILj256ELj64EiifdddEEvbbT2_NS_24const_host_device_scalarIT6_EEPKT1_S7_PKS1_PKT3_PKT4_PT5_21rocsparse_index_base_b
	.p2align	8
	.type	_ZN9rocsparseL21csrmvt_general_kernelILj256ELj64EiifdddEEvbbT2_NS_24const_host_device_scalarIT6_EEPKT1_S7_PKS1_PKT3_PKT4_PT5_21rocsparse_index_base_b,@function
_ZN9rocsparseL21csrmvt_general_kernelILj256ELj64EiifdddEEvbbT2_NS_24const_host_device_scalarIT6_EEPKT1_S7_PKS1_PKT3_PKT4_PT5_21rocsparse_index_base_b: ; @_ZN9rocsparseL21csrmvt_general_kernelILj256ELj64EiifdddEEvbbT2_NS_24const_host_device_scalarIT6_EEPKT1_S7_PKS1_PKT3_PKT4_PT5_21rocsparse_index_base_b
; %bb.0:
	s_load_dwordx2 s[16:17], s[4:5], 0x40
	s_load_dwordx4 s[0:3], s[4:5], 0x8
	s_waitcnt lgkmcnt(0)
	s_bitcmp1_b32 s17, 0
	s_cselect_b64 s[8:9], -1, 0
	s_and_b64 vcc, exec, s[8:9]
	v_pk_mov_b32 v[4:5], s[0:1], s[0:1] op_sel:[0,1]
	s_cbranch_vccnz .LBB307_2
; %bb.1:
	v_pk_mov_b32 v[2:3], s[0:1], s[0:1] op_sel:[0,1]
	flat_load_dwordx2 v[4:5], v[2:3]
.LBB307_2:
	s_waitcnt vmcnt(0) lgkmcnt(0)
	v_cmp_neq_f64_e32 vcc, 0, v[4:5]
	s_and_saveexec_b64 s[0:1], vcc
	s_cbranch_execz .LBB307_23
; %bb.3:
	s_load_dwordx2 s[18:19], s[4:5], 0x0
	s_load_dword s0, s[4:5], 0x48
	s_load_dwordx2 s[20:21], s[4:5], 0x38
	s_load_dwordx8 s[8:15], s[4:5], 0x18
	v_and_b32_e32 v7, 63, v0
	v_lshl_or_b32 v0, s6, 8, v0
	s_waitcnt lgkmcnt(0)
	s_and_b32 s1, s18, 1
	s_lshl_b32 s17, s0, 2
	v_lshrrev_b32_e32 v6, 6, v0
	s_cmp_eq_u32 s1, 0
	v_cmp_gt_i32_e64 s[0:1], s19, v6
	s_mov_b64 s[4:5], -1
	s_cbranch_scc0 .LBB307_13
; %bb.4:
	s_and_saveexec_b64 s[4:5], s[0:1]
	s_cbranch_execz .LBB307_12
; %bb.5:
	v_subrev_u32_e32 v18, s16, v7
	s_mov_b64 s[6:7], 0
	v_mov_b32_e32 v19, s3
	v_mov_b32_e32 v20, s9
	;; [unrolled: 1-line block ×3, first 2 shown]
	s_branch .LBB307_7
.LBB307_6:                              ;   in Loop: Header=BB307_7 Depth=1
	s_or_b64 exec, exec, s[22:23]
	v_add_u32_e32 v8, s17, v8
	v_cmp_le_i32_e32 vcc, s19, v8
	s_or_b64 s[6:7], vcc, s[6:7]
	s_andn2_b64 exec, exec, s[6:7]
	s_cbranch_execz .LBB307_12
.LBB307_7:                              ; =>This Loop Header: Depth=1
                                        ;     Child Loop BB307_9 Depth 2
                                        ;       Child Loop BB307_10 Depth 3
	v_ashrrev_i32_e32 v9, 31, v8
	v_lshlrev_b64 v[0:1], 2, v[8:9]
	v_add_co_u32_e32 v2, vcc, s2, v0
	v_addc_co_u32_e32 v3, vcc, v19, v1, vcc
	v_add_co_u32_e32 v0, vcc, s8, v0
	v_addc_co_u32_e32 v1, vcc, v20, v1, vcc
	global_load_dword v10, v[0:1], off
	global_load_dword v11, v[2:3], off
	s_waitcnt vmcnt(1)
	v_subrev_u32_e32 v21, s16, v10
	s_waitcnt vmcnt(0)
	v_add_u32_e32 v10, v11, v18
	v_cmp_lt_i32_e32 vcc, v10, v21
	s_and_saveexec_b64 s[22:23], vcc
	s_cbranch_execz .LBB307_6
; %bb.8:                                ;   in Loop: Header=BB307_7 Depth=1
	v_lshlrev_b64 v[0:1], 3, v[8:9]
	v_mov_b32_e32 v2, s15
	v_add_co_u32_e32 v0, vcc, s14, v0
	v_addc_co_u32_e32 v1, vcc, v2, v1, vcc
	global_load_dwordx2 v[0:1], v[0:1], off
	s_mov_b64 s[24:25], 0
	s_waitcnt vmcnt(0)
	v_mul_f64 v[12:13], v[4:5], v[0:1]
.LBB307_9:                              ;   Parent Loop BB307_7 Depth=1
                                        ; =>  This Loop Header: Depth=2
                                        ;       Child Loop BB307_10 Depth 3
	v_ashrrev_i32_e32 v11, 31, v10
	v_lshlrev_b64 v[0:1], 2, v[10:11]
	v_mov_b32_e32 v3, s11
	v_add_co_u32_e32 v2, vcc, s10, v0
	v_addc_co_u32_e32 v3, vcc, v3, v1, vcc
	global_load_dword v2, v[2:3], off
	v_mov_b32_e32 v3, s13
	v_add_co_u32_e32 v0, vcc, s12, v0
	v_addc_co_u32_e32 v1, vcc, v3, v1, vcc
	global_load_dword v11, v[0:1], off
	v_mov_b32_e32 v9, s21
	s_mov_b64 s[26:27], 0
	s_waitcnt vmcnt(1)
	v_subrev_u32_e32 v0, s16, v2
	v_ashrrev_i32_e32 v1, 31, v0
	v_lshlrev_b64 v[0:1], 3, v[0:1]
	v_add_co_u32_e32 v14, vcc, s20, v0
	v_addc_co_u32_e32 v15, vcc, v9, v1, vcc
	global_load_dwordx2 v[2:3], v[14:15], off
	s_waitcnt vmcnt(1)
	v_cvt_f64_f32_e32 v[0:1], v11
	v_mul_f64 v[16:17], v[12:13], v[0:1]
.LBB307_10:                             ;   Parent Loop BB307_7 Depth=1
                                        ;     Parent Loop BB307_9 Depth=2
                                        ; =>    This Inner Loop Header: Depth=3
	s_waitcnt vmcnt(0)
	v_add_f64 v[0:1], v[2:3], v[16:17]
	global_atomic_cmpswap_x2 v[0:1], v[14:15], v[0:3], off glc
	s_waitcnt vmcnt(0)
	v_cmp_eq_u64_e32 vcc, v[0:1], v[2:3]
	s_or_b64 s[26:27], vcc, s[26:27]
	v_pk_mov_b32 v[2:3], v[0:1], v[0:1] op_sel:[0,1]
	s_andn2_b64 exec, exec, s[26:27]
	s_cbranch_execnz .LBB307_10
; %bb.11:                               ;   in Loop: Header=BB307_9 Depth=2
	s_or_b64 exec, exec, s[26:27]
	v_add_u32_e32 v10, 64, v10
	v_cmp_ge_i32_e32 vcc, v10, v21
	s_or_b64 s[24:25], vcc, s[24:25]
	s_andn2_b64 exec, exec, s[24:25]
	s_cbranch_execnz .LBB307_9
	s_branch .LBB307_6
.LBB307_12:
	s_or_b64 exec, exec, s[4:5]
	s_mov_b64 s[4:5], 0
.LBB307_13:
	s_andn2_b64 vcc, exec, s[4:5]
	s_cbranch_vccnz .LBB307_23
; %bb.14:
	s_and_b64 exec, exec, s[0:1]
	s_cbranch_execz .LBB307_23
; %bb.15:
	v_subrev_u32_e32 v16, s16, v7
	s_mov_b64 s[0:1], 0
	v_mov_b32_e32 v17, s3
	v_mov_b32_e32 v18, s9
	s_branch .LBB307_17
.LBB307_16:                             ;   in Loop: Header=BB307_17 Depth=1
	s_or_b64 exec, exec, s[4:5]
	v_add_u32_e32 v6, s17, v6
	v_cmp_le_i32_e32 vcc, s19, v6
	s_or_b64 s[0:1], vcc, s[0:1]
	s_andn2_b64 exec, exec, s[0:1]
	s_cbranch_execz .LBB307_23
.LBB307_17:                             ; =>This Loop Header: Depth=1
                                        ;     Child Loop BB307_20 Depth 2
                                        ;       Child Loop BB307_22 Depth 3
	v_ashrrev_i32_e32 v7, 31, v6
	v_lshlrev_b64 v[0:1], 2, v[6:7]
	v_add_co_u32_e32 v2, vcc, s2, v0
	v_addc_co_u32_e32 v3, vcc, v17, v1, vcc
	v_add_co_u32_e32 v0, vcc, s8, v0
	v_addc_co_u32_e32 v1, vcc, v18, v1, vcc
	global_load_dword v8, v[0:1], off
	global_load_dword v9, v[2:3], off
	s_waitcnt vmcnt(1)
	v_subrev_u32_e32 v19, s16, v8
	s_waitcnt vmcnt(0)
	v_add_u32_e32 v8, v9, v16
	v_cmp_lt_i32_e32 vcc, v8, v19
	s_and_saveexec_b64 s[4:5], vcc
	s_cbranch_execz .LBB307_16
; %bb.18:                               ;   in Loop: Header=BB307_17 Depth=1
	v_lshlrev_b64 v[0:1], 3, v[6:7]
	v_mov_b32_e32 v2, s15
	v_add_co_u32_e32 v0, vcc, s14, v0
	v_addc_co_u32_e32 v1, vcc, v2, v1, vcc
	global_load_dwordx2 v[0:1], v[0:1], off
	s_mov_b64 s[6:7], 0
	s_waitcnt vmcnt(0)
	v_mul_f64 v[10:11], v[4:5], v[0:1]
	s_branch .LBB307_20
.LBB307_19:                             ;   in Loop: Header=BB307_20 Depth=2
	s_or_b64 exec, exec, s[22:23]
	v_add_u32_e32 v8, 64, v8
	v_cmp_ge_i32_e32 vcc, v8, v19
	s_or_b64 s[6:7], vcc, s[6:7]
	s_andn2_b64 exec, exec, s[6:7]
	s_cbranch_execz .LBB307_16
.LBB307_20:                             ;   Parent Loop BB307_17 Depth=1
                                        ; =>  This Loop Header: Depth=2
                                        ;       Child Loop BB307_22 Depth 3
	v_ashrrev_i32_e32 v9, 31, v8
	v_lshlrev_b64 v[0:1], 2, v[8:9]
	v_mov_b32_e32 v3, s11
	v_add_co_u32_e32 v2, vcc, s10, v0
	v_addc_co_u32_e32 v3, vcc, v3, v1, vcc
	global_load_dword v2, v[2:3], off
	s_waitcnt vmcnt(0)
	v_subrev_u32_e32 v2, s16, v2
	v_cmp_ne_u32_e32 vcc, v2, v6
	s_and_saveexec_b64 s[22:23], vcc
	s_cbranch_execz .LBB307_19
; %bb.21:                               ;   in Loop: Header=BB307_20 Depth=2
	v_mov_b32_e32 v3, s13
	v_add_co_u32_e32 v0, vcc, s12, v0
	v_addc_co_u32_e32 v1, vcc, v3, v1, vcc
	v_ashrrev_i32_e32 v3, 31, v2
	v_lshlrev_b64 v[2:3], 3, v[2:3]
	v_mov_b32_e32 v7, s21
	global_load_dword v0, v[0:1], off
	v_add_co_u32_e32 v12, vcc, s20, v2
	v_addc_co_u32_e32 v13, vcc, v7, v3, vcc
	global_load_dwordx2 v[2:3], v[12:13], off
	s_mov_b64 s[24:25], 0
	s_waitcnt vmcnt(1)
	v_cvt_f64_f32_e32 v[0:1], v0
	v_mul_f64 v[14:15], v[10:11], v[0:1]
.LBB307_22:                             ;   Parent Loop BB307_17 Depth=1
                                        ;     Parent Loop BB307_20 Depth=2
                                        ; =>    This Inner Loop Header: Depth=3
	s_waitcnt vmcnt(0)
	v_add_f64 v[0:1], v[2:3], v[14:15]
	global_atomic_cmpswap_x2 v[0:1], v[12:13], v[0:3], off glc
	s_waitcnt vmcnt(0)
	v_cmp_eq_u64_e32 vcc, v[0:1], v[2:3]
	s_or_b64 s[24:25], vcc, s[24:25]
	v_pk_mov_b32 v[2:3], v[0:1], v[0:1] op_sel:[0,1]
	s_andn2_b64 exec, exec, s[24:25]
	s_cbranch_execnz .LBB307_22
	s_branch .LBB307_19
.LBB307_23:
	s_endpgm
	.section	.rodata,"a",@progbits
	.p2align	6, 0x0
	.amdhsa_kernel _ZN9rocsparseL21csrmvt_general_kernelILj256ELj64EiifdddEEvbbT2_NS_24const_host_device_scalarIT6_EEPKT1_S7_PKS1_PKT3_PKT4_PT5_21rocsparse_index_base_b
		.amdhsa_group_segment_fixed_size 0
		.amdhsa_private_segment_fixed_size 0
		.amdhsa_kernarg_size 328
		.amdhsa_user_sgpr_count 6
		.amdhsa_user_sgpr_private_segment_buffer 1
		.amdhsa_user_sgpr_dispatch_ptr 0
		.amdhsa_user_sgpr_queue_ptr 0
		.amdhsa_user_sgpr_kernarg_segment_ptr 1
		.amdhsa_user_sgpr_dispatch_id 0
		.amdhsa_user_sgpr_flat_scratch_init 0
		.amdhsa_user_sgpr_kernarg_preload_length 0
		.amdhsa_user_sgpr_kernarg_preload_offset 0
		.amdhsa_user_sgpr_private_segment_size 0
		.amdhsa_uses_dynamic_stack 0
		.amdhsa_system_sgpr_private_segment_wavefront_offset 0
		.amdhsa_system_sgpr_workgroup_id_x 1
		.amdhsa_system_sgpr_workgroup_id_y 0
		.amdhsa_system_sgpr_workgroup_id_z 0
		.amdhsa_system_sgpr_workgroup_info 0
		.amdhsa_system_vgpr_workitem_id 0
		.amdhsa_next_free_vgpr 22
		.amdhsa_next_free_sgpr 28
		.amdhsa_accum_offset 24
		.amdhsa_reserve_vcc 1
		.amdhsa_reserve_flat_scratch 0
		.amdhsa_float_round_mode_32 0
		.amdhsa_float_round_mode_16_64 0
		.amdhsa_float_denorm_mode_32 3
		.amdhsa_float_denorm_mode_16_64 3
		.amdhsa_dx10_clamp 1
		.amdhsa_ieee_mode 1
		.amdhsa_fp16_overflow 0
		.amdhsa_tg_split 0
		.amdhsa_exception_fp_ieee_invalid_op 0
		.amdhsa_exception_fp_denorm_src 0
		.amdhsa_exception_fp_ieee_div_zero 0
		.amdhsa_exception_fp_ieee_overflow 0
		.amdhsa_exception_fp_ieee_underflow 0
		.amdhsa_exception_fp_ieee_inexact 0
		.amdhsa_exception_int_div_zero 0
	.end_amdhsa_kernel
	.section	.text._ZN9rocsparseL21csrmvt_general_kernelILj256ELj64EiifdddEEvbbT2_NS_24const_host_device_scalarIT6_EEPKT1_S7_PKS1_PKT3_PKT4_PT5_21rocsparse_index_base_b,"axG",@progbits,_ZN9rocsparseL21csrmvt_general_kernelILj256ELj64EiifdddEEvbbT2_NS_24const_host_device_scalarIT6_EEPKT1_S7_PKS1_PKT3_PKT4_PT5_21rocsparse_index_base_b,comdat
.Lfunc_end307:
	.size	_ZN9rocsparseL21csrmvt_general_kernelILj256ELj64EiifdddEEvbbT2_NS_24const_host_device_scalarIT6_EEPKT1_S7_PKS1_PKT3_PKT4_PT5_21rocsparse_index_base_b, .Lfunc_end307-_ZN9rocsparseL21csrmvt_general_kernelILj256ELj64EiifdddEEvbbT2_NS_24const_host_device_scalarIT6_EEPKT1_S7_PKS1_PKT3_PKT4_PT5_21rocsparse_index_base_b
                                        ; -- End function
	.section	.AMDGPU.csdata,"",@progbits
; Kernel info:
; codeLenInByte = 908
; NumSgprs: 32
; NumVgprs: 22
; NumAgprs: 0
; TotalNumVgprs: 22
; ScratchSize: 0
; MemoryBound: 0
; FloatMode: 240
; IeeeMode: 1
; LDSByteSize: 0 bytes/workgroup (compile time only)
; SGPRBlocks: 3
; VGPRBlocks: 2
; NumSGPRsForWavesPerEU: 32
; NumVGPRsForWavesPerEU: 22
; AccumOffset: 24
; Occupancy: 8
; WaveLimiterHint : 1
; COMPUTE_PGM_RSRC2:SCRATCH_EN: 0
; COMPUTE_PGM_RSRC2:USER_SGPR: 6
; COMPUTE_PGM_RSRC2:TRAP_HANDLER: 0
; COMPUTE_PGM_RSRC2:TGID_X_EN: 1
; COMPUTE_PGM_RSRC2:TGID_Y_EN: 0
; COMPUTE_PGM_RSRC2:TGID_Z_EN: 0
; COMPUTE_PGM_RSRC2:TIDIG_COMP_CNT: 0
; COMPUTE_PGM_RSRC3_GFX90A:ACCUM_OFFSET: 5
; COMPUTE_PGM_RSRC3_GFX90A:TG_SPLIT: 0
	.section	.text._ZN9rocsparseL21csrmvn_general_kernelILj256ELj2ElifdddEEvbT2_NS_24const_host_device_scalarIT6_EEPKT1_S7_PKS1_PKT3_PKT4_S4_PT5_21rocsparse_index_base_b,"axG",@progbits,_ZN9rocsparseL21csrmvn_general_kernelILj256ELj2ElifdddEEvbT2_NS_24const_host_device_scalarIT6_EEPKT1_S7_PKS1_PKT3_PKT4_S4_PT5_21rocsparse_index_base_b,comdat
	.globl	_ZN9rocsparseL21csrmvn_general_kernelILj256ELj2ElifdddEEvbT2_NS_24const_host_device_scalarIT6_EEPKT1_S7_PKS1_PKT3_PKT4_S4_PT5_21rocsparse_index_base_b ; -- Begin function _ZN9rocsparseL21csrmvn_general_kernelILj256ELj2ElifdddEEvbT2_NS_24const_host_device_scalarIT6_EEPKT1_S7_PKS1_PKT3_PKT4_S4_PT5_21rocsparse_index_base_b
	.p2align	8
	.type	_ZN9rocsparseL21csrmvn_general_kernelILj256ELj2ElifdddEEvbT2_NS_24const_host_device_scalarIT6_EEPKT1_S7_PKS1_PKT3_PKT4_S4_PT5_21rocsparse_index_base_b,@function
_ZN9rocsparseL21csrmvn_general_kernelILj256ELj2ElifdddEEvbT2_NS_24const_host_device_scalarIT6_EEPKT1_S7_PKS1_PKT3_PKT4_S4_PT5_21rocsparse_index_base_b: ; @_ZN9rocsparseL21csrmvn_general_kernelILj256ELj2ElifdddEEvbT2_NS_24const_host_device_scalarIT6_EEPKT1_S7_PKS1_PKT3_PKT4_S4_PT5_21rocsparse_index_base_b
; %bb.0:
	s_load_dwordx2 s[20:21], s[4:5], 0x48
	s_load_dwordx4 s[16:19], s[4:5], 0x8
	s_load_dwordx2 s[0:1], s[4:5], 0x38
	s_waitcnt lgkmcnt(0)
	s_bitcmp1_b32 s21, 0
	s_cselect_b64 s[8:9], -1, 0
	s_xor_b64 s[2:3], s[8:9], -1
	s_and_b64 vcc, exec, s[8:9]
	v_pk_mov_b32 v[2:3], s[16:17], s[16:17] op_sel:[0,1]
	s_cbranch_vccnz .LBB308_2
; %bb.1:
	v_pk_mov_b32 v[2:3], s[16:17], s[16:17] op_sel:[0,1]
	flat_load_dwordx2 v[2:3], v[2:3]
.LBB308_2:
	s_andn2_b64 vcc, exec, s[2:3]
	v_pk_mov_b32 v[4:5], s[0:1], s[0:1] op_sel:[0,1]
	s_cbranch_vccnz .LBB308_4
; %bb.3:
	v_pk_mov_b32 v[4:5], s[0:1], s[0:1] op_sel:[0,1]
	flat_load_dwordx2 v[4:5], v[4:5]
.LBB308_4:
	s_waitcnt vmcnt(0) lgkmcnt(0)
	v_cmp_neq_f64_e32 vcc, 0, v[2:3]
	v_cmp_neq_f64_e64 s[0:1], 1.0, v[4:5]
	s_or_b64 s[0:1], vcc, s[0:1]
	s_and_saveexec_b64 s[2:3], s[0:1]
	s_cbranch_execz .LBB308_16
; %bb.5:
	s_load_dword s21, s[4:5], 0x4
	v_lshl_or_b32 v1, s6, 8, v0
	v_lshrrev_b32_e32 v6, 1, v1
	s_waitcnt lgkmcnt(0)
	v_cmp_gt_i32_e32 vcc, s21, v6
	s_and_b64 exec, exec, vcc
	s_cbranch_execz .LBB308_16
; %bb.6:
	s_load_dword s0, s[4:5], 0x50
	s_load_dwordx2 s[6:7], s[4:5], 0x40
	s_load_dwordx8 s[8:15], s[4:5], 0x18
	v_and_b32_e32 v0, 1, v0
	v_subrev_co_u32_e32 v18, vcc, s20, v0
	s_waitcnt lgkmcnt(0)
	s_lshl_b32 s22, s0, 7
	v_subb_co_u32_e64 v19, s[0:1], 0, 0, vcc
	s_ashr_i32 s1, s20, 31
	s_mov_b32 s0, s20
	s_lshl_b64 s[0:1], s[0:1], 3
	s_sub_u32 s23, s14, s0
	s_mov_b32 s2, 0
	s_subb_u32 s3, s15, s1
	v_cmp_eq_u32_e32 vcc, 1, v0
	s_mov_b64 s[4:5], 0
	v_cmp_neq_f64_e64 s[0:1], 0, v[4:5]
	v_mov_b32_e32 v20, s19
	v_mov_b32_e32 v21, s9
	;; [unrolled: 1-line block ×4, first 2 shown]
	s_branch .LBB308_9
.LBB308_7:                              ;   in Loop: Header=BB308_9 Depth=1
	s_or_b64 exec, exec, s[2:3]
	global_store_dwordx2 v[0:1], v[8:9], off
.LBB308_8:                              ;   in Loop: Header=BB308_9 Depth=1
	s_or_b64 exec, exec, s[14:15]
	v_add_u32_e32 v6, s22, v6
	v_cmp_le_i32_e64 s[2:3], s21, v6
	s_or_b64 s[4:5], s[2:3], s[4:5]
	s_andn2_b64 exec, exec, s[4:5]
	s_cbranch_execz .LBB308_16
.LBB308_9:                              ; =>This Loop Header: Depth=1
                                        ;     Child Loop BB308_11 Depth 2
	v_ashrrev_i32_e32 v7, 31, v6
	v_lshlrev_b64 v[0:1], 3, v[6:7]
	v_add_co_u32_e64 v8, s[2:3], s8, v0
	v_addc_co_u32_e64 v9, s[2:3], v21, v1, s[2:3]
	global_load_dwordx2 v[8:9], v[8:9], off
	v_add_co_u32_e64 v10, s[2:3], s18, v0
	v_addc_co_u32_e64 v11, s[2:3], v20, v1, s[2:3]
	global_load_dwordx2 v[10:11], v[10:11], off
	v_pk_mov_b32 v[12:13], 0, 0
	s_waitcnt vmcnt(1)
	v_subrev_co_u32_e64 v8, s[2:3], s20, v8
	v_subb_co_u32_e64 v9, s[2:3], v9, v22, s[2:3]
	s_waitcnt vmcnt(0)
	v_add_co_u32_e64 v10, s[2:3], v10, v18
	v_addc_co_u32_e64 v11, s[2:3], v11, v19, s[2:3]
	v_cmp_lt_i64_e64 s[2:3], v[10:11], v[8:9]
	s_and_saveexec_b64 s[14:15], s[2:3]
	s_cbranch_execz .LBB308_13
; %bb.10:                               ;   in Loop: Header=BB308_9 Depth=1
	v_lshlrev_b64 v[12:13], 2, v[10:11]
	v_mov_b32_e32 v7, s13
	v_add_co_u32_e64 v14, s[2:3], s12, v12
	v_addc_co_u32_e64 v15, s[2:3], v7, v13, s[2:3]
	v_mov_b32_e32 v7, s11
	v_add_co_u32_e64 v16, s[2:3], s10, v12
	v_addc_co_u32_e64 v17, s[2:3], v7, v13, s[2:3]
	s_mov_b64 s[16:17], 0
	v_pk_mov_b32 v[12:13], 0, 0
.LBB308_11:                             ;   Parent Loop BB308_9 Depth=1
                                        ; =>  This Inner Loop Header: Depth=2
	global_load_dword v24, v[16:17], off
	global_load_dword v7, v[14:15], off
	s_waitcnt vmcnt(1)
	v_ashrrev_i32_e32 v25, 31, v24
	v_lshlrev_b64 v[24:25], 3, v[24:25]
	v_add_co_u32_e64 v24, s[2:3], s23, v24
	v_addc_co_u32_e64 v25, s[2:3], v23, v25, s[2:3]
	global_load_dwordx2 v[24:25], v[24:25], off
	v_add_co_u32_e64 v10, s[2:3], 2, v10
	v_addc_co_u32_e64 v11, s[2:3], 0, v11, s[2:3]
	v_add_co_u32_e64 v14, s[2:3], 8, v14
	v_addc_co_u32_e64 v15, s[2:3], 0, v15, s[2:3]
	;; [unrolled: 2-line block ×3, first 2 shown]
	s_waitcnt vmcnt(1)
	v_cvt_f64_f32_e32 v[26:27], v7
	v_cmp_ge_i64_e64 s[2:3], v[10:11], v[8:9]
	v_mul_f64 v[26:27], v[2:3], v[26:27]
	s_or_b64 s[16:17], s[2:3], s[16:17]
	s_waitcnt vmcnt(0)
	v_fmac_f64_e32 v[12:13], v[26:27], v[24:25]
	s_andn2_b64 exec, exec, s[16:17]
	s_cbranch_execnz .LBB308_11
; %bb.12:                               ;   in Loop: Header=BB308_9 Depth=1
	s_or_b64 exec, exec, s[16:17]
.LBB308_13:                             ;   in Loop: Header=BB308_9 Depth=1
	s_or_b64 exec, exec, s[14:15]
	v_mov_b32_dpp v8, v12 row_shr:1 row_mask:0xf bank_mask:0xf
	v_mov_b32_dpp v9, v13 row_shr:1 row_mask:0xf bank_mask:0xf
	s_and_saveexec_b64 s[14:15], vcc
	s_cbranch_execz .LBB308_8
; %bb.14:                               ;   in Loop: Header=BB308_9 Depth=1
	v_mov_b32_e32 v7, s7
	v_add_co_u32_e64 v0, s[2:3], s6, v0
	v_add_f64 v[8:9], v[12:13], v[8:9]
	v_addc_co_u32_e64 v1, s[2:3], v7, v1, s[2:3]
	s_and_saveexec_b64 s[2:3], s[0:1]
	s_cbranch_execz .LBB308_7
; %bb.15:                               ;   in Loop: Header=BB308_9 Depth=1
	global_load_dwordx2 v[10:11], v[0:1], off
	s_waitcnt vmcnt(0)
	v_fmac_f64_e32 v[8:9], v[4:5], v[10:11]
	s_branch .LBB308_7
.LBB308_16:
	s_endpgm
	.section	.rodata,"a",@progbits
	.p2align	6, 0x0
	.amdhsa_kernel _ZN9rocsparseL21csrmvn_general_kernelILj256ELj2ElifdddEEvbT2_NS_24const_host_device_scalarIT6_EEPKT1_S7_PKS1_PKT3_PKT4_S4_PT5_21rocsparse_index_base_b
		.amdhsa_group_segment_fixed_size 0
		.amdhsa_private_segment_fixed_size 0
		.amdhsa_kernarg_size 336
		.amdhsa_user_sgpr_count 6
		.amdhsa_user_sgpr_private_segment_buffer 1
		.amdhsa_user_sgpr_dispatch_ptr 0
		.amdhsa_user_sgpr_queue_ptr 0
		.amdhsa_user_sgpr_kernarg_segment_ptr 1
		.amdhsa_user_sgpr_dispatch_id 0
		.amdhsa_user_sgpr_flat_scratch_init 0
		.amdhsa_user_sgpr_kernarg_preload_length 0
		.amdhsa_user_sgpr_kernarg_preload_offset 0
		.amdhsa_user_sgpr_private_segment_size 0
		.amdhsa_uses_dynamic_stack 0
		.amdhsa_system_sgpr_private_segment_wavefront_offset 0
		.amdhsa_system_sgpr_workgroup_id_x 1
		.amdhsa_system_sgpr_workgroup_id_y 0
		.amdhsa_system_sgpr_workgroup_id_z 0
		.amdhsa_system_sgpr_workgroup_info 0
		.amdhsa_system_vgpr_workitem_id 0
		.amdhsa_next_free_vgpr 28
		.amdhsa_next_free_sgpr 24
		.amdhsa_accum_offset 28
		.amdhsa_reserve_vcc 1
		.amdhsa_reserve_flat_scratch 0
		.amdhsa_float_round_mode_32 0
		.amdhsa_float_round_mode_16_64 0
		.amdhsa_float_denorm_mode_32 3
		.amdhsa_float_denorm_mode_16_64 3
		.amdhsa_dx10_clamp 1
		.amdhsa_ieee_mode 1
		.amdhsa_fp16_overflow 0
		.amdhsa_tg_split 0
		.amdhsa_exception_fp_ieee_invalid_op 0
		.amdhsa_exception_fp_denorm_src 0
		.amdhsa_exception_fp_ieee_div_zero 0
		.amdhsa_exception_fp_ieee_overflow 0
		.amdhsa_exception_fp_ieee_underflow 0
		.amdhsa_exception_fp_ieee_inexact 0
		.amdhsa_exception_int_div_zero 0
	.end_amdhsa_kernel
	.section	.text._ZN9rocsparseL21csrmvn_general_kernelILj256ELj2ElifdddEEvbT2_NS_24const_host_device_scalarIT6_EEPKT1_S7_PKS1_PKT3_PKT4_S4_PT5_21rocsparse_index_base_b,"axG",@progbits,_ZN9rocsparseL21csrmvn_general_kernelILj256ELj2ElifdddEEvbT2_NS_24const_host_device_scalarIT6_EEPKT1_S7_PKS1_PKT3_PKT4_S4_PT5_21rocsparse_index_base_b,comdat
.Lfunc_end308:
	.size	_ZN9rocsparseL21csrmvn_general_kernelILj256ELj2ElifdddEEvbT2_NS_24const_host_device_scalarIT6_EEPKT1_S7_PKS1_PKT3_PKT4_S4_PT5_21rocsparse_index_base_b, .Lfunc_end308-_ZN9rocsparseL21csrmvn_general_kernelILj256ELj2ElifdddEEvbT2_NS_24const_host_device_scalarIT6_EEPKT1_S7_PKS1_PKT3_PKT4_S4_PT5_21rocsparse_index_base_b
                                        ; -- End function
	.section	.AMDGPU.csdata,"",@progbits
; Kernel info:
; codeLenInByte = 740
; NumSgprs: 28
; NumVgprs: 28
; NumAgprs: 0
; TotalNumVgprs: 28
; ScratchSize: 0
; MemoryBound: 1
; FloatMode: 240
; IeeeMode: 1
; LDSByteSize: 0 bytes/workgroup (compile time only)
; SGPRBlocks: 3
; VGPRBlocks: 3
; NumSGPRsForWavesPerEU: 28
; NumVGPRsForWavesPerEU: 28
; AccumOffset: 28
; Occupancy: 8
; WaveLimiterHint : 1
; COMPUTE_PGM_RSRC2:SCRATCH_EN: 0
; COMPUTE_PGM_RSRC2:USER_SGPR: 6
; COMPUTE_PGM_RSRC2:TRAP_HANDLER: 0
; COMPUTE_PGM_RSRC2:TGID_X_EN: 1
; COMPUTE_PGM_RSRC2:TGID_Y_EN: 0
; COMPUTE_PGM_RSRC2:TGID_Z_EN: 0
; COMPUTE_PGM_RSRC2:TIDIG_COMP_CNT: 0
; COMPUTE_PGM_RSRC3_GFX90A:ACCUM_OFFSET: 6
; COMPUTE_PGM_RSRC3_GFX90A:TG_SPLIT: 0
	.section	.text._ZN9rocsparseL21csrmvn_general_kernelILj256ELj4ElifdddEEvbT2_NS_24const_host_device_scalarIT6_EEPKT1_S7_PKS1_PKT3_PKT4_S4_PT5_21rocsparse_index_base_b,"axG",@progbits,_ZN9rocsparseL21csrmvn_general_kernelILj256ELj4ElifdddEEvbT2_NS_24const_host_device_scalarIT6_EEPKT1_S7_PKS1_PKT3_PKT4_S4_PT5_21rocsparse_index_base_b,comdat
	.globl	_ZN9rocsparseL21csrmvn_general_kernelILj256ELj4ElifdddEEvbT2_NS_24const_host_device_scalarIT6_EEPKT1_S7_PKS1_PKT3_PKT4_S4_PT5_21rocsparse_index_base_b ; -- Begin function _ZN9rocsparseL21csrmvn_general_kernelILj256ELj4ElifdddEEvbT2_NS_24const_host_device_scalarIT6_EEPKT1_S7_PKS1_PKT3_PKT4_S4_PT5_21rocsparse_index_base_b
	.p2align	8
	.type	_ZN9rocsparseL21csrmvn_general_kernelILj256ELj4ElifdddEEvbT2_NS_24const_host_device_scalarIT6_EEPKT1_S7_PKS1_PKT3_PKT4_S4_PT5_21rocsparse_index_base_b,@function
_ZN9rocsparseL21csrmvn_general_kernelILj256ELj4ElifdddEEvbT2_NS_24const_host_device_scalarIT6_EEPKT1_S7_PKS1_PKT3_PKT4_S4_PT5_21rocsparse_index_base_b: ; @_ZN9rocsparseL21csrmvn_general_kernelILj256ELj4ElifdddEEvbT2_NS_24const_host_device_scalarIT6_EEPKT1_S7_PKS1_PKT3_PKT4_S4_PT5_21rocsparse_index_base_b
; %bb.0:
	s_load_dwordx2 s[20:21], s[4:5], 0x48
	s_load_dwordx4 s[16:19], s[4:5], 0x8
	s_load_dwordx2 s[0:1], s[4:5], 0x38
	s_waitcnt lgkmcnt(0)
	s_bitcmp1_b32 s21, 0
	s_cselect_b64 s[8:9], -1, 0
	s_xor_b64 s[2:3], s[8:9], -1
	s_and_b64 vcc, exec, s[8:9]
	v_pk_mov_b32 v[2:3], s[16:17], s[16:17] op_sel:[0,1]
	s_cbranch_vccnz .LBB309_2
; %bb.1:
	v_pk_mov_b32 v[2:3], s[16:17], s[16:17] op_sel:[0,1]
	flat_load_dwordx2 v[2:3], v[2:3]
.LBB309_2:
	s_andn2_b64 vcc, exec, s[2:3]
	v_pk_mov_b32 v[4:5], s[0:1], s[0:1] op_sel:[0,1]
	s_cbranch_vccnz .LBB309_4
; %bb.3:
	v_pk_mov_b32 v[4:5], s[0:1], s[0:1] op_sel:[0,1]
	flat_load_dwordx2 v[4:5], v[4:5]
.LBB309_4:
	s_waitcnt vmcnt(0) lgkmcnt(0)
	v_cmp_neq_f64_e32 vcc, 0, v[2:3]
	v_cmp_neq_f64_e64 s[0:1], 1.0, v[4:5]
	s_or_b64 s[0:1], vcc, s[0:1]
	s_and_saveexec_b64 s[2:3], s[0:1]
	s_cbranch_execz .LBB309_16
; %bb.5:
	s_load_dword s21, s[4:5], 0x4
	v_lshl_or_b32 v1, s6, 8, v0
	v_lshrrev_b32_e32 v6, 2, v1
	s_waitcnt lgkmcnt(0)
	v_cmp_gt_i32_e32 vcc, s21, v6
	s_and_b64 exec, exec, vcc
	s_cbranch_execz .LBB309_16
; %bb.6:
	s_load_dword s0, s[4:5], 0x50
	s_load_dwordx2 s[6:7], s[4:5], 0x40
	s_load_dwordx8 s[8:15], s[4:5], 0x18
	v_and_b32_e32 v0, 3, v0
	v_subrev_co_u32_e32 v18, vcc, s20, v0
	s_waitcnt lgkmcnt(0)
	s_lshl_b32 s22, s0, 6
	v_subb_co_u32_e64 v19, s[0:1], 0, 0, vcc
	s_ashr_i32 s1, s20, 31
	s_mov_b32 s0, s20
	s_lshl_b64 s[0:1], s[0:1], 3
	s_sub_u32 s23, s14, s0
	s_mov_b32 s2, 0
	s_subb_u32 s3, s15, s1
	v_cmp_eq_u32_e32 vcc, 3, v0
	s_mov_b64 s[4:5], 0
	v_cmp_neq_f64_e64 s[0:1], 0, v[4:5]
	v_mov_b32_e32 v20, s19
	v_mov_b32_e32 v21, s9
	;; [unrolled: 1-line block ×4, first 2 shown]
	s_branch .LBB309_9
.LBB309_7:                              ;   in Loop: Header=BB309_9 Depth=1
	s_or_b64 exec, exec, s[2:3]
	global_store_dwordx2 v[0:1], v[8:9], off
.LBB309_8:                              ;   in Loop: Header=BB309_9 Depth=1
	s_or_b64 exec, exec, s[14:15]
	v_add_u32_e32 v6, s22, v6
	v_cmp_le_i32_e64 s[2:3], s21, v6
	s_or_b64 s[4:5], s[2:3], s[4:5]
	s_andn2_b64 exec, exec, s[4:5]
	s_cbranch_execz .LBB309_16
.LBB309_9:                              ; =>This Loop Header: Depth=1
                                        ;     Child Loop BB309_11 Depth 2
	v_ashrrev_i32_e32 v7, 31, v6
	v_lshlrev_b64 v[0:1], 3, v[6:7]
	v_add_co_u32_e64 v8, s[2:3], s8, v0
	v_addc_co_u32_e64 v9, s[2:3], v21, v1, s[2:3]
	global_load_dwordx2 v[8:9], v[8:9], off
	v_add_co_u32_e64 v10, s[2:3], s18, v0
	v_addc_co_u32_e64 v11, s[2:3], v20, v1, s[2:3]
	global_load_dwordx2 v[10:11], v[10:11], off
	v_pk_mov_b32 v[12:13], 0, 0
	s_waitcnt vmcnt(1)
	v_subrev_co_u32_e64 v8, s[2:3], s20, v8
	v_subb_co_u32_e64 v9, s[2:3], v9, v22, s[2:3]
	s_waitcnt vmcnt(0)
	v_add_co_u32_e64 v10, s[2:3], v10, v18
	v_addc_co_u32_e64 v11, s[2:3], v11, v19, s[2:3]
	v_cmp_lt_i64_e64 s[2:3], v[10:11], v[8:9]
	s_and_saveexec_b64 s[14:15], s[2:3]
	s_cbranch_execz .LBB309_13
; %bb.10:                               ;   in Loop: Header=BB309_9 Depth=1
	v_lshlrev_b64 v[12:13], 2, v[10:11]
	v_mov_b32_e32 v7, s13
	v_add_co_u32_e64 v14, s[2:3], s12, v12
	v_addc_co_u32_e64 v15, s[2:3], v7, v13, s[2:3]
	v_mov_b32_e32 v7, s11
	v_add_co_u32_e64 v16, s[2:3], s10, v12
	v_addc_co_u32_e64 v17, s[2:3], v7, v13, s[2:3]
	s_mov_b64 s[16:17], 0
	v_pk_mov_b32 v[12:13], 0, 0
.LBB309_11:                             ;   Parent Loop BB309_9 Depth=1
                                        ; =>  This Inner Loop Header: Depth=2
	global_load_dword v24, v[16:17], off
	global_load_dword v7, v[14:15], off
	s_waitcnt vmcnt(1)
	v_ashrrev_i32_e32 v25, 31, v24
	v_lshlrev_b64 v[24:25], 3, v[24:25]
	v_add_co_u32_e64 v24, s[2:3], s23, v24
	v_addc_co_u32_e64 v25, s[2:3], v23, v25, s[2:3]
	global_load_dwordx2 v[24:25], v[24:25], off
	v_add_co_u32_e64 v10, s[2:3], 4, v10
	v_addc_co_u32_e64 v11, s[2:3], 0, v11, s[2:3]
	v_add_co_u32_e64 v14, s[2:3], 16, v14
	v_addc_co_u32_e64 v15, s[2:3], 0, v15, s[2:3]
	;; [unrolled: 2-line block ×3, first 2 shown]
	s_waitcnt vmcnt(1)
	v_cvt_f64_f32_e32 v[26:27], v7
	v_cmp_ge_i64_e64 s[2:3], v[10:11], v[8:9]
	v_mul_f64 v[26:27], v[2:3], v[26:27]
	s_or_b64 s[16:17], s[2:3], s[16:17]
	s_waitcnt vmcnt(0)
	v_fmac_f64_e32 v[12:13], v[26:27], v[24:25]
	s_andn2_b64 exec, exec, s[16:17]
	s_cbranch_execnz .LBB309_11
; %bb.12:                               ;   in Loop: Header=BB309_9 Depth=1
	s_or_b64 exec, exec, s[16:17]
.LBB309_13:                             ;   in Loop: Header=BB309_9 Depth=1
	s_or_b64 exec, exec, s[14:15]
	v_mov_b32_dpp v8, v12 row_shr:1 row_mask:0xf bank_mask:0xf
	v_mov_b32_dpp v9, v13 row_shr:1 row_mask:0xf bank_mask:0xf
	v_add_f64 v[8:9], v[12:13], v[8:9]
	s_nop 1
	v_mov_b32_dpp v10, v8 row_shr:2 row_mask:0xf bank_mask:0xf
	v_mov_b32_dpp v11, v9 row_shr:2 row_mask:0xf bank_mask:0xf
	s_and_saveexec_b64 s[14:15], vcc
	s_cbranch_execz .LBB309_8
; %bb.14:                               ;   in Loop: Header=BB309_9 Depth=1
	v_mov_b32_e32 v7, s7
	v_add_co_u32_e64 v0, s[2:3], s6, v0
	v_add_f64 v[8:9], v[8:9], v[10:11]
	v_addc_co_u32_e64 v1, s[2:3], v7, v1, s[2:3]
	s_and_saveexec_b64 s[2:3], s[0:1]
	s_cbranch_execz .LBB309_7
; %bb.15:                               ;   in Loop: Header=BB309_9 Depth=1
	global_load_dwordx2 v[10:11], v[0:1], off
	s_waitcnt vmcnt(0)
	v_fmac_f64_e32 v[8:9], v[4:5], v[10:11]
	s_branch .LBB309_7
.LBB309_16:
	s_endpgm
	.section	.rodata,"a",@progbits
	.p2align	6, 0x0
	.amdhsa_kernel _ZN9rocsparseL21csrmvn_general_kernelILj256ELj4ElifdddEEvbT2_NS_24const_host_device_scalarIT6_EEPKT1_S7_PKS1_PKT3_PKT4_S4_PT5_21rocsparse_index_base_b
		.amdhsa_group_segment_fixed_size 0
		.amdhsa_private_segment_fixed_size 0
		.amdhsa_kernarg_size 336
		.amdhsa_user_sgpr_count 6
		.amdhsa_user_sgpr_private_segment_buffer 1
		.amdhsa_user_sgpr_dispatch_ptr 0
		.amdhsa_user_sgpr_queue_ptr 0
		.amdhsa_user_sgpr_kernarg_segment_ptr 1
		.amdhsa_user_sgpr_dispatch_id 0
		.amdhsa_user_sgpr_flat_scratch_init 0
		.amdhsa_user_sgpr_kernarg_preload_length 0
		.amdhsa_user_sgpr_kernarg_preload_offset 0
		.amdhsa_user_sgpr_private_segment_size 0
		.amdhsa_uses_dynamic_stack 0
		.amdhsa_system_sgpr_private_segment_wavefront_offset 0
		.amdhsa_system_sgpr_workgroup_id_x 1
		.amdhsa_system_sgpr_workgroup_id_y 0
		.amdhsa_system_sgpr_workgroup_id_z 0
		.amdhsa_system_sgpr_workgroup_info 0
		.amdhsa_system_vgpr_workitem_id 0
		.amdhsa_next_free_vgpr 28
		.amdhsa_next_free_sgpr 24
		.amdhsa_accum_offset 28
		.amdhsa_reserve_vcc 1
		.amdhsa_reserve_flat_scratch 0
		.amdhsa_float_round_mode_32 0
		.amdhsa_float_round_mode_16_64 0
		.amdhsa_float_denorm_mode_32 3
		.amdhsa_float_denorm_mode_16_64 3
		.amdhsa_dx10_clamp 1
		.amdhsa_ieee_mode 1
		.amdhsa_fp16_overflow 0
		.amdhsa_tg_split 0
		.amdhsa_exception_fp_ieee_invalid_op 0
		.amdhsa_exception_fp_denorm_src 0
		.amdhsa_exception_fp_ieee_div_zero 0
		.amdhsa_exception_fp_ieee_overflow 0
		.amdhsa_exception_fp_ieee_underflow 0
		.amdhsa_exception_fp_ieee_inexact 0
		.amdhsa_exception_int_div_zero 0
	.end_amdhsa_kernel
	.section	.text._ZN9rocsparseL21csrmvn_general_kernelILj256ELj4ElifdddEEvbT2_NS_24const_host_device_scalarIT6_EEPKT1_S7_PKS1_PKT3_PKT4_S4_PT5_21rocsparse_index_base_b,"axG",@progbits,_ZN9rocsparseL21csrmvn_general_kernelILj256ELj4ElifdddEEvbT2_NS_24const_host_device_scalarIT6_EEPKT1_S7_PKS1_PKT3_PKT4_S4_PT5_21rocsparse_index_base_b,comdat
.Lfunc_end309:
	.size	_ZN9rocsparseL21csrmvn_general_kernelILj256ELj4ElifdddEEvbT2_NS_24const_host_device_scalarIT6_EEPKT1_S7_PKS1_PKT3_PKT4_S4_PT5_21rocsparse_index_base_b, .Lfunc_end309-_ZN9rocsparseL21csrmvn_general_kernelILj256ELj4ElifdddEEvbT2_NS_24const_host_device_scalarIT6_EEPKT1_S7_PKS1_PKT3_PKT4_S4_PT5_21rocsparse_index_base_b
                                        ; -- End function
	.section	.AMDGPU.csdata,"",@progbits
; Kernel info:
; codeLenInByte = 768
; NumSgprs: 28
; NumVgprs: 28
; NumAgprs: 0
; TotalNumVgprs: 28
; ScratchSize: 0
; MemoryBound: 1
; FloatMode: 240
; IeeeMode: 1
; LDSByteSize: 0 bytes/workgroup (compile time only)
; SGPRBlocks: 3
; VGPRBlocks: 3
; NumSGPRsForWavesPerEU: 28
; NumVGPRsForWavesPerEU: 28
; AccumOffset: 28
; Occupancy: 8
; WaveLimiterHint : 1
; COMPUTE_PGM_RSRC2:SCRATCH_EN: 0
; COMPUTE_PGM_RSRC2:USER_SGPR: 6
; COMPUTE_PGM_RSRC2:TRAP_HANDLER: 0
; COMPUTE_PGM_RSRC2:TGID_X_EN: 1
; COMPUTE_PGM_RSRC2:TGID_Y_EN: 0
; COMPUTE_PGM_RSRC2:TGID_Z_EN: 0
; COMPUTE_PGM_RSRC2:TIDIG_COMP_CNT: 0
; COMPUTE_PGM_RSRC3_GFX90A:ACCUM_OFFSET: 6
; COMPUTE_PGM_RSRC3_GFX90A:TG_SPLIT: 0
	.section	.text._ZN9rocsparseL21csrmvn_general_kernelILj256ELj8ElifdddEEvbT2_NS_24const_host_device_scalarIT6_EEPKT1_S7_PKS1_PKT3_PKT4_S4_PT5_21rocsparse_index_base_b,"axG",@progbits,_ZN9rocsparseL21csrmvn_general_kernelILj256ELj8ElifdddEEvbT2_NS_24const_host_device_scalarIT6_EEPKT1_S7_PKS1_PKT3_PKT4_S4_PT5_21rocsparse_index_base_b,comdat
	.globl	_ZN9rocsparseL21csrmvn_general_kernelILj256ELj8ElifdddEEvbT2_NS_24const_host_device_scalarIT6_EEPKT1_S7_PKS1_PKT3_PKT4_S4_PT5_21rocsparse_index_base_b ; -- Begin function _ZN9rocsparseL21csrmvn_general_kernelILj256ELj8ElifdddEEvbT2_NS_24const_host_device_scalarIT6_EEPKT1_S7_PKS1_PKT3_PKT4_S4_PT5_21rocsparse_index_base_b
	.p2align	8
	.type	_ZN9rocsparseL21csrmvn_general_kernelILj256ELj8ElifdddEEvbT2_NS_24const_host_device_scalarIT6_EEPKT1_S7_PKS1_PKT3_PKT4_S4_PT5_21rocsparse_index_base_b,@function
_ZN9rocsparseL21csrmvn_general_kernelILj256ELj8ElifdddEEvbT2_NS_24const_host_device_scalarIT6_EEPKT1_S7_PKS1_PKT3_PKT4_S4_PT5_21rocsparse_index_base_b: ; @_ZN9rocsparseL21csrmvn_general_kernelILj256ELj8ElifdddEEvbT2_NS_24const_host_device_scalarIT6_EEPKT1_S7_PKS1_PKT3_PKT4_S4_PT5_21rocsparse_index_base_b
; %bb.0:
	s_load_dwordx2 s[20:21], s[4:5], 0x48
	s_load_dwordx4 s[16:19], s[4:5], 0x8
	s_load_dwordx2 s[0:1], s[4:5], 0x38
	s_waitcnt lgkmcnt(0)
	s_bitcmp1_b32 s21, 0
	s_cselect_b64 s[8:9], -1, 0
	s_xor_b64 s[2:3], s[8:9], -1
	s_and_b64 vcc, exec, s[8:9]
	v_pk_mov_b32 v[2:3], s[16:17], s[16:17] op_sel:[0,1]
	s_cbranch_vccnz .LBB310_2
; %bb.1:
	v_pk_mov_b32 v[2:3], s[16:17], s[16:17] op_sel:[0,1]
	flat_load_dwordx2 v[2:3], v[2:3]
.LBB310_2:
	s_andn2_b64 vcc, exec, s[2:3]
	v_pk_mov_b32 v[4:5], s[0:1], s[0:1] op_sel:[0,1]
	s_cbranch_vccnz .LBB310_4
; %bb.3:
	v_pk_mov_b32 v[4:5], s[0:1], s[0:1] op_sel:[0,1]
	flat_load_dwordx2 v[4:5], v[4:5]
.LBB310_4:
	s_waitcnt vmcnt(0) lgkmcnt(0)
	v_cmp_neq_f64_e32 vcc, 0, v[2:3]
	v_cmp_neq_f64_e64 s[0:1], 1.0, v[4:5]
	s_or_b64 s[0:1], vcc, s[0:1]
	s_and_saveexec_b64 s[2:3], s[0:1]
	s_cbranch_execz .LBB310_16
; %bb.5:
	s_load_dword s21, s[4:5], 0x4
	v_lshl_or_b32 v1, s6, 8, v0
	v_lshrrev_b32_e32 v6, 3, v1
	s_waitcnt lgkmcnt(0)
	v_cmp_gt_i32_e32 vcc, s21, v6
	s_and_b64 exec, exec, vcc
	s_cbranch_execz .LBB310_16
; %bb.6:
	s_load_dword s0, s[4:5], 0x50
	s_load_dwordx2 s[6:7], s[4:5], 0x40
	s_load_dwordx8 s[8:15], s[4:5], 0x18
	v_and_b32_e32 v0, 7, v0
	v_subrev_co_u32_e32 v18, vcc, s20, v0
	s_waitcnt lgkmcnt(0)
	s_lshl_b32 s22, s0, 5
	v_subb_co_u32_e64 v19, s[0:1], 0, 0, vcc
	s_ashr_i32 s1, s20, 31
	s_mov_b32 s0, s20
	s_lshl_b64 s[0:1], s[0:1], 3
	s_sub_u32 s23, s14, s0
	s_mov_b32 s2, 0
	s_subb_u32 s3, s15, s1
	v_cmp_eq_u32_e32 vcc, 7, v0
	s_mov_b64 s[4:5], 0
	v_cmp_neq_f64_e64 s[0:1], 0, v[4:5]
	v_mov_b32_e32 v20, s19
	v_mov_b32_e32 v21, s9
	;; [unrolled: 1-line block ×4, first 2 shown]
	s_branch .LBB310_9
.LBB310_7:                              ;   in Loop: Header=BB310_9 Depth=1
	s_or_b64 exec, exec, s[2:3]
	global_store_dwordx2 v[0:1], v[8:9], off
.LBB310_8:                              ;   in Loop: Header=BB310_9 Depth=1
	s_or_b64 exec, exec, s[14:15]
	v_add_u32_e32 v6, s22, v6
	v_cmp_le_i32_e64 s[2:3], s21, v6
	s_or_b64 s[4:5], s[2:3], s[4:5]
	s_andn2_b64 exec, exec, s[4:5]
	s_cbranch_execz .LBB310_16
.LBB310_9:                              ; =>This Loop Header: Depth=1
                                        ;     Child Loop BB310_11 Depth 2
	v_ashrrev_i32_e32 v7, 31, v6
	v_lshlrev_b64 v[0:1], 3, v[6:7]
	v_add_co_u32_e64 v8, s[2:3], s8, v0
	v_addc_co_u32_e64 v9, s[2:3], v21, v1, s[2:3]
	global_load_dwordx2 v[8:9], v[8:9], off
	v_add_co_u32_e64 v10, s[2:3], s18, v0
	v_addc_co_u32_e64 v11, s[2:3], v20, v1, s[2:3]
	global_load_dwordx2 v[10:11], v[10:11], off
	v_pk_mov_b32 v[12:13], 0, 0
	s_waitcnt vmcnt(1)
	v_subrev_co_u32_e64 v8, s[2:3], s20, v8
	v_subb_co_u32_e64 v9, s[2:3], v9, v22, s[2:3]
	s_waitcnt vmcnt(0)
	v_add_co_u32_e64 v10, s[2:3], v10, v18
	v_addc_co_u32_e64 v11, s[2:3], v11, v19, s[2:3]
	v_cmp_lt_i64_e64 s[2:3], v[10:11], v[8:9]
	s_and_saveexec_b64 s[14:15], s[2:3]
	s_cbranch_execz .LBB310_13
; %bb.10:                               ;   in Loop: Header=BB310_9 Depth=1
	v_lshlrev_b64 v[12:13], 2, v[10:11]
	v_mov_b32_e32 v7, s13
	v_add_co_u32_e64 v14, s[2:3], s12, v12
	v_addc_co_u32_e64 v15, s[2:3], v7, v13, s[2:3]
	v_mov_b32_e32 v7, s11
	v_add_co_u32_e64 v16, s[2:3], s10, v12
	v_addc_co_u32_e64 v17, s[2:3], v7, v13, s[2:3]
	s_mov_b64 s[16:17], 0
	v_pk_mov_b32 v[12:13], 0, 0
.LBB310_11:                             ;   Parent Loop BB310_9 Depth=1
                                        ; =>  This Inner Loop Header: Depth=2
	global_load_dword v24, v[16:17], off
	global_load_dword v7, v[14:15], off
	s_waitcnt vmcnt(1)
	v_ashrrev_i32_e32 v25, 31, v24
	v_lshlrev_b64 v[24:25], 3, v[24:25]
	v_add_co_u32_e64 v24, s[2:3], s23, v24
	v_addc_co_u32_e64 v25, s[2:3], v23, v25, s[2:3]
	global_load_dwordx2 v[24:25], v[24:25], off
	v_add_co_u32_e64 v10, s[2:3], 8, v10
	v_addc_co_u32_e64 v11, s[2:3], 0, v11, s[2:3]
	v_add_co_u32_e64 v14, s[2:3], 32, v14
	v_addc_co_u32_e64 v15, s[2:3], 0, v15, s[2:3]
	;; [unrolled: 2-line block ×3, first 2 shown]
	s_waitcnt vmcnt(1)
	v_cvt_f64_f32_e32 v[26:27], v7
	v_cmp_ge_i64_e64 s[2:3], v[10:11], v[8:9]
	v_mul_f64 v[26:27], v[2:3], v[26:27]
	s_or_b64 s[16:17], s[2:3], s[16:17]
	s_waitcnt vmcnt(0)
	v_fmac_f64_e32 v[12:13], v[26:27], v[24:25]
	s_andn2_b64 exec, exec, s[16:17]
	s_cbranch_execnz .LBB310_11
; %bb.12:                               ;   in Loop: Header=BB310_9 Depth=1
	s_or_b64 exec, exec, s[16:17]
.LBB310_13:                             ;   in Loop: Header=BB310_9 Depth=1
	s_or_b64 exec, exec, s[14:15]
	v_mov_b32_dpp v8, v12 row_shr:1 row_mask:0xf bank_mask:0xf
	v_mov_b32_dpp v9, v13 row_shr:1 row_mask:0xf bank_mask:0xf
	v_add_f64 v[8:9], v[12:13], v[8:9]
	s_nop 1
	v_mov_b32_dpp v10, v8 row_shr:2 row_mask:0xf bank_mask:0xf
	v_mov_b32_dpp v11, v9 row_shr:2 row_mask:0xf bank_mask:0xf
	v_add_f64 v[8:9], v[8:9], v[10:11]
	s_nop 1
	v_mov_b32_dpp v10, v8 row_shr:4 row_mask:0xf bank_mask:0xe
	v_mov_b32_dpp v11, v9 row_shr:4 row_mask:0xf bank_mask:0xe
	s_and_saveexec_b64 s[14:15], vcc
	s_cbranch_execz .LBB310_8
; %bb.14:                               ;   in Loop: Header=BB310_9 Depth=1
	v_mov_b32_e32 v7, s7
	v_add_co_u32_e64 v0, s[2:3], s6, v0
	v_add_f64 v[8:9], v[8:9], v[10:11]
	v_addc_co_u32_e64 v1, s[2:3], v7, v1, s[2:3]
	s_and_saveexec_b64 s[2:3], s[0:1]
	s_cbranch_execz .LBB310_7
; %bb.15:                               ;   in Loop: Header=BB310_9 Depth=1
	global_load_dwordx2 v[10:11], v[0:1], off
	s_waitcnt vmcnt(0)
	v_fmac_f64_e32 v[8:9], v[4:5], v[10:11]
	s_branch .LBB310_7
.LBB310_16:
	s_endpgm
	.section	.rodata,"a",@progbits
	.p2align	6, 0x0
	.amdhsa_kernel _ZN9rocsparseL21csrmvn_general_kernelILj256ELj8ElifdddEEvbT2_NS_24const_host_device_scalarIT6_EEPKT1_S7_PKS1_PKT3_PKT4_S4_PT5_21rocsparse_index_base_b
		.amdhsa_group_segment_fixed_size 0
		.amdhsa_private_segment_fixed_size 0
		.amdhsa_kernarg_size 336
		.amdhsa_user_sgpr_count 6
		.amdhsa_user_sgpr_private_segment_buffer 1
		.amdhsa_user_sgpr_dispatch_ptr 0
		.amdhsa_user_sgpr_queue_ptr 0
		.amdhsa_user_sgpr_kernarg_segment_ptr 1
		.amdhsa_user_sgpr_dispatch_id 0
		.amdhsa_user_sgpr_flat_scratch_init 0
		.amdhsa_user_sgpr_kernarg_preload_length 0
		.amdhsa_user_sgpr_kernarg_preload_offset 0
		.amdhsa_user_sgpr_private_segment_size 0
		.amdhsa_uses_dynamic_stack 0
		.amdhsa_system_sgpr_private_segment_wavefront_offset 0
		.amdhsa_system_sgpr_workgroup_id_x 1
		.amdhsa_system_sgpr_workgroup_id_y 0
		.amdhsa_system_sgpr_workgroup_id_z 0
		.amdhsa_system_sgpr_workgroup_info 0
		.amdhsa_system_vgpr_workitem_id 0
		.amdhsa_next_free_vgpr 28
		.amdhsa_next_free_sgpr 24
		.amdhsa_accum_offset 28
		.amdhsa_reserve_vcc 1
		.amdhsa_reserve_flat_scratch 0
		.amdhsa_float_round_mode_32 0
		.amdhsa_float_round_mode_16_64 0
		.amdhsa_float_denorm_mode_32 3
		.amdhsa_float_denorm_mode_16_64 3
		.amdhsa_dx10_clamp 1
		.amdhsa_ieee_mode 1
		.amdhsa_fp16_overflow 0
		.amdhsa_tg_split 0
		.amdhsa_exception_fp_ieee_invalid_op 0
		.amdhsa_exception_fp_denorm_src 0
		.amdhsa_exception_fp_ieee_div_zero 0
		.amdhsa_exception_fp_ieee_overflow 0
		.amdhsa_exception_fp_ieee_underflow 0
		.amdhsa_exception_fp_ieee_inexact 0
		.amdhsa_exception_int_div_zero 0
	.end_amdhsa_kernel
	.section	.text._ZN9rocsparseL21csrmvn_general_kernelILj256ELj8ElifdddEEvbT2_NS_24const_host_device_scalarIT6_EEPKT1_S7_PKS1_PKT3_PKT4_S4_PT5_21rocsparse_index_base_b,"axG",@progbits,_ZN9rocsparseL21csrmvn_general_kernelILj256ELj8ElifdddEEvbT2_NS_24const_host_device_scalarIT6_EEPKT1_S7_PKS1_PKT3_PKT4_S4_PT5_21rocsparse_index_base_b,comdat
.Lfunc_end310:
	.size	_ZN9rocsparseL21csrmvn_general_kernelILj256ELj8ElifdddEEvbT2_NS_24const_host_device_scalarIT6_EEPKT1_S7_PKS1_PKT3_PKT4_S4_PT5_21rocsparse_index_base_b, .Lfunc_end310-_ZN9rocsparseL21csrmvn_general_kernelILj256ELj8ElifdddEEvbT2_NS_24const_host_device_scalarIT6_EEPKT1_S7_PKS1_PKT3_PKT4_S4_PT5_21rocsparse_index_base_b
                                        ; -- End function
	.section	.AMDGPU.csdata,"",@progbits
; Kernel info:
; codeLenInByte = 796
; NumSgprs: 28
; NumVgprs: 28
; NumAgprs: 0
; TotalNumVgprs: 28
; ScratchSize: 0
; MemoryBound: 1
; FloatMode: 240
; IeeeMode: 1
; LDSByteSize: 0 bytes/workgroup (compile time only)
; SGPRBlocks: 3
; VGPRBlocks: 3
; NumSGPRsForWavesPerEU: 28
; NumVGPRsForWavesPerEU: 28
; AccumOffset: 28
; Occupancy: 8
; WaveLimiterHint : 1
; COMPUTE_PGM_RSRC2:SCRATCH_EN: 0
; COMPUTE_PGM_RSRC2:USER_SGPR: 6
; COMPUTE_PGM_RSRC2:TRAP_HANDLER: 0
; COMPUTE_PGM_RSRC2:TGID_X_EN: 1
; COMPUTE_PGM_RSRC2:TGID_Y_EN: 0
; COMPUTE_PGM_RSRC2:TGID_Z_EN: 0
; COMPUTE_PGM_RSRC2:TIDIG_COMP_CNT: 0
; COMPUTE_PGM_RSRC3_GFX90A:ACCUM_OFFSET: 6
; COMPUTE_PGM_RSRC3_GFX90A:TG_SPLIT: 0
	.section	.text._ZN9rocsparseL21csrmvn_general_kernelILj256ELj16ElifdddEEvbT2_NS_24const_host_device_scalarIT6_EEPKT1_S7_PKS1_PKT3_PKT4_S4_PT5_21rocsparse_index_base_b,"axG",@progbits,_ZN9rocsparseL21csrmvn_general_kernelILj256ELj16ElifdddEEvbT2_NS_24const_host_device_scalarIT6_EEPKT1_S7_PKS1_PKT3_PKT4_S4_PT5_21rocsparse_index_base_b,comdat
	.globl	_ZN9rocsparseL21csrmvn_general_kernelILj256ELj16ElifdddEEvbT2_NS_24const_host_device_scalarIT6_EEPKT1_S7_PKS1_PKT3_PKT4_S4_PT5_21rocsparse_index_base_b ; -- Begin function _ZN9rocsparseL21csrmvn_general_kernelILj256ELj16ElifdddEEvbT2_NS_24const_host_device_scalarIT6_EEPKT1_S7_PKS1_PKT3_PKT4_S4_PT5_21rocsparse_index_base_b
	.p2align	8
	.type	_ZN9rocsparseL21csrmvn_general_kernelILj256ELj16ElifdddEEvbT2_NS_24const_host_device_scalarIT6_EEPKT1_S7_PKS1_PKT3_PKT4_S4_PT5_21rocsparse_index_base_b,@function
_ZN9rocsparseL21csrmvn_general_kernelILj256ELj16ElifdddEEvbT2_NS_24const_host_device_scalarIT6_EEPKT1_S7_PKS1_PKT3_PKT4_S4_PT5_21rocsparse_index_base_b: ; @_ZN9rocsparseL21csrmvn_general_kernelILj256ELj16ElifdddEEvbT2_NS_24const_host_device_scalarIT6_EEPKT1_S7_PKS1_PKT3_PKT4_S4_PT5_21rocsparse_index_base_b
; %bb.0:
	s_load_dwordx2 s[20:21], s[4:5], 0x48
	s_load_dwordx4 s[16:19], s[4:5], 0x8
	s_load_dwordx2 s[0:1], s[4:5], 0x38
	s_waitcnt lgkmcnt(0)
	s_bitcmp1_b32 s21, 0
	s_cselect_b64 s[8:9], -1, 0
	s_xor_b64 s[2:3], s[8:9], -1
	s_and_b64 vcc, exec, s[8:9]
	v_pk_mov_b32 v[2:3], s[16:17], s[16:17] op_sel:[0,1]
	s_cbranch_vccnz .LBB311_2
; %bb.1:
	v_pk_mov_b32 v[2:3], s[16:17], s[16:17] op_sel:[0,1]
	flat_load_dwordx2 v[2:3], v[2:3]
.LBB311_2:
	s_andn2_b64 vcc, exec, s[2:3]
	v_pk_mov_b32 v[4:5], s[0:1], s[0:1] op_sel:[0,1]
	s_cbranch_vccnz .LBB311_4
; %bb.3:
	v_pk_mov_b32 v[4:5], s[0:1], s[0:1] op_sel:[0,1]
	flat_load_dwordx2 v[4:5], v[4:5]
.LBB311_4:
	s_waitcnt vmcnt(0) lgkmcnt(0)
	v_cmp_neq_f64_e32 vcc, 0, v[2:3]
	v_cmp_neq_f64_e64 s[0:1], 1.0, v[4:5]
	s_or_b64 s[0:1], vcc, s[0:1]
	s_and_saveexec_b64 s[2:3], s[0:1]
	s_cbranch_execz .LBB311_16
; %bb.5:
	s_load_dword s21, s[4:5], 0x4
	v_lshl_or_b32 v1, s6, 8, v0
	v_lshrrev_b32_e32 v6, 4, v1
	s_waitcnt lgkmcnt(0)
	v_cmp_gt_i32_e32 vcc, s21, v6
	s_and_b64 exec, exec, vcc
	s_cbranch_execz .LBB311_16
; %bb.6:
	s_load_dword s0, s[4:5], 0x50
	s_load_dwordx2 s[6:7], s[4:5], 0x40
	s_load_dwordx8 s[8:15], s[4:5], 0x18
	v_and_b32_e32 v0, 15, v0
	v_subrev_co_u32_e32 v18, vcc, s20, v0
	s_waitcnt lgkmcnt(0)
	s_lshl_b32 s22, s0, 4
	v_subb_co_u32_e64 v19, s[0:1], 0, 0, vcc
	s_ashr_i32 s1, s20, 31
	s_mov_b32 s0, s20
	s_lshl_b64 s[0:1], s[0:1], 3
	s_sub_u32 s23, s14, s0
	s_mov_b32 s2, 0
	s_subb_u32 s3, s15, s1
	v_cmp_eq_u32_e32 vcc, 15, v0
	s_mov_b64 s[4:5], 0
	v_cmp_neq_f64_e64 s[0:1], 0, v[4:5]
	v_mov_b32_e32 v20, s19
	v_mov_b32_e32 v21, s9
	;; [unrolled: 1-line block ×4, first 2 shown]
	s_branch .LBB311_9
.LBB311_7:                              ;   in Loop: Header=BB311_9 Depth=1
	s_or_b64 exec, exec, s[2:3]
	global_store_dwordx2 v[0:1], v[8:9], off
.LBB311_8:                              ;   in Loop: Header=BB311_9 Depth=1
	s_or_b64 exec, exec, s[14:15]
	v_add_u32_e32 v6, s22, v6
	v_cmp_le_i32_e64 s[2:3], s21, v6
	s_or_b64 s[4:5], s[2:3], s[4:5]
	s_andn2_b64 exec, exec, s[4:5]
	s_cbranch_execz .LBB311_16
.LBB311_9:                              ; =>This Loop Header: Depth=1
                                        ;     Child Loop BB311_11 Depth 2
	v_ashrrev_i32_e32 v7, 31, v6
	v_lshlrev_b64 v[0:1], 3, v[6:7]
	v_add_co_u32_e64 v8, s[2:3], s8, v0
	v_addc_co_u32_e64 v9, s[2:3], v21, v1, s[2:3]
	global_load_dwordx2 v[8:9], v[8:9], off
	v_add_co_u32_e64 v10, s[2:3], s18, v0
	v_addc_co_u32_e64 v11, s[2:3], v20, v1, s[2:3]
	global_load_dwordx2 v[10:11], v[10:11], off
	v_pk_mov_b32 v[12:13], 0, 0
	s_waitcnt vmcnt(1)
	v_subrev_co_u32_e64 v8, s[2:3], s20, v8
	v_subb_co_u32_e64 v9, s[2:3], v9, v22, s[2:3]
	s_waitcnt vmcnt(0)
	v_add_co_u32_e64 v10, s[2:3], v10, v18
	v_addc_co_u32_e64 v11, s[2:3], v11, v19, s[2:3]
	v_cmp_lt_i64_e64 s[2:3], v[10:11], v[8:9]
	s_and_saveexec_b64 s[14:15], s[2:3]
	s_cbranch_execz .LBB311_13
; %bb.10:                               ;   in Loop: Header=BB311_9 Depth=1
	v_lshlrev_b64 v[12:13], 2, v[10:11]
	v_mov_b32_e32 v7, s13
	v_add_co_u32_e64 v14, s[2:3], s12, v12
	v_addc_co_u32_e64 v15, s[2:3], v7, v13, s[2:3]
	v_mov_b32_e32 v7, s11
	v_add_co_u32_e64 v16, s[2:3], s10, v12
	v_addc_co_u32_e64 v17, s[2:3], v7, v13, s[2:3]
	s_mov_b64 s[16:17], 0
	v_pk_mov_b32 v[12:13], 0, 0
.LBB311_11:                             ;   Parent Loop BB311_9 Depth=1
                                        ; =>  This Inner Loop Header: Depth=2
	global_load_dword v24, v[16:17], off
	global_load_dword v7, v[14:15], off
	s_waitcnt vmcnt(1)
	v_ashrrev_i32_e32 v25, 31, v24
	v_lshlrev_b64 v[24:25], 3, v[24:25]
	v_add_co_u32_e64 v24, s[2:3], s23, v24
	v_addc_co_u32_e64 v25, s[2:3], v23, v25, s[2:3]
	global_load_dwordx2 v[24:25], v[24:25], off
	v_add_co_u32_e64 v10, s[2:3], 16, v10
	v_addc_co_u32_e64 v11, s[2:3], 0, v11, s[2:3]
	v_add_co_u32_e64 v14, s[2:3], 64, v14
	v_addc_co_u32_e64 v15, s[2:3], 0, v15, s[2:3]
	;; [unrolled: 2-line block ×3, first 2 shown]
	s_waitcnt vmcnt(1)
	v_cvt_f64_f32_e32 v[26:27], v7
	v_cmp_ge_i64_e64 s[2:3], v[10:11], v[8:9]
	v_mul_f64 v[26:27], v[2:3], v[26:27]
	s_or_b64 s[16:17], s[2:3], s[16:17]
	s_waitcnt vmcnt(0)
	v_fmac_f64_e32 v[12:13], v[26:27], v[24:25]
	s_andn2_b64 exec, exec, s[16:17]
	s_cbranch_execnz .LBB311_11
; %bb.12:                               ;   in Loop: Header=BB311_9 Depth=1
	s_or_b64 exec, exec, s[16:17]
.LBB311_13:                             ;   in Loop: Header=BB311_9 Depth=1
	s_or_b64 exec, exec, s[14:15]
	v_mov_b32_dpp v8, v12 row_shr:1 row_mask:0xf bank_mask:0xf
	v_mov_b32_dpp v9, v13 row_shr:1 row_mask:0xf bank_mask:0xf
	v_add_f64 v[8:9], v[12:13], v[8:9]
	s_nop 1
	v_mov_b32_dpp v10, v8 row_shr:2 row_mask:0xf bank_mask:0xf
	v_mov_b32_dpp v11, v9 row_shr:2 row_mask:0xf bank_mask:0xf
	v_add_f64 v[8:9], v[8:9], v[10:11]
	s_nop 1
	;; [unrolled: 4-line block ×3, first 2 shown]
	v_mov_b32_dpp v10, v8 row_shr:8 row_mask:0xf bank_mask:0xc
	v_mov_b32_dpp v11, v9 row_shr:8 row_mask:0xf bank_mask:0xc
	s_and_saveexec_b64 s[14:15], vcc
	s_cbranch_execz .LBB311_8
; %bb.14:                               ;   in Loop: Header=BB311_9 Depth=1
	v_mov_b32_e32 v7, s7
	v_add_co_u32_e64 v0, s[2:3], s6, v0
	v_add_f64 v[8:9], v[8:9], v[10:11]
	v_addc_co_u32_e64 v1, s[2:3], v7, v1, s[2:3]
	s_and_saveexec_b64 s[2:3], s[0:1]
	s_cbranch_execz .LBB311_7
; %bb.15:                               ;   in Loop: Header=BB311_9 Depth=1
	global_load_dwordx2 v[10:11], v[0:1], off
	s_waitcnt vmcnt(0)
	v_fmac_f64_e32 v[8:9], v[4:5], v[10:11]
	s_branch .LBB311_7
.LBB311_16:
	s_endpgm
	.section	.rodata,"a",@progbits
	.p2align	6, 0x0
	.amdhsa_kernel _ZN9rocsparseL21csrmvn_general_kernelILj256ELj16ElifdddEEvbT2_NS_24const_host_device_scalarIT6_EEPKT1_S7_PKS1_PKT3_PKT4_S4_PT5_21rocsparse_index_base_b
		.amdhsa_group_segment_fixed_size 0
		.amdhsa_private_segment_fixed_size 0
		.amdhsa_kernarg_size 336
		.amdhsa_user_sgpr_count 6
		.amdhsa_user_sgpr_private_segment_buffer 1
		.amdhsa_user_sgpr_dispatch_ptr 0
		.amdhsa_user_sgpr_queue_ptr 0
		.amdhsa_user_sgpr_kernarg_segment_ptr 1
		.amdhsa_user_sgpr_dispatch_id 0
		.amdhsa_user_sgpr_flat_scratch_init 0
		.amdhsa_user_sgpr_kernarg_preload_length 0
		.amdhsa_user_sgpr_kernarg_preload_offset 0
		.amdhsa_user_sgpr_private_segment_size 0
		.amdhsa_uses_dynamic_stack 0
		.amdhsa_system_sgpr_private_segment_wavefront_offset 0
		.amdhsa_system_sgpr_workgroup_id_x 1
		.amdhsa_system_sgpr_workgroup_id_y 0
		.amdhsa_system_sgpr_workgroup_id_z 0
		.amdhsa_system_sgpr_workgroup_info 0
		.amdhsa_system_vgpr_workitem_id 0
		.amdhsa_next_free_vgpr 28
		.amdhsa_next_free_sgpr 24
		.amdhsa_accum_offset 28
		.amdhsa_reserve_vcc 1
		.amdhsa_reserve_flat_scratch 0
		.amdhsa_float_round_mode_32 0
		.amdhsa_float_round_mode_16_64 0
		.amdhsa_float_denorm_mode_32 3
		.amdhsa_float_denorm_mode_16_64 3
		.amdhsa_dx10_clamp 1
		.amdhsa_ieee_mode 1
		.amdhsa_fp16_overflow 0
		.amdhsa_tg_split 0
		.amdhsa_exception_fp_ieee_invalid_op 0
		.amdhsa_exception_fp_denorm_src 0
		.amdhsa_exception_fp_ieee_div_zero 0
		.amdhsa_exception_fp_ieee_overflow 0
		.amdhsa_exception_fp_ieee_underflow 0
		.amdhsa_exception_fp_ieee_inexact 0
		.amdhsa_exception_int_div_zero 0
	.end_amdhsa_kernel
	.section	.text._ZN9rocsparseL21csrmvn_general_kernelILj256ELj16ElifdddEEvbT2_NS_24const_host_device_scalarIT6_EEPKT1_S7_PKS1_PKT3_PKT4_S4_PT5_21rocsparse_index_base_b,"axG",@progbits,_ZN9rocsparseL21csrmvn_general_kernelILj256ELj16ElifdddEEvbT2_NS_24const_host_device_scalarIT6_EEPKT1_S7_PKS1_PKT3_PKT4_S4_PT5_21rocsparse_index_base_b,comdat
.Lfunc_end311:
	.size	_ZN9rocsparseL21csrmvn_general_kernelILj256ELj16ElifdddEEvbT2_NS_24const_host_device_scalarIT6_EEPKT1_S7_PKS1_PKT3_PKT4_S4_PT5_21rocsparse_index_base_b, .Lfunc_end311-_ZN9rocsparseL21csrmvn_general_kernelILj256ELj16ElifdddEEvbT2_NS_24const_host_device_scalarIT6_EEPKT1_S7_PKS1_PKT3_PKT4_S4_PT5_21rocsparse_index_base_b
                                        ; -- End function
	.section	.AMDGPU.csdata,"",@progbits
; Kernel info:
; codeLenInByte = 824
; NumSgprs: 28
; NumVgprs: 28
; NumAgprs: 0
; TotalNumVgprs: 28
; ScratchSize: 0
; MemoryBound: 1
; FloatMode: 240
; IeeeMode: 1
; LDSByteSize: 0 bytes/workgroup (compile time only)
; SGPRBlocks: 3
; VGPRBlocks: 3
; NumSGPRsForWavesPerEU: 28
; NumVGPRsForWavesPerEU: 28
; AccumOffset: 28
; Occupancy: 8
; WaveLimiterHint : 1
; COMPUTE_PGM_RSRC2:SCRATCH_EN: 0
; COMPUTE_PGM_RSRC2:USER_SGPR: 6
; COMPUTE_PGM_RSRC2:TRAP_HANDLER: 0
; COMPUTE_PGM_RSRC2:TGID_X_EN: 1
; COMPUTE_PGM_RSRC2:TGID_Y_EN: 0
; COMPUTE_PGM_RSRC2:TGID_Z_EN: 0
; COMPUTE_PGM_RSRC2:TIDIG_COMP_CNT: 0
; COMPUTE_PGM_RSRC3_GFX90A:ACCUM_OFFSET: 6
; COMPUTE_PGM_RSRC3_GFX90A:TG_SPLIT: 0
	.section	.text._ZN9rocsparseL21csrmvn_general_kernelILj256ELj32ElifdddEEvbT2_NS_24const_host_device_scalarIT6_EEPKT1_S7_PKS1_PKT3_PKT4_S4_PT5_21rocsparse_index_base_b,"axG",@progbits,_ZN9rocsparseL21csrmvn_general_kernelILj256ELj32ElifdddEEvbT2_NS_24const_host_device_scalarIT6_EEPKT1_S7_PKS1_PKT3_PKT4_S4_PT5_21rocsparse_index_base_b,comdat
	.globl	_ZN9rocsparseL21csrmvn_general_kernelILj256ELj32ElifdddEEvbT2_NS_24const_host_device_scalarIT6_EEPKT1_S7_PKS1_PKT3_PKT4_S4_PT5_21rocsparse_index_base_b ; -- Begin function _ZN9rocsparseL21csrmvn_general_kernelILj256ELj32ElifdddEEvbT2_NS_24const_host_device_scalarIT6_EEPKT1_S7_PKS1_PKT3_PKT4_S4_PT5_21rocsparse_index_base_b
	.p2align	8
	.type	_ZN9rocsparseL21csrmvn_general_kernelILj256ELj32ElifdddEEvbT2_NS_24const_host_device_scalarIT6_EEPKT1_S7_PKS1_PKT3_PKT4_S4_PT5_21rocsparse_index_base_b,@function
_ZN9rocsparseL21csrmvn_general_kernelILj256ELj32ElifdddEEvbT2_NS_24const_host_device_scalarIT6_EEPKT1_S7_PKS1_PKT3_PKT4_S4_PT5_21rocsparse_index_base_b: ; @_ZN9rocsparseL21csrmvn_general_kernelILj256ELj32ElifdddEEvbT2_NS_24const_host_device_scalarIT6_EEPKT1_S7_PKS1_PKT3_PKT4_S4_PT5_21rocsparse_index_base_b
; %bb.0:
	s_load_dwordx2 s[20:21], s[4:5], 0x48
	s_load_dwordx4 s[16:19], s[4:5], 0x8
	s_load_dwordx2 s[0:1], s[4:5], 0x38
	s_waitcnt lgkmcnt(0)
	s_bitcmp1_b32 s21, 0
	s_cselect_b64 s[8:9], -1, 0
	s_xor_b64 s[2:3], s[8:9], -1
	s_and_b64 vcc, exec, s[8:9]
	v_pk_mov_b32 v[2:3], s[16:17], s[16:17] op_sel:[0,1]
	s_cbranch_vccnz .LBB312_2
; %bb.1:
	v_pk_mov_b32 v[2:3], s[16:17], s[16:17] op_sel:[0,1]
	flat_load_dwordx2 v[2:3], v[2:3]
.LBB312_2:
	s_andn2_b64 vcc, exec, s[2:3]
	v_pk_mov_b32 v[4:5], s[0:1], s[0:1] op_sel:[0,1]
	s_cbranch_vccnz .LBB312_4
; %bb.3:
	v_pk_mov_b32 v[4:5], s[0:1], s[0:1] op_sel:[0,1]
	flat_load_dwordx2 v[4:5], v[4:5]
.LBB312_4:
	s_waitcnt vmcnt(0) lgkmcnt(0)
	v_cmp_neq_f64_e32 vcc, 0, v[2:3]
	v_cmp_neq_f64_e64 s[0:1], 1.0, v[4:5]
	s_or_b64 s[0:1], vcc, s[0:1]
	s_and_saveexec_b64 s[2:3], s[0:1]
	s_cbranch_execz .LBB312_16
; %bb.5:
	s_load_dword s21, s[4:5], 0x4
	v_lshl_or_b32 v1, s6, 8, v0
	v_lshrrev_b32_e32 v6, 5, v1
	s_waitcnt lgkmcnt(0)
	v_cmp_gt_i32_e32 vcc, s21, v6
	s_and_b64 exec, exec, vcc
	s_cbranch_execz .LBB312_16
; %bb.6:
	s_load_dword s0, s[4:5], 0x50
	s_load_dwordx2 s[6:7], s[4:5], 0x40
	s_load_dwordx8 s[8:15], s[4:5], 0x18
	v_and_b32_e32 v0, 31, v0
	v_subrev_co_u32_e32 v18, vcc, s20, v0
	s_waitcnt lgkmcnt(0)
	s_lshl_b32 s24, s0, 3
	v_subb_co_u32_e64 v19, s[0:1], 0, 0, vcc
	s_ashr_i32 s1, s20, 31
	s_mov_b32 s0, s20
	s_lshl_b64 s[0:1], s[0:1], 3
	s_sub_u32 s25, s14, s0
	s_mov_b32 s4, 0
	s_subb_u32 s5, s15, s1
	v_cmp_eq_u32_e64 s[0:1], 31, v0
	s_mov_b64 s[14:15], 0
	v_cmp_neq_f64_e64 s[2:3], 0, v[4:5]
	v_mov_b32_e32 v20, s19
	v_mov_b32_e32 v21, s9
	;; [unrolled: 1-line block ×4, first 2 shown]
	s_branch .LBB312_9
.LBB312_7:                              ;   in Loop: Header=BB312_9 Depth=1
	s_or_b64 exec, exec, s[16:17]
	global_store_dwordx2 v[0:1], v[8:9], off
.LBB312_8:                              ;   in Loop: Header=BB312_9 Depth=1
	s_or_b64 exec, exec, s[4:5]
	v_add_u32_e32 v6, s24, v6
	v_cmp_le_i32_e32 vcc, s21, v6
	s_or_b64 s[14:15], vcc, s[14:15]
	s_andn2_b64 exec, exec, s[14:15]
	s_cbranch_execz .LBB312_16
.LBB312_9:                              ; =>This Loop Header: Depth=1
                                        ;     Child Loop BB312_11 Depth 2
	v_ashrrev_i32_e32 v7, 31, v6
	v_lshlrev_b64 v[0:1], 3, v[6:7]
	v_add_co_u32_e32 v8, vcc, s8, v0
	v_addc_co_u32_e32 v9, vcc, v21, v1, vcc
	global_load_dwordx2 v[8:9], v[8:9], off
	v_add_co_u32_e32 v10, vcc, s18, v0
	v_addc_co_u32_e32 v11, vcc, v20, v1, vcc
	global_load_dwordx2 v[10:11], v[10:11], off
	v_pk_mov_b32 v[12:13], 0, 0
	s_waitcnt vmcnt(1)
	v_subrev_co_u32_e32 v8, vcc, s20, v8
	v_subb_co_u32_e32 v9, vcc, v9, v22, vcc
	s_waitcnt vmcnt(0)
	v_add_co_u32_e32 v10, vcc, v10, v18
	v_addc_co_u32_e32 v11, vcc, v11, v19, vcc
	v_cmp_lt_i64_e32 vcc, v[10:11], v[8:9]
	s_and_saveexec_b64 s[16:17], vcc
	s_cbranch_execz .LBB312_13
; %bb.10:                               ;   in Loop: Header=BB312_9 Depth=1
	v_lshlrev_b64 v[12:13], 2, v[10:11]
	v_mov_b32_e32 v7, s13
	v_add_co_u32_e32 v14, vcc, s12, v12
	v_addc_co_u32_e32 v15, vcc, v7, v13, vcc
	v_mov_b32_e32 v7, s11
	v_add_co_u32_e32 v16, vcc, s10, v12
	v_addc_co_u32_e32 v17, vcc, v7, v13, vcc
	s_mov_b64 s[22:23], 0
	v_pk_mov_b32 v[12:13], 0, 0
.LBB312_11:                             ;   Parent Loop BB312_9 Depth=1
                                        ; =>  This Inner Loop Header: Depth=2
	global_load_dword v24, v[16:17], off
	global_load_dword v7, v[14:15], off
	s_waitcnt vmcnt(1)
	v_ashrrev_i32_e32 v25, 31, v24
	v_lshlrev_b64 v[24:25], 3, v[24:25]
	v_add_co_u32_e32 v24, vcc, s25, v24
	v_addc_co_u32_e32 v25, vcc, v23, v25, vcc
	global_load_dwordx2 v[24:25], v[24:25], off
	v_add_co_u32_e32 v10, vcc, 32, v10
	v_addc_co_u32_e32 v11, vcc, 0, v11, vcc
	v_add_co_u32_e32 v14, vcc, 0x80, v14
	v_addc_co_u32_e32 v15, vcc, 0, v15, vcc
	s_waitcnt vmcnt(1)
	v_cvt_f64_f32_e32 v[26:27], v7
	v_add_co_u32_e32 v16, vcc, 0x80, v16
	v_cmp_ge_i64_e64 s[4:5], v[10:11], v[8:9]
	v_mul_f64 v[26:27], v[2:3], v[26:27]
	v_addc_co_u32_e32 v17, vcc, 0, v17, vcc
	s_or_b64 s[22:23], s[4:5], s[22:23]
	s_waitcnt vmcnt(0)
	v_fmac_f64_e32 v[12:13], v[26:27], v[24:25]
	s_andn2_b64 exec, exec, s[22:23]
	s_cbranch_execnz .LBB312_11
; %bb.12:                               ;   in Loop: Header=BB312_9 Depth=1
	s_or_b64 exec, exec, s[22:23]
.LBB312_13:                             ;   in Loop: Header=BB312_9 Depth=1
	s_or_b64 exec, exec, s[16:17]
	v_mov_b32_dpp v8, v12 row_shr:1 row_mask:0xf bank_mask:0xf
	v_mov_b32_dpp v9, v13 row_shr:1 row_mask:0xf bank_mask:0xf
	v_add_f64 v[8:9], v[12:13], v[8:9]
	s_nop 1
	v_mov_b32_dpp v10, v8 row_shr:2 row_mask:0xf bank_mask:0xf
	v_mov_b32_dpp v11, v9 row_shr:2 row_mask:0xf bank_mask:0xf
	v_add_f64 v[8:9], v[8:9], v[10:11]
	s_nop 1
	;; [unrolled: 4-line block ×4, first 2 shown]
	v_mov_b32_dpp v10, v8 row_bcast:15 row_mask:0xa bank_mask:0xf
	v_mov_b32_dpp v11, v9 row_bcast:15 row_mask:0xa bank_mask:0xf
	s_and_saveexec_b64 s[4:5], s[0:1]
	s_cbranch_execz .LBB312_8
; %bb.14:                               ;   in Loop: Header=BB312_9 Depth=1
	v_mov_b32_e32 v7, s7
	v_add_co_u32_e32 v0, vcc, s6, v0
	v_add_f64 v[8:9], v[8:9], v[10:11]
	v_addc_co_u32_e32 v1, vcc, v7, v1, vcc
	s_and_saveexec_b64 s[16:17], s[2:3]
	s_cbranch_execz .LBB312_7
; %bb.15:                               ;   in Loop: Header=BB312_9 Depth=1
	global_load_dwordx2 v[10:11], v[0:1], off
	s_waitcnt vmcnt(0)
	v_fmac_f64_e32 v[8:9], v[4:5], v[10:11]
	s_branch .LBB312_7
.LBB312_16:
	s_endpgm
	.section	.rodata,"a",@progbits
	.p2align	6, 0x0
	.amdhsa_kernel _ZN9rocsparseL21csrmvn_general_kernelILj256ELj32ElifdddEEvbT2_NS_24const_host_device_scalarIT6_EEPKT1_S7_PKS1_PKT3_PKT4_S4_PT5_21rocsparse_index_base_b
		.amdhsa_group_segment_fixed_size 0
		.amdhsa_private_segment_fixed_size 0
		.amdhsa_kernarg_size 336
		.amdhsa_user_sgpr_count 6
		.amdhsa_user_sgpr_private_segment_buffer 1
		.amdhsa_user_sgpr_dispatch_ptr 0
		.amdhsa_user_sgpr_queue_ptr 0
		.amdhsa_user_sgpr_kernarg_segment_ptr 1
		.amdhsa_user_sgpr_dispatch_id 0
		.amdhsa_user_sgpr_flat_scratch_init 0
		.amdhsa_user_sgpr_kernarg_preload_length 0
		.amdhsa_user_sgpr_kernarg_preload_offset 0
		.amdhsa_user_sgpr_private_segment_size 0
		.amdhsa_uses_dynamic_stack 0
		.amdhsa_system_sgpr_private_segment_wavefront_offset 0
		.amdhsa_system_sgpr_workgroup_id_x 1
		.amdhsa_system_sgpr_workgroup_id_y 0
		.amdhsa_system_sgpr_workgroup_id_z 0
		.amdhsa_system_sgpr_workgroup_info 0
		.amdhsa_system_vgpr_workitem_id 0
		.amdhsa_next_free_vgpr 28
		.amdhsa_next_free_sgpr 26
		.amdhsa_accum_offset 28
		.amdhsa_reserve_vcc 1
		.amdhsa_reserve_flat_scratch 0
		.amdhsa_float_round_mode_32 0
		.amdhsa_float_round_mode_16_64 0
		.amdhsa_float_denorm_mode_32 3
		.amdhsa_float_denorm_mode_16_64 3
		.amdhsa_dx10_clamp 1
		.amdhsa_ieee_mode 1
		.amdhsa_fp16_overflow 0
		.amdhsa_tg_split 0
		.amdhsa_exception_fp_ieee_invalid_op 0
		.amdhsa_exception_fp_denorm_src 0
		.amdhsa_exception_fp_ieee_div_zero 0
		.amdhsa_exception_fp_ieee_overflow 0
		.amdhsa_exception_fp_ieee_underflow 0
		.amdhsa_exception_fp_ieee_inexact 0
		.amdhsa_exception_int_div_zero 0
	.end_amdhsa_kernel
	.section	.text._ZN9rocsparseL21csrmvn_general_kernelILj256ELj32ElifdddEEvbT2_NS_24const_host_device_scalarIT6_EEPKT1_S7_PKS1_PKT3_PKT4_S4_PT5_21rocsparse_index_base_b,"axG",@progbits,_ZN9rocsparseL21csrmvn_general_kernelILj256ELj32ElifdddEEvbT2_NS_24const_host_device_scalarIT6_EEPKT1_S7_PKS1_PKT3_PKT4_S4_PT5_21rocsparse_index_base_b,comdat
.Lfunc_end312:
	.size	_ZN9rocsparseL21csrmvn_general_kernelILj256ELj32ElifdddEEvbT2_NS_24const_host_device_scalarIT6_EEPKT1_S7_PKS1_PKT3_PKT4_S4_PT5_21rocsparse_index_base_b, .Lfunc_end312-_ZN9rocsparseL21csrmvn_general_kernelILj256ELj32ElifdddEEvbT2_NS_24const_host_device_scalarIT6_EEPKT1_S7_PKS1_PKT3_PKT4_S4_PT5_21rocsparse_index_base_b
                                        ; -- End function
	.section	.AMDGPU.csdata,"",@progbits
; Kernel info:
; codeLenInByte = 768
; NumSgprs: 30
; NumVgprs: 28
; NumAgprs: 0
; TotalNumVgprs: 28
; ScratchSize: 0
; MemoryBound: 1
; FloatMode: 240
; IeeeMode: 1
; LDSByteSize: 0 bytes/workgroup (compile time only)
; SGPRBlocks: 3
; VGPRBlocks: 3
; NumSGPRsForWavesPerEU: 30
; NumVGPRsForWavesPerEU: 28
; AccumOffset: 28
; Occupancy: 8
; WaveLimiterHint : 1
; COMPUTE_PGM_RSRC2:SCRATCH_EN: 0
; COMPUTE_PGM_RSRC2:USER_SGPR: 6
; COMPUTE_PGM_RSRC2:TRAP_HANDLER: 0
; COMPUTE_PGM_RSRC2:TGID_X_EN: 1
; COMPUTE_PGM_RSRC2:TGID_Y_EN: 0
; COMPUTE_PGM_RSRC2:TGID_Z_EN: 0
; COMPUTE_PGM_RSRC2:TIDIG_COMP_CNT: 0
; COMPUTE_PGM_RSRC3_GFX90A:ACCUM_OFFSET: 6
; COMPUTE_PGM_RSRC3_GFX90A:TG_SPLIT: 0
	.section	.text._ZN9rocsparseL21csrmvn_general_kernelILj256ELj64ElifdddEEvbT2_NS_24const_host_device_scalarIT6_EEPKT1_S7_PKS1_PKT3_PKT4_S4_PT5_21rocsparse_index_base_b,"axG",@progbits,_ZN9rocsparseL21csrmvn_general_kernelILj256ELj64ElifdddEEvbT2_NS_24const_host_device_scalarIT6_EEPKT1_S7_PKS1_PKT3_PKT4_S4_PT5_21rocsparse_index_base_b,comdat
	.globl	_ZN9rocsparseL21csrmvn_general_kernelILj256ELj64ElifdddEEvbT2_NS_24const_host_device_scalarIT6_EEPKT1_S7_PKS1_PKT3_PKT4_S4_PT5_21rocsparse_index_base_b ; -- Begin function _ZN9rocsparseL21csrmvn_general_kernelILj256ELj64ElifdddEEvbT2_NS_24const_host_device_scalarIT6_EEPKT1_S7_PKS1_PKT3_PKT4_S4_PT5_21rocsparse_index_base_b
	.p2align	8
	.type	_ZN9rocsparseL21csrmvn_general_kernelILj256ELj64ElifdddEEvbT2_NS_24const_host_device_scalarIT6_EEPKT1_S7_PKS1_PKT3_PKT4_S4_PT5_21rocsparse_index_base_b,@function
_ZN9rocsparseL21csrmvn_general_kernelILj256ELj64ElifdddEEvbT2_NS_24const_host_device_scalarIT6_EEPKT1_S7_PKS1_PKT3_PKT4_S4_PT5_21rocsparse_index_base_b: ; @_ZN9rocsparseL21csrmvn_general_kernelILj256ELj64ElifdddEEvbT2_NS_24const_host_device_scalarIT6_EEPKT1_S7_PKS1_PKT3_PKT4_S4_PT5_21rocsparse_index_base_b
; %bb.0:
	s_load_dwordx2 s[20:21], s[4:5], 0x48
	s_load_dwordx4 s[16:19], s[4:5], 0x8
	s_load_dwordx2 s[0:1], s[4:5], 0x38
	s_waitcnt lgkmcnt(0)
	s_bitcmp1_b32 s21, 0
	s_cselect_b64 s[8:9], -1, 0
	s_xor_b64 s[2:3], s[8:9], -1
	s_and_b64 vcc, exec, s[8:9]
	v_pk_mov_b32 v[2:3], s[16:17], s[16:17] op_sel:[0,1]
	s_cbranch_vccnz .LBB313_2
; %bb.1:
	v_pk_mov_b32 v[2:3], s[16:17], s[16:17] op_sel:[0,1]
	flat_load_dwordx2 v[2:3], v[2:3]
.LBB313_2:
	s_andn2_b64 vcc, exec, s[2:3]
	v_pk_mov_b32 v[4:5], s[0:1], s[0:1] op_sel:[0,1]
	s_cbranch_vccnz .LBB313_4
; %bb.3:
	v_pk_mov_b32 v[4:5], s[0:1], s[0:1] op_sel:[0,1]
	flat_load_dwordx2 v[4:5], v[4:5]
.LBB313_4:
	s_waitcnt vmcnt(0) lgkmcnt(0)
	v_cmp_neq_f64_e32 vcc, 0, v[2:3]
	v_cmp_neq_f64_e64 s[0:1], 1.0, v[4:5]
	s_or_b64 s[0:1], vcc, s[0:1]
	s_and_saveexec_b64 s[2:3], s[0:1]
	s_cbranch_execz .LBB313_16
; %bb.5:
	s_load_dword s21, s[4:5], 0x4
	v_lshl_or_b32 v1, s6, 8, v0
	v_lshrrev_b32_e32 v6, 6, v1
	s_waitcnt lgkmcnt(0)
	v_cmp_gt_i32_e32 vcc, s21, v6
	s_and_b64 exec, exec, vcc
	s_cbranch_execz .LBB313_16
; %bb.6:
	s_load_dword s0, s[4:5], 0x50
	s_load_dwordx2 s[6:7], s[4:5], 0x40
	s_load_dwordx8 s[8:15], s[4:5], 0x18
	v_and_b32_e32 v0, 63, v0
	v_subrev_co_u32_e32 v18, vcc, s20, v0
	s_waitcnt lgkmcnt(0)
	s_lshl_b32 s24, s0, 2
	v_subb_co_u32_e64 v19, s[0:1], 0, 0, vcc
	s_ashr_i32 s1, s20, 31
	s_mov_b32 s0, s20
	s_lshl_b64 s[0:1], s[0:1], 3
	s_sub_u32 s25, s14, s0
	s_mov_b32 s4, 0
	s_subb_u32 s5, s15, s1
	v_cmp_eq_u32_e64 s[0:1], 63, v0
	s_mov_b64 s[14:15], 0
	v_cmp_neq_f64_e64 s[2:3], 0, v[4:5]
	v_mov_b32_e32 v20, s19
	v_mov_b32_e32 v21, s9
	;; [unrolled: 1-line block ×4, first 2 shown]
	s_branch .LBB313_9
.LBB313_7:                              ;   in Loop: Header=BB313_9 Depth=1
	s_or_b64 exec, exec, s[16:17]
	global_store_dwordx2 v[0:1], v[8:9], off
.LBB313_8:                              ;   in Loop: Header=BB313_9 Depth=1
	s_or_b64 exec, exec, s[4:5]
	v_add_u32_e32 v6, s24, v6
	v_cmp_le_i32_e32 vcc, s21, v6
	s_or_b64 s[14:15], vcc, s[14:15]
	s_andn2_b64 exec, exec, s[14:15]
	s_cbranch_execz .LBB313_16
.LBB313_9:                              ; =>This Loop Header: Depth=1
                                        ;     Child Loop BB313_11 Depth 2
	v_ashrrev_i32_e32 v7, 31, v6
	v_lshlrev_b64 v[0:1], 3, v[6:7]
	v_add_co_u32_e32 v8, vcc, s8, v0
	v_addc_co_u32_e32 v9, vcc, v21, v1, vcc
	global_load_dwordx2 v[8:9], v[8:9], off
	v_add_co_u32_e32 v10, vcc, s18, v0
	v_addc_co_u32_e32 v11, vcc, v20, v1, vcc
	global_load_dwordx2 v[10:11], v[10:11], off
	v_pk_mov_b32 v[12:13], 0, 0
	s_waitcnt vmcnt(1)
	v_subrev_co_u32_e32 v8, vcc, s20, v8
	v_subb_co_u32_e32 v9, vcc, v9, v22, vcc
	s_waitcnt vmcnt(0)
	v_add_co_u32_e32 v10, vcc, v10, v18
	v_addc_co_u32_e32 v11, vcc, v11, v19, vcc
	v_cmp_lt_i64_e32 vcc, v[10:11], v[8:9]
	s_and_saveexec_b64 s[16:17], vcc
	s_cbranch_execz .LBB313_13
; %bb.10:                               ;   in Loop: Header=BB313_9 Depth=1
	v_lshlrev_b64 v[12:13], 2, v[10:11]
	v_mov_b32_e32 v7, s13
	v_add_co_u32_e32 v14, vcc, s12, v12
	v_addc_co_u32_e32 v15, vcc, v7, v13, vcc
	v_mov_b32_e32 v7, s11
	v_add_co_u32_e32 v16, vcc, s10, v12
	v_addc_co_u32_e32 v17, vcc, v7, v13, vcc
	s_mov_b64 s[22:23], 0
	v_pk_mov_b32 v[12:13], 0, 0
.LBB313_11:                             ;   Parent Loop BB313_9 Depth=1
                                        ; =>  This Inner Loop Header: Depth=2
	global_load_dword v24, v[16:17], off
	global_load_dword v7, v[14:15], off
	s_waitcnt vmcnt(1)
	v_ashrrev_i32_e32 v25, 31, v24
	v_lshlrev_b64 v[24:25], 3, v[24:25]
	v_add_co_u32_e32 v24, vcc, s25, v24
	v_addc_co_u32_e32 v25, vcc, v23, v25, vcc
	global_load_dwordx2 v[24:25], v[24:25], off
	v_add_co_u32_e32 v10, vcc, 64, v10
	v_addc_co_u32_e32 v11, vcc, 0, v11, vcc
	v_add_co_u32_e32 v14, vcc, 0x100, v14
	v_addc_co_u32_e32 v15, vcc, 0, v15, vcc
	s_waitcnt vmcnt(1)
	v_cvt_f64_f32_e32 v[26:27], v7
	v_add_co_u32_e32 v16, vcc, 0x100, v16
	v_cmp_ge_i64_e64 s[4:5], v[10:11], v[8:9]
	v_mul_f64 v[26:27], v[2:3], v[26:27]
	v_addc_co_u32_e32 v17, vcc, 0, v17, vcc
	s_or_b64 s[22:23], s[4:5], s[22:23]
	s_waitcnt vmcnt(0)
	v_fmac_f64_e32 v[12:13], v[26:27], v[24:25]
	s_andn2_b64 exec, exec, s[22:23]
	s_cbranch_execnz .LBB313_11
; %bb.12:                               ;   in Loop: Header=BB313_9 Depth=1
	s_or_b64 exec, exec, s[22:23]
.LBB313_13:                             ;   in Loop: Header=BB313_9 Depth=1
	s_or_b64 exec, exec, s[16:17]
	v_mov_b32_dpp v8, v12 row_shr:1 row_mask:0xf bank_mask:0xf
	v_mov_b32_dpp v9, v13 row_shr:1 row_mask:0xf bank_mask:0xf
	v_add_f64 v[8:9], v[12:13], v[8:9]
	s_nop 1
	v_mov_b32_dpp v10, v8 row_shr:2 row_mask:0xf bank_mask:0xf
	v_mov_b32_dpp v11, v9 row_shr:2 row_mask:0xf bank_mask:0xf
	v_add_f64 v[8:9], v[8:9], v[10:11]
	s_nop 1
	;; [unrolled: 4-line block ×4, first 2 shown]
	v_mov_b32_dpp v10, v8 row_bcast:15 row_mask:0xa bank_mask:0xf
	v_mov_b32_dpp v11, v9 row_bcast:15 row_mask:0xa bank_mask:0xf
	v_add_f64 v[8:9], v[8:9], v[10:11]
	s_nop 1
	v_mov_b32_dpp v10, v8 row_bcast:31 row_mask:0xc bank_mask:0xf
	v_mov_b32_dpp v11, v9 row_bcast:31 row_mask:0xc bank_mask:0xf
	s_and_saveexec_b64 s[4:5], s[0:1]
	s_cbranch_execz .LBB313_8
; %bb.14:                               ;   in Loop: Header=BB313_9 Depth=1
	v_mov_b32_e32 v7, s7
	v_add_co_u32_e32 v0, vcc, s6, v0
	v_add_f64 v[8:9], v[8:9], v[10:11]
	v_addc_co_u32_e32 v1, vcc, v7, v1, vcc
	s_and_saveexec_b64 s[16:17], s[2:3]
	s_cbranch_execz .LBB313_7
; %bb.15:                               ;   in Loop: Header=BB313_9 Depth=1
	global_load_dwordx2 v[10:11], v[0:1], off
	s_waitcnt vmcnt(0)
	v_fmac_f64_e32 v[8:9], v[4:5], v[10:11]
	s_branch .LBB313_7
.LBB313_16:
	s_endpgm
	.section	.rodata,"a",@progbits
	.p2align	6, 0x0
	.amdhsa_kernel _ZN9rocsparseL21csrmvn_general_kernelILj256ELj64ElifdddEEvbT2_NS_24const_host_device_scalarIT6_EEPKT1_S7_PKS1_PKT3_PKT4_S4_PT5_21rocsparse_index_base_b
		.amdhsa_group_segment_fixed_size 0
		.amdhsa_private_segment_fixed_size 0
		.amdhsa_kernarg_size 336
		.amdhsa_user_sgpr_count 6
		.amdhsa_user_sgpr_private_segment_buffer 1
		.amdhsa_user_sgpr_dispatch_ptr 0
		.amdhsa_user_sgpr_queue_ptr 0
		.amdhsa_user_sgpr_kernarg_segment_ptr 1
		.amdhsa_user_sgpr_dispatch_id 0
		.amdhsa_user_sgpr_flat_scratch_init 0
		.amdhsa_user_sgpr_kernarg_preload_length 0
		.amdhsa_user_sgpr_kernarg_preload_offset 0
		.amdhsa_user_sgpr_private_segment_size 0
		.amdhsa_uses_dynamic_stack 0
		.amdhsa_system_sgpr_private_segment_wavefront_offset 0
		.amdhsa_system_sgpr_workgroup_id_x 1
		.amdhsa_system_sgpr_workgroup_id_y 0
		.amdhsa_system_sgpr_workgroup_id_z 0
		.amdhsa_system_sgpr_workgroup_info 0
		.amdhsa_system_vgpr_workitem_id 0
		.amdhsa_next_free_vgpr 28
		.amdhsa_next_free_sgpr 26
		.amdhsa_accum_offset 28
		.amdhsa_reserve_vcc 1
		.amdhsa_reserve_flat_scratch 0
		.amdhsa_float_round_mode_32 0
		.amdhsa_float_round_mode_16_64 0
		.amdhsa_float_denorm_mode_32 3
		.amdhsa_float_denorm_mode_16_64 3
		.amdhsa_dx10_clamp 1
		.amdhsa_ieee_mode 1
		.amdhsa_fp16_overflow 0
		.amdhsa_tg_split 0
		.amdhsa_exception_fp_ieee_invalid_op 0
		.amdhsa_exception_fp_denorm_src 0
		.amdhsa_exception_fp_ieee_div_zero 0
		.amdhsa_exception_fp_ieee_overflow 0
		.amdhsa_exception_fp_ieee_underflow 0
		.amdhsa_exception_fp_ieee_inexact 0
		.amdhsa_exception_int_div_zero 0
	.end_amdhsa_kernel
	.section	.text._ZN9rocsparseL21csrmvn_general_kernelILj256ELj64ElifdddEEvbT2_NS_24const_host_device_scalarIT6_EEPKT1_S7_PKS1_PKT3_PKT4_S4_PT5_21rocsparse_index_base_b,"axG",@progbits,_ZN9rocsparseL21csrmvn_general_kernelILj256ELj64ElifdddEEvbT2_NS_24const_host_device_scalarIT6_EEPKT1_S7_PKS1_PKT3_PKT4_S4_PT5_21rocsparse_index_base_b,comdat
.Lfunc_end313:
	.size	_ZN9rocsparseL21csrmvn_general_kernelILj256ELj64ElifdddEEvbT2_NS_24const_host_device_scalarIT6_EEPKT1_S7_PKS1_PKT3_PKT4_S4_PT5_21rocsparse_index_base_b, .Lfunc_end313-_ZN9rocsparseL21csrmvn_general_kernelILj256ELj64ElifdddEEvbT2_NS_24const_host_device_scalarIT6_EEPKT1_S7_PKS1_PKT3_PKT4_S4_PT5_21rocsparse_index_base_b
                                        ; -- End function
	.section	.AMDGPU.csdata,"",@progbits
; Kernel info:
; codeLenInByte = 796
; NumSgprs: 30
; NumVgprs: 28
; NumAgprs: 0
; TotalNumVgprs: 28
; ScratchSize: 0
; MemoryBound: 1
; FloatMode: 240
; IeeeMode: 1
; LDSByteSize: 0 bytes/workgroup (compile time only)
; SGPRBlocks: 3
; VGPRBlocks: 3
; NumSGPRsForWavesPerEU: 30
; NumVGPRsForWavesPerEU: 28
; AccumOffset: 28
; Occupancy: 8
; WaveLimiterHint : 1
; COMPUTE_PGM_RSRC2:SCRATCH_EN: 0
; COMPUTE_PGM_RSRC2:USER_SGPR: 6
; COMPUTE_PGM_RSRC2:TRAP_HANDLER: 0
; COMPUTE_PGM_RSRC2:TGID_X_EN: 1
; COMPUTE_PGM_RSRC2:TGID_Y_EN: 0
; COMPUTE_PGM_RSRC2:TGID_Z_EN: 0
; COMPUTE_PGM_RSRC2:TIDIG_COMP_CNT: 0
; COMPUTE_PGM_RSRC3_GFX90A:ACCUM_OFFSET: 6
; COMPUTE_PGM_RSRC3_GFX90A:TG_SPLIT: 0
	.section	.text._ZN9rocsparseL21csrmvt_general_kernelILj256ELj4ElifdddEEvbbT2_NS_24const_host_device_scalarIT6_EEPKT1_S7_PKS1_PKT3_PKT4_PT5_21rocsparse_index_base_b,"axG",@progbits,_ZN9rocsparseL21csrmvt_general_kernelILj256ELj4ElifdddEEvbbT2_NS_24const_host_device_scalarIT6_EEPKT1_S7_PKS1_PKT3_PKT4_PT5_21rocsparse_index_base_b,comdat
	.globl	_ZN9rocsparseL21csrmvt_general_kernelILj256ELj4ElifdddEEvbbT2_NS_24const_host_device_scalarIT6_EEPKT1_S7_PKS1_PKT3_PKT4_PT5_21rocsparse_index_base_b ; -- Begin function _ZN9rocsparseL21csrmvt_general_kernelILj256ELj4ElifdddEEvbbT2_NS_24const_host_device_scalarIT6_EEPKT1_S7_PKS1_PKT3_PKT4_PT5_21rocsparse_index_base_b
	.p2align	8
	.type	_ZN9rocsparseL21csrmvt_general_kernelILj256ELj4ElifdddEEvbbT2_NS_24const_host_device_scalarIT6_EEPKT1_S7_PKS1_PKT3_PKT4_PT5_21rocsparse_index_base_b,@function
_ZN9rocsparseL21csrmvt_general_kernelILj256ELj4ElifdddEEvbbT2_NS_24const_host_device_scalarIT6_EEPKT1_S7_PKS1_PKT3_PKT4_PT5_21rocsparse_index_base_b: ; @_ZN9rocsparseL21csrmvt_general_kernelILj256ELj4ElifdddEEvbbT2_NS_24const_host_device_scalarIT6_EEPKT1_S7_PKS1_PKT3_PKT4_PT5_21rocsparse_index_base_b
; %bb.0:
	s_load_dwordx2 s[16:17], s[4:5], 0x40
	s_load_dwordx4 s[0:3], s[4:5], 0x8
	s_waitcnt lgkmcnt(0)
	s_bitcmp1_b32 s17, 0
	s_cselect_b64 s[8:9], -1, 0
	s_and_b64 vcc, exec, s[8:9]
	v_pk_mov_b32 v[4:5], s[0:1], s[0:1] op_sel:[0,1]
	s_cbranch_vccnz .LBB314_2
; %bb.1:
	v_pk_mov_b32 v[2:3], s[0:1], s[0:1] op_sel:[0,1]
	flat_load_dwordx2 v[4:5], v[2:3]
.LBB314_2:
	s_waitcnt vmcnt(0) lgkmcnt(0)
	v_cmp_neq_f64_e32 vcc, 0, v[4:5]
	s_and_saveexec_b64 s[0:1], vcc
	s_cbranch_execz .LBB314_23
; %bb.3:
	s_load_dwordx2 s[18:19], s[4:5], 0x0
	s_load_dword s0, s[4:5], 0x48
	s_load_dwordx2 s[20:21], s[4:5], 0x38
	s_load_dwordx8 s[8:15], s[4:5], 0x18
	v_and_b32_e32 v7, 3, v0
	v_lshl_or_b32 v0, s6, 8, v0
	s_waitcnt lgkmcnt(0)
	s_and_b32 s1, s18, 1
	s_lshl_b32 s17, s0, 6
	v_lshrrev_b32_e32 v6, 2, v0
	s_cmp_eq_u32 s1, 0
	v_cmp_gt_i32_e64 s[0:1], s19, v6
	s_mov_b64 s[4:5], -1
	s_cbranch_scc0 .LBB314_13
; %bb.4:
	s_and_saveexec_b64 s[4:5], s[0:1]
	s_cbranch_execz .LBB314_12
; %bb.5:
	v_subrev_co_u32_e32 v20, vcc, s16, v7
	s_mov_b32 s18, 0
	v_subb_co_u32_e64 v21, s[6:7], 0, 0, vcc
	s_mov_b64 s[6:7], 0
	v_mov_b32_e32 v22, s3
	v_mov_b32_e32 v23, s9
	;; [unrolled: 1-line block ×4, first 2 shown]
	s_branch .LBB314_7
.LBB314_6:                              ;   in Loop: Header=BB314_7 Depth=1
	s_or_b64 exec, exec, s[22:23]
	v_add_u32_e32 v8, s17, v8
	v_cmp_le_i32_e32 vcc, s19, v8
	s_or_b64 s[6:7], vcc, s[6:7]
	s_andn2_b64 exec, exec, s[6:7]
	s_cbranch_execz .LBB314_12
.LBB314_7:                              ; =>This Loop Header: Depth=1
                                        ;     Child Loop BB314_9 Depth 2
                                        ;       Child Loop BB314_10 Depth 3
	v_ashrrev_i32_e32 v9, 31, v8
	v_lshlrev_b64 v[0:1], 3, v[8:9]
	v_add_co_u32_e32 v2, vcc, s8, v0
	v_addc_co_u32_e32 v3, vcc, v23, v1, vcc
	global_load_dwordx2 v[2:3], v[2:3], off
	v_add_co_u32_e32 v10, vcc, s2, v0
	v_addc_co_u32_e32 v11, vcc, v22, v1, vcc
	global_load_dwordx2 v[12:13], v[10:11], off
	s_waitcnt vmcnt(1)
	v_subrev_co_u32_e32 v10, vcc, s16, v2
	v_subb_co_u32_e32 v11, vcc, v3, v24, vcc
	s_waitcnt vmcnt(0)
	v_add_co_u32_e32 v12, vcc, v12, v20
	v_addc_co_u32_e32 v13, vcc, v13, v21, vcc
	v_cmp_lt_i64_e32 vcc, v[12:13], v[10:11]
	s_and_saveexec_b64 s[22:23], vcc
	s_cbranch_execz .LBB314_6
; %bb.8:                                ;   in Loop: Header=BB314_7 Depth=1
	v_mov_b32_e32 v2, s15
	v_add_co_u32_e32 v0, vcc, s14, v0
	v_addc_co_u32_e32 v1, vcc, v2, v1, vcc
	global_load_dwordx2 v[0:1], v[0:1], off
	s_mov_b64 s[24:25], 0
	s_waitcnt vmcnt(0)
	v_mul_f64 v[14:15], v[4:5], v[0:1]
.LBB314_9:                              ;   Parent Loop BB314_7 Depth=1
                                        ; =>  This Loop Header: Depth=2
                                        ;       Child Loop BB314_10 Depth 3
	v_lshlrev_b64 v[0:1], 2, v[12:13]
	v_mov_b32_e32 v3, s11
	v_add_co_u32_e32 v2, vcc, s10, v0
	v_addc_co_u32_e32 v3, vcc, v3, v1, vcc
	global_load_dword v2, v[2:3], off
	v_mov_b32_e32 v3, s13
	v_add_co_u32_e32 v0, vcc, s12, v0
	v_addc_co_u32_e32 v1, vcc, v3, v1, vcc
	global_load_dword v18, v[0:1], off
	v_mov_b32_e32 v9, s21
	s_mov_b64 s[26:27], 0
	s_waitcnt vmcnt(1)
	v_subrev_u32_e32 v0, s16, v2
	v_ashrrev_i32_e32 v1, 31, v0
	v_lshlrev_b64 v[0:1], 3, v[0:1]
	v_add_co_u32_e32 v16, vcc, s20, v0
	v_addc_co_u32_e32 v17, vcc, v9, v1, vcc
	global_load_dwordx2 v[2:3], v[16:17], off
	s_waitcnt vmcnt(1)
	v_cvt_f64_f32_e32 v[0:1], v18
	v_mul_f64 v[18:19], v[14:15], v[0:1]
.LBB314_10:                             ;   Parent Loop BB314_7 Depth=1
                                        ;     Parent Loop BB314_9 Depth=2
                                        ; =>    This Inner Loop Header: Depth=3
	s_waitcnt vmcnt(0)
	v_add_f64 v[0:1], v[2:3], v[18:19]
	global_atomic_cmpswap_x2 v[0:1], v[16:17], v[0:3], off glc
	s_waitcnt vmcnt(0)
	v_cmp_eq_u64_e32 vcc, v[0:1], v[2:3]
	s_or_b64 s[26:27], vcc, s[26:27]
	v_pk_mov_b32 v[2:3], v[0:1], v[0:1] op_sel:[0,1]
	s_andn2_b64 exec, exec, s[26:27]
	s_cbranch_execnz .LBB314_10
; %bb.11:                               ;   in Loop: Header=BB314_9 Depth=2
	s_or_b64 exec, exec, s[26:27]
	v_add_co_u32_e32 v12, vcc, 4, v12
	v_addc_co_u32_e32 v13, vcc, 0, v13, vcc
	v_cmp_ge_i64_e32 vcc, v[12:13], v[10:11]
	s_or_b64 s[24:25], vcc, s[24:25]
	s_andn2_b64 exec, exec, s[24:25]
	s_cbranch_execnz .LBB314_9
	s_branch .LBB314_6
.LBB314_12:
	s_or_b64 exec, exec, s[4:5]
	s_mov_b64 s[4:5], 0
.LBB314_13:
	s_andn2_b64 vcc, exec, s[4:5]
	s_cbranch_vccnz .LBB314_23
; %bb.14:
	s_and_b64 exec, exec, s[0:1]
	s_cbranch_execz .LBB314_23
; %bb.15:
	v_subrev_co_u32_e32 v18, vcc, s16, v7
	s_mov_b32 s4, 0
	v_subb_co_u32_e64 v19, s[0:1], 0, 0, vcc
	s_mov_b64 s[0:1], 0
	v_mov_b32_e32 v20, s3
	v_mov_b32_e32 v21, s9
	;; [unrolled: 1-line block ×3, first 2 shown]
	s_branch .LBB314_17
.LBB314_16:                             ;   in Loop: Header=BB314_17 Depth=1
	s_or_b64 exec, exec, s[4:5]
	v_add_u32_e32 v6, s17, v6
	v_cmp_le_i32_e32 vcc, s19, v6
	s_or_b64 s[0:1], vcc, s[0:1]
	s_andn2_b64 exec, exec, s[0:1]
	s_cbranch_execz .LBB314_23
.LBB314_17:                             ; =>This Loop Header: Depth=1
                                        ;     Child Loop BB314_20 Depth 2
                                        ;       Child Loop BB314_22 Depth 3
	v_ashrrev_i32_e32 v7, 31, v6
	v_lshlrev_b64 v[0:1], 3, v[6:7]
	v_add_co_u32_e32 v2, vcc, s8, v0
	v_addc_co_u32_e32 v3, vcc, v21, v1, vcc
	global_load_dwordx2 v[2:3], v[2:3], off
	v_add_co_u32_e32 v8, vcc, s2, v0
	v_addc_co_u32_e32 v9, vcc, v20, v1, vcc
	global_load_dwordx2 v[10:11], v[8:9], off
	s_waitcnt vmcnt(1)
	v_subrev_co_u32_e32 v8, vcc, s16, v2
	v_subb_co_u32_e32 v9, vcc, v3, v22, vcc
	s_waitcnt vmcnt(0)
	v_add_co_u32_e32 v10, vcc, v10, v18
	v_addc_co_u32_e32 v11, vcc, v11, v19, vcc
	v_cmp_lt_i64_e32 vcc, v[10:11], v[8:9]
	s_and_saveexec_b64 s[4:5], vcc
	s_cbranch_execz .LBB314_16
; %bb.18:                               ;   in Loop: Header=BB314_17 Depth=1
	v_mov_b32_e32 v2, s15
	v_add_co_u32_e32 v0, vcc, s14, v0
	v_addc_co_u32_e32 v1, vcc, v2, v1, vcc
	global_load_dwordx2 v[0:1], v[0:1], off
	s_mov_b64 s[6:7], 0
	s_waitcnt vmcnt(0)
	v_mul_f64 v[12:13], v[4:5], v[0:1]
	s_branch .LBB314_20
.LBB314_19:                             ;   in Loop: Header=BB314_20 Depth=2
	s_or_b64 exec, exec, s[22:23]
	v_add_co_u32_e32 v10, vcc, 4, v10
	v_addc_co_u32_e32 v11, vcc, 0, v11, vcc
	v_cmp_ge_i64_e32 vcc, v[10:11], v[8:9]
	s_or_b64 s[6:7], vcc, s[6:7]
	s_andn2_b64 exec, exec, s[6:7]
	s_cbranch_execz .LBB314_16
.LBB314_20:                             ;   Parent Loop BB314_17 Depth=1
                                        ; =>  This Loop Header: Depth=2
                                        ;       Child Loop BB314_22 Depth 3
	v_lshlrev_b64 v[0:1], 2, v[10:11]
	v_mov_b32_e32 v3, s11
	v_add_co_u32_e32 v2, vcc, s10, v0
	v_addc_co_u32_e32 v3, vcc, v3, v1, vcc
	global_load_dword v2, v[2:3], off
	s_waitcnt vmcnt(0)
	v_subrev_u32_e32 v2, s16, v2
	v_cmp_ne_u32_e32 vcc, v2, v6
	s_and_saveexec_b64 s[22:23], vcc
	s_cbranch_execz .LBB314_19
; %bb.21:                               ;   in Loop: Header=BB314_20 Depth=2
	v_mov_b32_e32 v3, s13
	v_add_co_u32_e32 v0, vcc, s12, v0
	v_addc_co_u32_e32 v1, vcc, v3, v1, vcc
	v_ashrrev_i32_e32 v3, 31, v2
	v_lshlrev_b64 v[2:3], 3, v[2:3]
	v_mov_b32_e32 v7, s21
	global_load_dword v0, v[0:1], off
	v_add_co_u32_e32 v14, vcc, s20, v2
	v_addc_co_u32_e32 v15, vcc, v7, v3, vcc
	global_load_dwordx2 v[2:3], v[14:15], off
	s_mov_b64 s[24:25], 0
	s_waitcnt vmcnt(1)
	v_cvt_f64_f32_e32 v[0:1], v0
	v_mul_f64 v[16:17], v[12:13], v[0:1]
.LBB314_22:                             ;   Parent Loop BB314_17 Depth=1
                                        ;     Parent Loop BB314_20 Depth=2
                                        ; =>    This Inner Loop Header: Depth=3
	s_waitcnt vmcnt(0)
	v_add_f64 v[0:1], v[2:3], v[16:17]
	global_atomic_cmpswap_x2 v[0:1], v[14:15], v[0:3], off glc
	s_waitcnt vmcnt(0)
	v_cmp_eq_u64_e32 vcc, v[0:1], v[2:3]
	s_or_b64 s[24:25], vcc, s[24:25]
	v_pk_mov_b32 v[2:3], v[0:1], v[0:1] op_sel:[0,1]
	s_andn2_b64 exec, exec, s[24:25]
	s_cbranch_execnz .LBB314_22
	s_branch .LBB314_19
.LBB314_23:
	s_endpgm
	.section	.rodata,"a",@progbits
	.p2align	6, 0x0
	.amdhsa_kernel _ZN9rocsparseL21csrmvt_general_kernelILj256ELj4ElifdddEEvbbT2_NS_24const_host_device_scalarIT6_EEPKT1_S7_PKS1_PKT3_PKT4_PT5_21rocsparse_index_base_b
		.amdhsa_group_segment_fixed_size 0
		.amdhsa_private_segment_fixed_size 0
		.amdhsa_kernarg_size 328
		.amdhsa_user_sgpr_count 6
		.amdhsa_user_sgpr_private_segment_buffer 1
		.amdhsa_user_sgpr_dispatch_ptr 0
		.amdhsa_user_sgpr_queue_ptr 0
		.amdhsa_user_sgpr_kernarg_segment_ptr 1
		.amdhsa_user_sgpr_dispatch_id 0
		.amdhsa_user_sgpr_flat_scratch_init 0
		.amdhsa_user_sgpr_kernarg_preload_length 0
		.amdhsa_user_sgpr_kernarg_preload_offset 0
		.amdhsa_user_sgpr_private_segment_size 0
		.amdhsa_uses_dynamic_stack 0
		.amdhsa_system_sgpr_private_segment_wavefront_offset 0
		.amdhsa_system_sgpr_workgroup_id_x 1
		.amdhsa_system_sgpr_workgroup_id_y 0
		.amdhsa_system_sgpr_workgroup_id_z 0
		.amdhsa_system_sgpr_workgroup_info 0
		.amdhsa_system_vgpr_workitem_id 0
		.amdhsa_next_free_vgpr 25
		.amdhsa_next_free_sgpr 28
		.amdhsa_accum_offset 28
		.amdhsa_reserve_vcc 1
		.amdhsa_reserve_flat_scratch 0
		.amdhsa_float_round_mode_32 0
		.amdhsa_float_round_mode_16_64 0
		.amdhsa_float_denorm_mode_32 3
		.amdhsa_float_denorm_mode_16_64 3
		.amdhsa_dx10_clamp 1
		.amdhsa_ieee_mode 1
		.amdhsa_fp16_overflow 0
		.amdhsa_tg_split 0
		.amdhsa_exception_fp_ieee_invalid_op 0
		.amdhsa_exception_fp_denorm_src 0
		.amdhsa_exception_fp_ieee_div_zero 0
		.amdhsa_exception_fp_ieee_overflow 0
		.amdhsa_exception_fp_ieee_underflow 0
		.amdhsa_exception_fp_ieee_inexact 0
		.amdhsa_exception_int_div_zero 0
	.end_amdhsa_kernel
	.section	.text._ZN9rocsparseL21csrmvt_general_kernelILj256ELj4ElifdddEEvbbT2_NS_24const_host_device_scalarIT6_EEPKT1_S7_PKS1_PKT3_PKT4_PT5_21rocsparse_index_base_b,"axG",@progbits,_ZN9rocsparseL21csrmvt_general_kernelILj256ELj4ElifdddEEvbbT2_NS_24const_host_device_scalarIT6_EEPKT1_S7_PKS1_PKT3_PKT4_PT5_21rocsparse_index_base_b,comdat
.Lfunc_end314:
	.size	_ZN9rocsparseL21csrmvt_general_kernelILj256ELj4ElifdddEEvbbT2_NS_24const_host_device_scalarIT6_EEPKT1_S7_PKS1_PKT3_PKT4_PT5_21rocsparse_index_base_b, .Lfunc_end314-_ZN9rocsparseL21csrmvt_general_kernelILj256ELj4ElifdddEEvbbT2_NS_24const_host_device_scalarIT6_EEPKT1_S7_PKS1_PKT3_PKT4_PT5_21rocsparse_index_base_b
                                        ; -- End function
	.section	.AMDGPU.csdata,"",@progbits
; Kernel info:
; codeLenInByte = 940
; NumSgprs: 32
; NumVgprs: 25
; NumAgprs: 0
; TotalNumVgprs: 25
; ScratchSize: 0
; MemoryBound: 0
; FloatMode: 240
; IeeeMode: 1
; LDSByteSize: 0 bytes/workgroup (compile time only)
; SGPRBlocks: 3
; VGPRBlocks: 3
; NumSGPRsForWavesPerEU: 32
; NumVGPRsForWavesPerEU: 25
; AccumOffset: 28
; Occupancy: 8
; WaveLimiterHint : 1
; COMPUTE_PGM_RSRC2:SCRATCH_EN: 0
; COMPUTE_PGM_RSRC2:USER_SGPR: 6
; COMPUTE_PGM_RSRC2:TRAP_HANDLER: 0
; COMPUTE_PGM_RSRC2:TGID_X_EN: 1
; COMPUTE_PGM_RSRC2:TGID_Y_EN: 0
; COMPUTE_PGM_RSRC2:TGID_Z_EN: 0
; COMPUTE_PGM_RSRC2:TIDIG_COMP_CNT: 0
; COMPUTE_PGM_RSRC3_GFX90A:ACCUM_OFFSET: 6
; COMPUTE_PGM_RSRC3_GFX90A:TG_SPLIT: 0
	.section	.text._ZN9rocsparseL21csrmvt_general_kernelILj256ELj8ElifdddEEvbbT2_NS_24const_host_device_scalarIT6_EEPKT1_S7_PKS1_PKT3_PKT4_PT5_21rocsparse_index_base_b,"axG",@progbits,_ZN9rocsparseL21csrmvt_general_kernelILj256ELj8ElifdddEEvbbT2_NS_24const_host_device_scalarIT6_EEPKT1_S7_PKS1_PKT3_PKT4_PT5_21rocsparse_index_base_b,comdat
	.globl	_ZN9rocsparseL21csrmvt_general_kernelILj256ELj8ElifdddEEvbbT2_NS_24const_host_device_scalarIT6_EEPKT1_S7_PKS1_PKT3_PKT4_PT5_21rocsparse_index_base_b ; -- Begin function _ZN9rocsparseL21csrmvt_general_kernelILj256ELj8ElifdddEEvbbT2_NS_24const_host_device_scalarIT6_EEPKT1_S7_PKS1_PKT3_PKT4_PT5_21rocsparse_index_base_b
	.p2align	8
	.type	_ZN9rocsparseL21csrmvt_general_kernelILj256ELj8ElifdddEEvbbT2_NS_24const_host_device_scalarIT6_EEPKT1_S7_PKS1_PKT3_PKT4_PT5_21rocsparse_index_base_b,@function
_ZN9rocsparseL21csrmvt_general_kernelILj256ELj8ElifdddEEvbbT2_NS_24const_host_device_scalarIT6_EEPKT1_S7_PKS1_PKT3_PKT4_PT5_21rocsparse_index_base_b: ; @_ZN9rocsparseL21csrmvt_general_kernelILj256ELj8ElifdddEEvbbT2_NS_24const_host_device_scalarIT6_EEPKT1_S7_PKS1_PKT3_PKT4_PT5_21rocsparse_index_base_b
; %bb.0:
	s_load_dwordx2 s[16:17], s[4:5], 0x40
	s_load_dwordx4 s[0:3], s[4:5], 0x8
	s_waitcnt lgkmcnt(0)
	s_bitcmp1_b32 s17, 0
	s_cselect_b64 s[8:9], -1, 0
	s_and_b64 vcc, exec, s[8:9]
	v_pk_mov_b32 v[4:5], s[0:1], s[0:1] op_sel:[0,1]
	s_cbranch_vccnz .LBB315_2
; %bb.1:
	v_pk_mov_b32 v[2:3], s[0:1], s[0:1] op_sel:[0,1]
	flat_load_dwordx2 v[4:5], v[2:3]
.LBB315_2:
	s_waitcnt vmcnt(0) lgkmcnt(0)
	v_cmp_neq_f64_e32 vcc, 0, v[4:5]
	s_and_saveexec_b64 s[0:1], vcc
	s_cbranch_execz .LBB315_23
; %bb.3:
	s_load_dwordx2 s[18:19], s[4:5], 0x0
	s_load_dword s0, s[4:5], 0x48
	s_load_dwordx2 s[20:21], s[4:5], 0x38
	s_load_dwordx8 s[8:15], s[4:5], 0x18
	v_and_b32_e32 v7, 7, v0
	v_lshl_or_b32 v0, s6, 8, v0
	s_waitcnt lgkmcnt(0)
	s_and_b32 s1, s18, 1
	s_lshl_b32 s17, s0, 5
	v_lshrrev_b32_e32 v6, 3, v0
	s_cmp_eq_u32 s1, 0
	v_cmp_gt_i32_e64 s[0:1], s19, v6
	s_mov_b64 s[4:5], -1
	s_cbranch_scc0 .LBB315_13
; %bb.4:
	s_and_saveexec_b64 s[4:5], s[0:1]
	s_cbranch_execz .LBB315_12
; %bb.5:
	v_subrev_co_u32_e32 v20, vcc, s16, v7
	s_mov_b32 s18, 0
	v_subb_co_u32_e64 v21, s[6:7], 0, 0, vcc
	s_mov_b64 s[6:7], 0
	v_mov_b32_e32 v22, s3
	v_mov_b32_e32 v23, s9
	;; [unrolled: 1-line block ×4, first 2 shown]
	s_branch .LBB315_7
.LBB315_6:                              ;   in Loop: Header=BB315_7 Depth=1
	s_or_b64 exec, exec, s[22:23]
	v_add_u32_e32 v8, s17, v8
	v_cmp_le_i32_e32 vcc, s19, v8
	s_or_b64 s[6:7], vcc, s[6:7]
	s_andn2_b64 exec, exec, s[6:7]
	s_cbranch_execz .LBB315_12
.LBB315_7:                              ; =>This Loop Header: Depth=1
                                        ;     Child Loop BB315_9 Depth 2
                                        ;       Child Loop BB315_10 Depth 3
	v_ashrrev_i32_e32 v9, 31, v8
	v_lshlrev_b64 v[0:1], 3, v[8:9]
	v_add_co_u32_e32 v2, vcc, s8, v0
	v_addc_co_u32_e32 v3, vcc, v23, v1, vcc
	global_load_dwordx2 v[2:3], v[2:3], off
	v_add_co_u32_e32 v10, vcc, s2, v0
	v_addc_co_u32_e32 v11, vcc, v22, v1, vcc
	global_load_dwordx2 v[12:13], v[10:11], off
	s_waitcnt vmcnt(1)
	v_subrev_co_u32_e32 v10, vcc, s16, v2
	v_subb_co_u32_e32 v11, vcc, v3, v24, vcc
	s_waitcnt vmcnt(0)
	v_add_co_u32_e32 v12, vcc, v12, v20
	v_addc_co_u32_e32 v13, vcc, v13, v21, vcc
	v_cmp_lt_i64_e32 vcc, v[12:13], v[10:11]
	s_and_saveexec_b64 s[22:23], vcc
	s_cbranch_execz .LBB315_6
; %bb.8:                                ;   in Loop: Header=BB315_7 Depth=1
	v_mov_b32_e32 v2, s15
	v_add_co_u32_e32 v0, vcc, s14, v0
	v_addc_co_u32_e32 v1, vcc, v2, v1, vcc
	global_load_dwordx2 v[0:1], v[0:1], off
	s_mov_b64 s[24:25], 0
	s_waitcnt vmcnt(0)
	v_mul_f64 v[14:15], v[4:5], v[0:1]
.LBB315_9:                              ;   Parent Loop BB315_7 Depth=1
                                        ; =>  This Loop Header: Depth=2
                                        ;       Child Loop BB315_10 Depth 3
	v_lshlrev_b64 v[0:1], 2, v[12:13]
	v_mov_b32_e32 v3, s11
	v_add_co_u32_e32 v2, vcc, s10, v0
	v_addc_co_u32_e32 v3, vcc, v3, v1, vcc
	global_load_dword v2, v[2:3], off
	v_mov_b32_e32 v3, s13
	v_add_co_u32_e32 v0, vcc, s12, v0
	v_addc_co_u32_e32 v1, vcc, v3, v1, vcc
	global_load_dword v18, v[0:1], off
	v_mov_b32_e32 v9, s21
	s_mov_b64 s[26:27], 0
	s_waitcnt vmcnt(1)
	v_subrev_u32_e32 v0, s16, v2
	v_ashrrev_i32_e32 v1, 31, v0
	v_lshlrev_b64 v[0:1], 3, v[0:1]
	v_add_co_u32_e32 v16, vcc, s20, v0
	v_addc_co_u32_e32 v17, vcc, v9, v1, vcc
	global_load_dwordx2 v[2:3], v[16:17], off
	s_waitcnt vmcnt(1)
	v_cvt_f64_f32_e32 v[0:1], v18
	v_mul_f64 v[18:19], v[14:15], v[0:1]
.LBB315_10:                             ;   Parent Loop BB315_7 Depth=1
                                        ;     Parent Loop BB315_9 Depth=2
                                        ; =>    This Inner Loop Header: Depth=3
	s_waitcnt vmcnt(0)
	v_add_f64 v[0:1], v[2:3], v[18:19]
	global_atomic_cmpswap_x2 v[0:1], v[16:17], v[0:3], off glc
	s_waitcnt vmcnt(0)
	v_cmp_eq_u64_e32 vcc, v[0:1], v[2:3]
	s_or_b64 s[26:27], vcc, s[26:27]
	v_pk_mov_b32 v[2:3], v[0:1], v[0:1] op_sel:[0,1]
	s_andn2_b64 exec, exec, s[26:27]
	s_cbranch_execnz .LBB315_10
; %bb.11:                               ;   in Loop: Header=BB315_9 Depth=2
	s_or_b64 exec, exec, s[26:27]
	v_add_co_u32_e32 v12, vcc, 8, v12
	v_addc_co_u32_e32 v13, vcc, 0, v13, vcc
	v_cmp_ge_i64_e32 vcc, v[12:13], v[10:11]
	s_or_b64 s[24:25], vcc, s[24:25]
	s_andn2_b64 exec, exec, s[24:25]
	s_cbranch_execnz .LBB315_9
	s_branch .LBB315_6
.LBB315_12:
	s_or_b64 exec, exec, s[4:5]
	s_mov_b64 s[4:5], 0
.LBB315_13:
	s_andn2_b64 vcc, exec, s[4:5]
	s_cbranch_vccnz .LBB315_23
; %bb.14:
	s_and_b64 exec, exec, s[0:1]
	s_cbranch_execz .LBB315_23
; %bb.15:
	v_subrev_co_u32_e32 v18, vcc, s16, v7
	s_mov_b32 s4, 0
	v_subb_co_u32_e64 v19, s[0:1], 0, 0, vcc
	s_mov_b64 s[0:1], 0
	v_mov_b32_e32 v20, s3
	v_mov_b32_e32 v21, s9
	;; [unrolled: 1-line block ×3, first 2 shown]
	s_branch .LBB315_17
.LBB315_16:                             ;   in Loop: Header=BB315_17 Depth=1
	s_or_b64 exec, exec, s[4:5]
	v_add_u32_e32 v6, s17, v6
	v_cmp_le_i32_e32 vcc, s19, v6
	s_or_b64 s[0:1], vcc, s[0:1]
	s_andn2_b64 exec, exec, s[0:1]
	s_cbranch_execz .LBB315_23
.LBB315_17:                             ; =>This Loop Header: Depth=1
                                        ;     Child Loop BB315_20 Depth 2
                                        ;       Child Loop BB315_22 Depth 3
	v_ashrrev_i32_e32 v7, 31, v6
	v_lshlrev_b64 v[0:1], 3, v[6:7]
	v_add_co_u32_e32 v2, vcc, s8, v0
	v_addc_co_u32_e32 v3, vcc, v21, v1, vcc
	global_load_dwordx2 v[2:3], v[2:3], off
	v_add_co_u32_e32 v8, vcc, s2, v0
	v_addc_co_u32_e32 v9, vcc, v20, v1, vcc
	global_load_dwordx2 v[10:11], v[8:9], off
	s_waitcnt vmcnt(1)
	v_subrev_co_u32_e32 v8, vcc, s16, v2
	v_subb_co_u32_e32 v9, vcc, v3, v22, vcc
	s_waitcnt vmcnt(0)
	v_add_co_u32_e32 v10, vcc, v10, v18
	v_addc_co_u32_e32 v11, vcc, v11, v19, vcc
	v_cmp_lt_i64_e32 vcc, v[10:11], v[8:9]
	s_and_saveexec_b64 s[4:5], vcc
	s_cbranch_execz .LBB315_16
; %bb.18:                               ;   in Loop: Header=BB315_17 Depth=1
	v_mov_b32_e32 v2, s15
	v_add_co_u32_e32 v0, vcc, s14, v0
	v_addc_co_u32_e32 v1, vcc, v2, v1, vcc
	global_load_dwordx2 v[0:1], v[0:1], off
	s_mov_b64 s[6:7], 0
	s_waitcnt vmcnt(0)
	v_mul_f64 v[12:13], v[4:5], v[0:1]
	s_branch .LBB315_20
.LBB315_19:                             ;   in Loop: Header=BB315_20 Depth=2
	s_or_b64 exec, exec, s[22:23]
	v_add_co_u32_e32 v10, vcc, 8, v10
	v_addc_co_u32_e32 v11, vcc, 0, v11, vcc
	v_cmp_ge_i64_e32 vcc, v[10:11], v[8:9]
	s_or_b64 s[6:7], vcc, s[6:7]
	s_andn2_b64 exec, exec, s[6:7]
	s_cbranch_execz .LBB315_16
.LBB315_20:                             ;   Parent Loop BB315_17 Depth=1
                                        ; =>  This Loop Header: Depth=2
                                        ;       Child Loop BB315_22 Depth 3
	v_lshlrev_b64 v[0:1], 2, v[10:11]
	v_mov_b32_e32 v3, s11
	v_add_co_u32_e32 v2, vcc, s10, v0
	v_addc_co_u32_e32 v3, vcc, v3, v1, vcc
	global_load_dword v2, v[2:3], off
	s_waitcnt vmcnt(0)
	v_subrev_u32_e32 v2, s16, v2
	v_cmp_ne_u32_e32 vcc, v2, v6
	s_and_saveexec_b64 s[22:23], vcc
	s_cbranch_execz .LBB315_19
; %bb.21:                               ;   in Loop: Header=BB315_20 Depth=2
	v_mov_b32_e32 v3, s13
	v_add_co_u32_e32 v0, vcc, s12, v0
	v_addc_co_u32_e32 v1, vcc, v3, v1, vcc
	v_ashrrev_i32_e32 v3, 31, v2
	v_lshlrev_b64 v[2:3], 3, v[2:3]
	v_mov_b32_e32 v7, s21
	global_load_dword v0, v[0:1], off
	v_add_co_u32_e32 v14, vcc, s20, v2
	v_addc_co_u32_e32 v15, vcc, v7, v3, vcc
	global_load_dwordx2 v[2:3], v[14:15], off
	s_mov_b64 s[24:25], 0
	s_waitcnt vmcnt(1)
	v_cvt_f64_f32_e32 v[0:1], v0
	v_mul_f64 v[16:17], v[12:13], v[0:1]
.LBB315_22:                             ;   Parent Loop BB315_17 Depth=1
                                        ;     Parent Loop BB315_20 Depth=2
                                        ; =>    This Inner Loop Header: Depth=3
	s_waitcnt vmcnt(0)
	v_add_f64 v[0:1], v[2:3], v[16:17]
	global_atomic_cmpswap_x2 v[0:1], v[14:15], v[0:3], off glc
	s_waitcnt vmcnt(0)
	v_cmp_eq_u64_e32 vcc, v[0:1], v[2:3]
	s_or_b64 s[24:25], vcc, s[24:25]
	v_pk_mov_b32 v[2:3], v[0:1], v[0:1] op_sel:[0,1]
	s_andn2_b64 exec, exec, s[24:25]
	s_cbranch_execnz .LBB315_22
	s_branch .LBB315_19
.LBB315_23:
	s_endpgm
	.section	.rodata,"a",@progbits
	.p2align	6, 0x0
	.amdhsa_kernel _ZN9rocsparseL21csrmvt_general_kernelILj256ELj8ElifdddEEvbbT2_NS_24const_host_device_scalarIT6_EEPKT1_S7_PKS1_PKT3_PKT4_PT5_21rocsparse_index_base_b
		.amdhsa_group_segment_fixed_size 0
		.amdhsa_private_segment_fixed_size 0
		.amdhsa_kernarg_size 328
		.amdhsa_user_sgpr_count 6
		.amdhsa_user_sgpr_private_segment_buffer 1
		.amdhsa_user_sgpr_dispatch_ptr 0
		.amdhsa_user_sgpr_queue_ptr 0
		.amdhsa_user_sgpr_kernarg_segment_ptr 1
		.amdhsa_user_sgpr_dispatch_id 0
		.amdhsa_user_sgpr_flat_scratch_init 0
		.amdhsa_user_sgpr_kernarg_preload_length 0
		.amdhsa_user_sgpr_kernarg_preload_offset 0
		.amdhsa_user_sgpr_private_segment_size 0
		.amdhsa_uses_dynamic_stack 0
		.amdhsa_system_sgpr_private_segment_wavefront_offset 0
		.amdhsa_system_sgpr_workgroup_id_x 1
		.amdhsa_system_sgpr_workgroup_id_y 0
		.amdhsa_system_sgpr_workgroup_id_z 0
		.amdhsa_system_sgpr_workgroup_info 0
		.amdhsa_system_vgpr_workitem_id 0
		.amdhsa_next_free_vgpr 25
		.amdhsa_next_free_sgpr 28
		.amdhsa_accum_offset 28
		.amdhsa_reserve_vcc 1
		.amdhsa_reserve_flat_scratch 0
		.amdhsa_float_round_mode_32 0
		.amdhsa_float_round_mode_16_64 0
		.amdhsa_float_denorm_mode_32 3
		.amdhsa_float_denorm_mode_16_64 3
		.amdhsa_dx10_clamp 1
		.amdhsa_ieee_mode 1
		.amdhsa_fp16_overflow 0
		.amdhsa_tg_split 0
		.amdhsa_exception_fp_ieee_invalid_op 0
		.amdhsa_exception_fp_denorm_src 0
		.amdhsa_exception_fp_ieee_div_zero 0
		.amdhsa_exception_fp_ieee_overflow 0
		.amdhsa_exception_fp_ieee_underflow 0
		.amdhsa_exception_fp_ieee_inexact 0
		.amdhsa_exception_int_div_zero 0
	.end_amdhsa_kernel
	.section	.text._ZN9rocsparseL21csrmvt_general_kernelILj256ELj8ElifdddEEvbbT2_NS_24const_host_device_scalarIT6_EEPKT1_S7_PKS1_PKT3_PKT4_PT5_21rocsparse_index_base_b,"axG",@progbits,_ZN9rocsparseL21csrmvt_general_kernelILj256ELj8ElifdddEEvbbT2_NS_24const_host_device_scalarIT6_EEPKT1_S7_PKS1_PKT3_PKT4_PT5_21rocsparse_index_base_b,comdat
.Lfunc_end315:
	.size	_ZN9rocsparseL21csrmvt_general_kernelILj256ELj8ElifdddEEvbbT2_NS_24const_host_device_scalarIT6_EEPKT1_S7_PKS1_PKT3_PKT4_PT5_21rocsparse_index_base_b, .Lfunc_end315-_ZN9rocsparseL21csrmvt_general_kernelILj256ELj8ElifdddEEvbbT2_NS_24const_host_device_scalarIT6_EEPKT1_S7_PKS1_PKT3_PKT4_PT5_21rocsparse_index_base_b
                                        ; -- End function
	.section	.AMDGPU.csdata,"",@progbits
; Kernel info:
; codeLenInByte = 940
; NumSgprs: 32
; NumVgprs: 25
; NumAgprs: 0
; TotalNumVgprs: 25
; ScratchSize: 0
; MemoryBound: 0
; FloatMode: 240
; IeeeMode: 1
; LDSByteSize: 0 bytes/workgroup (compile time only)
; SGPRBlocks: 3
; VGPRBlocks: 3
; NumSGPRsForWavesPerEU: 32
; NumVGPRsForWavesPerEU: 25
; AccumOffset: 28
; Occupancy: 8
; WaveLimiterHint : 1
; COMPUTE_PGM_RSRC2:SCRATCH_EN: 0
; COMPUTE_PGM_RSRC2:USER_SGPR: 6
; COMPUTE_PGM_RSRC2:TRAP_HANDLER: 0
; COMPUTE_PGM_RSRC2:TGID_X_EN: 1
; COMPUTE_PGM_RSRC2:TGID_Y_EN: 0
; COMPUTE_PGM_RSRC2:TGID_Z_EN: 0
; COMPUTE_PGM_RSRC2:TIDIG_COMP_CNT: 0
; COMPUTE_PGM_RSRC3_GFX90A:ACCUM_OFFSET: 6
; COMPUTE_PGM_RSRC3_GFX90A:TG_SPLIT: 0
	.section	.text._ZN9rocsparseL21csrmvt_general_kernelILj256ELj16ElifdddEEvbbT2_NS_24const_host_device_scalarIT6_EEPKT1_S7_PKS1_PKT3_PKT4_PT5_21rocsparse_index_base_b,"axG",@progbits,_ZN9rocsparseL21csrmvt_general_kernelILj256ELj16ElifdddEEvbbT2_NS_24const_host_device_scalarIT6_EEPKT1_S7_PKS1_PKT3_PKT4_PT5_21rocsparse_index_base_b,comdat
	.globl	_ZN9rocsparseL21csrmvt_general_kernelILj256ELj16ElifdddEEvbbT2_NS_24const_host_device_scalarIT6_EEPKT1_S7_PKS1_PKT3_PKT4_PT5_21rocsparse_index_base_b ; -- Begin function _ZN9rocsparseL21csrmvt_general_kernelILj256ELj16ElifdddEEvbbT2_NS_24const_host_device_scalarIT6_EEPKT1_S7_PKS1_PKT3_PKT4_PT5_21rocsparse_index_base_b
	.p2align	8
	.type	_ZN9rocsparseL21csrmvt_general_kernelILj256ELj16ElifdddEEvbbT2_NS_24const_host_device_scalarIT6_EEPKT1_S7_PKS1_PKT3_PKT4_PT5_21rocsparse_index_base_b,@function
_ZN9rocsparseL21csrmvt_general_kernelILj256ELj16ElifdddEEvbbT2_NS_24const_host_device_scalarIT6_EEPKT1_S7_PKS1_PKT3_PKT4_PT5_21rocsparse_index_base_b: ; @_ZN9rocsparseL21csrmvt_general_kernelILj256ELj16ElifdddEEvbbT2_NS_24const_host_device_scalarIT6_EEPKT1_S7_PKS1_PKT3_PKT4_PT5_21rocsparse_index_base_b
; %bb.0:
	s_load_dwordx2 s[16:17], s[4:5], 0x40
	s_load_dwordx4 s[0:3], s[4:5], 0x8
	s_waitcnt lgkmcnt(0)
	s_bitcmp1_b32 s17, 0
	s_cselect_b64 s[8:9], -1, 0
	s_and_b64 vcc, exec, s[8:9]
	v_pk_mov_b32 v[4:5], s[0:1], s[0:1] op_sel:[0,1]
	s_cbranch_vccnz .LBB316_2
; %bb.1:
	v_pk_mov_b32 v[2:3], s[0:1], s[0:1] op_sel:[0,1]
	flat_load_dwordx2 v[4:5], v[2:3]
.LBB316_2:
	s_waitcnt vmcnt(0) lgkmcnt(0)
	v_cmp_neq_f64_e32 vcc, 0, v[4:5]
	s_and_saveexec_b64 s[0:1], vcc
	s_cbranch_execz .LBB316_23
; %bb.3:
	s_load_dwordx2 s[18:19], s[4:5], 0x0
	s_load_dword s0, s[4:5], 0x48
	s_load_dwordx2 s[20:21], s[4:5], 0x38
	s_load_dwordx8 s[8:15], s[4:5], 0x18
	v_and_b32_e32 v7, 15, v0
	v_lshl_or_b32 v0, s6, 8, v0
	s_waitcnt lgkmcnt(0)
	s_and_b32 s1, s18, 1
	s_lshl_b32 s17, s0, 4
	v_lshrrev_b32_e32 v6, 4, v0
	s_cmp_eq_u32 s1, 0
	v_cmp_gt_i32_e64 s[0:1], s19, v6
	s_mov_b64 s[4:5], -1
	s_cbranch_scc0 .LBB316_13
; %bb.4:
	s_and_saveexec_b64 s[4:5], s[0:1]
	s_cbranch_execz .LBB316_12
; %bb.5:
	v_subrev_co_u32_e32 v20, vcc, s16, v7
	s_mov_b32 s18, 0
	v_subb_co_u32_e64 v21, s[6:7], 0, 0, vcc
	s_mov_b64 s[6:7], 0
	v_mov_b32_e32 v22, s3
	v_mov_b32_e32 v23, s9
	;; [unrolled: 1-line block ×4, first 2 shown]
	s_branch .LBB316_7
.LBB316_6:                              ;   in Loop: Header=BB316_7 Depth=1
	s_or_b64 exec, exec, s[22:23]
	v_add_u32_e32 v8, s17, v8
	v_cmp_le_i32_e32 vcc, s19, v8
	s_or_b64 s[6:7], vcc, s[6:7]
	s_andn2_b64 exec, exec, s[6:7]
	s_cbranch_execz .LBB316_12
.LBB316_7:                              ; =>This Loop Header: Depth=1
                                        ;     Child Loop BB316_9 Depth 2
                                        ;       Child Loop BB316_10 Depth 3
	v_ashrrev_i32_e32 v9, 31, v8
	v_lshlrev_b64 v[0:1], 3, v[8:9]
	v_add_co_u32_e32 v2, vcc, s8, v0
	v_addc_co_u32_e32 v3, vcc, v23, v1, vcc
	global_load_dwordx2 v[2:3], v[2:3], off
	v_add_co_u32_e32 v10, vcc, s2, v0
	v_addc_co_u32_e32 v11, vcc, v22, v1, vcc
	global_load_dwordx2 v[12:13], v[10:11], off
	s_waitcnt vmcnt(1)
	v_subrev_co_u32_e32 v10, vcc, s16, v2
	v_subb_co_u32_e32 v11, vcc, v3, v24, vcc
	s_waitcnt vmcnt(0)
	v_add_co_u32_e32 v12, vcc, v12, v20
	v_addc_co_u32_e32 v13, vcc, v13, v21, vcc
	v_cmp_lt_i64_e32 vcc, v[12:13], v[10:11]
	s_and_saveexec_b64 s[22:23], vcc
	s_cbranch_execz .LBB316_6
; %bb.8:                                ;   in Loop: Header=BB316_7 Depth=1
	v_mov_b32_e32 v2, s15
	v_add_co_u32_e32 v0, vcc, s14, v0
	v_addc_co_u32_e32 v1, vcc, v2, v1, vcc
	global_load_dwordx2 v[0:1], v[0:1], off
	s_mov_b64 s[24:25], 0
	s_waitcnt vmcnt(0)
	v_mul_f64 v[14:15], v[4:5], v[0:1]
.LBB316_9:                              ;   Parent Loop BB316_7 Depth=1
                                        ; =>  This Loop Header: Depth=2
                                        ;       Child Loop BB316_10 Depth 3
	v_lshlrev_b64 v[0:1], 2, v[12:13]
	v_mov_b32_e32 v3, s11
	v_add_co_u32_e32 v2, vcc, s10, v0
	v_addc_co_u32_e32 v3, vcc, v3, v1, vcc
	global_load_dword v2, v[2:3], off
	v_mov_b32_e32 v3, s13
	v_add_co_u32_e32 v0, vcc, s12, v0
	v_addc_co_u32_e32 v1, vcc, v3, v1, vcc
	global_load_dword v18, v[0:1], off
	v_mov_b32_e32 v9, s21
	s_mov_b64 s[26:27], 0
	s_waitcnt vmcnt(1)
	v_subrev_u32_e32 v0, s16, v2
	v_ashrrev_i32_e32 v1, 31, v0
	v_lshlrev_b64 v[0:1], 3, v[0:1]
	v_add_co_u32_e32 v16, vcc, s20, v0
	v_addc_co_u32_e32 v17, vcc, v9, v1, vcc
	global_load_dwordx2 v[2:3], v[16:17], off
	s_waitcnt vmcnt(1)
	v_cvt_f64_f32_e32 v[0:1], v18
	v_mul_f64 v[18:19], v[14:15], v[0:1]
.LBB316_10:                             ;   Parent Loop BB316_7 Depth=1
                                        ;     Parent Loop BB316_9 Depth=2
                                        ; =>    This Inner Loop Header: Depth=3
	s_waitcnt vmcnt(0)
	v_add_f64 v[0:1], v[2:3], v[18:19]
	global_atomic_cmpswap_x2 v[0:1], v[16:17], v[0:3], off glc
	s_waitcnt vmcnt(0)
	v_cmp_eq_u64_e32 vcc, v[0:1], v[2:3]
	s_or_b64 s[26:27], vcc, s[26:27]
	v_pk_mov_b32 v[2:3], v[0:1], v[0:1] op_sel:[0,1]
	s_andn2_b64 exec, exec, s[26:27]
	s_cbranch_execnz .LBB316_10
; %bb.11:                               ;   in Loop: Header=BB316_9 Depth=2
	s_or_b64 exec, exec, s[26:27]
	v_add_co_u32_e32 v12, vcc, 16, v12
	v_addc_co_u32_e32 v13, vcc, 0, v13, vcc
	v_cmp_ge_i64_e32 vcc, v[12:13], v[10:11]
	s_or_b64 s[24:25], vcc, s[24:25]
	s_andn2_b64 exec, exec, s[24:25]
	s_cbranch_execnz .LBB316_9
	s_branch .LBB316_6
.LBB316_12:
	s_or_b64 exec, exec, s[4:5]
	s_mov_b64 s[4:5], 0
.LBB316_13:
	s_andn2_b64 vcc, exec, s[4:5]
	s_cbranch_vccnz .LBB316_23
; %bb.14:
	s_and_b64 exec, exec, s[0:1]
	s_cbranch_execz .LBB316_23
; %bb.15:
	v_subrev_co_u32_e32 v18, vcc, s16, v7
	s_mov_b32 s4, 0
	v_subb_co_u32_e64 v19, s[0:1], 0, 0, vcc
	s_mov_b64 s[0:1], 0
	v_mov_b32_e32 v20, s3
	v_mov_b32_e32 v21, s9
	;; [unrolled: 1-line block ×3, first 2 shown]
	s_branch .LBB316_17
.LBB316_16:                             ;   in Loop: Header=BB316_17 Depth=1
	s_or_b64 exec, exec, s[4:5]
	v_add_u32_e32 v6, s17, v6
	v_cmp_le_i32_e32 vcc, s19, v6
	s_or_b64 s[0:1], vcc, s[0:1]
	s_andn2_b64 exec, exec, s[0:1]
	s_cbranch_execz .LBB316_23
.LBB316_17:                             ; =>This Loop Header: Depth=1
                                        ;     Child Loop BB316_20 Depth 2
                                        ;       Child Loop BB316_22 Depth 3
	v_ashrrev_i32_e32 v7, 31, v6
	v_lshlrev_b64 v[0:1], 3, v[6:7]
	v_add_co_u32_e32 v2, vcc, s8, v0
	v_addc_co_u32_e32 v3, vcc, v21, v1, vcc
	global_load_dwordx2 v[2:3], v[2:3], off
	v_add_co_u32_e32 v8, vcc, s2, v0
	v_addc_co_u32_e32 v9, vcc, v20, v1, vcc
	global_load_dwordx2 v[10:11], v[8:9], off
	s_waitcnt vmcnt(1)
	v_subrev_co_u32_e32 v8, vcc, s16, v2
	v_subb_co_u32_e32 v9, vcc, v3, v22, vcc
	s_waitcnt vmcnt(0)
	v_add_co_u32_e32 v10, vcc, v10, v18
	v_addc_co_u32_e32 v11, vcc, v11, v19, vcc
	v_cmp_lt_i64_e32 vcc, v[10:11], v[8:9]
	s_and_saveexec_b64 s[4:5], vcc
	s_cbranch_execz .LBB316_16
; %bb.18:                               ;   in Loop: Header=BB316_17 Depth=1
	v_mov_b32_e32 v2, s15
	v_add_co_u32_e32 v0, vcc, s14, v0
	v_addc_co_u32_e32 v1, vcc, v2, v1, vcc
	global_load_dwordx2 v[0:1], v[0:1], off
	s_mov_b64 s[6:7], 0
	s_waitcnt vmcnt(0)
	v_mul_f64 v[12:13], v[4:5], v[0:1]
	s_branch .LBB316_20
.LBB316_19:                             ;   in Loop: Header=BB316_20 Depth=2
	s_or_b64 exec, exec, s[22:23]
	v_add_co_u32_e32 v10, vcc, 16, v10
	v_addc_co_u32_e32 v11, vcc, 0, v11, vcc
	v_cmp_ge_i64_e32 vcc, v[10:11], v[8:9]
	s_or_b64 s[6:7], vcc, s[6:7]
	s_andn2_b64 exec, exec, s[6:7]
	s_cbranch_execz .LBB316_16
.LBB316_20:                             ;   Parent Loop BB316_17 Depth=1
                                        ; =>  This Loop Header: Depth=2
                                        ;       Child Loop BB316_22 Depth 3
	v_lshlrev_b64 v[0:1], 2, v[10:11]
	v_mov_b32_e32 v3, s11
	v_add_co_u32_e32 v2, vcc, s10, v0
	v_addc_co_u32_e32 v3, vcc, v3, v1, vcc
	global_load_dword v2, v[2:3], off
	s_waitcnt vmcnt(0)
	v_subrev_u32_e32 v2, s16, v2
	v_cmp_ne_u32_e32 vcc, v2, v6
	s_and_saveexec_b64 s[22:23], vcc
	s_cbranch_execz .LBB316_19
; %bb.21:                               ;   in Loop: Header=BB316_20 Depth=2
	v_mov_b32_e32 v3, s13
	v_add_co_u32_e32 v0, vcc, s12, v0
	v_addc_co_u32_e32 v1, vcc, v3, v1, vcc
	v_ashrrev_i32_e32 v3, 31, v2
	v_lshlrev_b64 v[2:3], 3, v[2:3]
	v_mov_b32_e32 v7, s21
	global_load_dword v0, v[0:1], off
	v_add_co_u32_e32 v14, vcc, s20, v2
	v_addc_co_u32_e32 v15, vcc, v7, v3, vcc
	global_load_dwordx2 v[2:3], v[14:15], off
	s_mov_b64 s[24:25], 0
	s_waitcnt vmcnt(1)
	v_cvt_f64_f32_e32 v[0:1], v0
	v_mul_f64 v[16:17], v[12:13], v[0:1]
.LBB316_22:                             ;   Parent Loop BB316_17 Depth=1
                                        ;     Parent Loop BB316_20 Depth=2
                                        ; =>    This Inner Loop Header: Depth=3
	s_waitcnt vmcnt(0)
	v_add_f64 v[0:1], v[2:3], v[16:17]
	global_atomic_cmpswap_x2 v[0:1], v[14:15], v[0:3], off glc
	s_waitcnt vmcnt(0)
	v_cmp_eq_u64_e32 vcc, v[0:1], v[2:3]
	s_or_b64 s[24:25], vcc, s[24:25]
	v_pk_mov_b32 v[2:3], v[0:1], v[0:1] op_sel:[0,1]
	s_andn2_b64 exec, exec, s[24:25]
	s_cbranch_execnz .LBB316_22
	s_branch .LBB316_19
.LBB316_23:
	s_endpgm
	.section	.rodata,"a",@progbits
	.p2align	6, 0x0
	.amdhsa_kernel _ZN9rocsparseL21csrmvt_general_kernelILj256ELj16ElifdddEEvbbT2_NS_24const_host_device_scalarIT6_EEPKT1_S7_PKS1_PKT3_PKT4_PT5_21rocsparse_index_base_b
		.amdhsa_group_segment_fixed_size 0
		.amdhsa_private_segment_fixed_size 0
		.amdhsa_kernarg_size 328
		.amdhsa_user_sgpr_count 6
		.amdhsa_user_sgpr_private_segment_buffer 1
		.amdhsa_user_sgpr_dispatch_ptr 0
		.amdhsa_user_sgpr_queue_ptr 0
		.amdhsa_user_sgpr_kernarg_segment_ptr 1
		.amdhsa_user_sgpr_dispatch_id 0
		.amdhsa_user_sgpr_flat_scratch_init 0
		.amdhsa_user_sgpr_kernarg_preload_length 0
		.amdhsa_user_sgpr_kernarg_preload_offset 0
		.amdhsa_user_sgpr_private_segment_size 0
		.amdhsa_uses_dynamic_stack 0
		.amdhsa_system_sgpr_private_segment_wavefront_offset 0
		.amdhsa_system_sgpr_workgroup_id_x 1
		.amdhsa_system_sgpr_workgroup_id_y 0
		.amdhsa_system_sgpr_workgroup_id_z 0
		.amdhsa_system_sgpr_workgroup_info 0
		.amdhsa_system_vgpr_workitem_id 0
		.amdhsa_next_free_vgpr 25
		.amdhsa_next_free_sgpr 28
		.amdhsa_accum_offset 28
		.amdhsa_reserve_vcc 1
		.amdhsa_reserve_flat_scratch 0
		.amdhsa_float_round_mode_32 0
		.amdhsa_float_round_mode_16_64 0
		.amdhsa_float_denorm_mode_32 3
		.amdhsa_float_denorm_mode_16_64 3
		.amdhsa_dx10_clamp 1
		.amdhsa_ieee_mode 1
		.amdhsa_fp16_overflow 0
		.amdhsa_tg_split 0
		.amdhsa_exception_fp_ieee_invalid_op 0
		.amdhsa_exception_fp_denorm_src 0
		.amdhsa_exception_fp_ieee_div_zero 0
		.amdhsa_exception_fp_ieee_overflow 0
		.amdhsa_exception_fp_ieee_underflow 0
		.amdhsa_exception_fp_ieee_inexact 0
		.amdhsa_exception_int_div_zero 0
	.end_amdhsa_kernel
	.section	.text._ZN9rocsparseL21csrmvt_general_kernelILj256ELj16ElifdddEEvbbT2_NS_24const_host_device_scalarIT6_EEPKT1_S7_PKS1_PKT3_PKT4_PT5_21rocsparse_index_base_b,"axG",@progbits,_ZN9rocsparseL21csrmvt_general_kernelILj256ELj16ElifdddEEvbbT2_NS_24const_host_device_scalarIT6_EEPKT1_S7_PKS1_PKT3_PKT4_PT5_21rocsparse_index_base_b,comdat
.Lfunc_end316:
	.size	_ZN9rocsparseL21csrmvt_general_kernelILj256ELj16ElifdddEEvbbT2_NS_24const_host_device_scalarIT6_EEPKT1_S7_PKS1_PKT3_PKT4_PT5_21rocsparse_index_base_b, .Lfunc_end316-_ZN9rocsparseL21csrmvt_general_kernelILj256ELj16ElifdddEEvbbT2_NS_24const_host_device_scalarIT6_EEPKT1_S7_PKS1_PKT3_PKT4_PT5_21rocsparse_index_base_b
                                        ; -- End function
	.section	.AMDGPU.csdata,"",@progbits
; Kernel info:
; codeLenInByte = 940
; NumSgprs: 32
; NumVgprs: 25
; NumAgprs: 0
; TotalNumVgprs: 25
; ScratchSize: 0
; MemoryBound: 0
; FloatMode: 240
; IeeeMode: 1
; LDSByteSize: 0 bytes/workgroup (compile time only)
; SGPRBlocks: 3
; VGPRBlocks: 3
; NumSGPRsForWavesPerEU: 32
; NumVGPRsForWavesPerEU: 25
; AccumOffset: 28
; Occupancy: 8
; WaveLimiterHint : 1
; COMPUTE_PGM_RSRC2:SCRATCH_EN: 0
; COMPUTE_PGM_RSRC2:USER_SGPR: 6
; COMPUTE_PGM_RSRC2:TRAP_HANDLER: 0
; COMPUTE_PGM_RSRC2:TGID_X_EN: 1
; COMPUTE_PGM_RSRC2:TGID_Y_EN: 0
; COMPUTE_PGM_RSRC2:TGID_Z_EN: 0
; COMPUTE_PGM_RSRC2:TIDIG_COMP_CNT: 0
; COMPUTE_PGM_RSRC3_GFX90A:ACCUM_OFFSET: 6
; COMPUTE_PGM_RSRC3_GFX90A:TG_SPLIT: 0
	.section	.text._ZN9rocsparseL21csrmvt_general_kernelILj256ELj32ElifdddEEvbbT2_NS_24const_host_device_scalarIT6_EEPKT1_S7_PKS1_PKT3_PKT4_PT5_21rocsparse_index_base_b,"axG",@progbits,_ZN9rocsparseL21csrmvt_general_kernelILj256ELj32ElifdddEEvbbT2_NS_24const_host_device_scalarIT6_EEPKT1_S7_PKS1_PKT3_PKT4_PT5_21rocsparse_index_base_b,comdat
	.globl	_ZN9rocsparseL21csrmvt_general_kernelILj256ELj32ElifdddEEvbbT2_NS_24const_host_device_scalarIT6_EEPKT1_S7_PKS1_PKT3_PKT4_PT5_21rocsparse_index_base_b ; -- Begin function _ZN9rocsparseL21csrmvt_general_kernelILj256ELj32ElifdddEEvbbT2_NS_24const_host_device_scalarIT6_EEPKT1_S7_PKS1_PKT3_PKT4_PT5_21rocsparse_index_base_b
	.p2align	8
	.type	_ZN9rocsparseL21csrmvt_general_kernelILj256ELj32ElifdddEEvbbT2_NS_24const_host_device_scalarIT6_EEPKT1_S7_PKS1_PKT3_PKT4_PT5_21rocsparse_index_base_b,@function
_ZN9rocsparseL21csrmvt_general_kernelILj256ELj32ElifdddEEvbbT2_NS_24const_host_device_scalarIT6_EEPKT1_S7_PKS1_PKT3_PKT4_PT5_21rocsparse_index_base_b: ; @_ZN9rocsparseL21csrmvt_general_kernelILj256ELj32ElifdddEEvbbT2_NS_24const_host_device_scalarIT6_EEPKT1_S7_PKS1_PKT3_PKT4_PT5_21rocsparse_index_base_b
; %bb.0:
	s_load_dwordx2 s[16:17], s[4:5], 0x40
	s_load_dwordx4 s[0:3], s[4:5], 0x8
	s_waitcnt lgkmcnt(0)
	s_bitcmp1_b32 s17, 0
	s_cselect_b64 s[8:9], -1, 0
	s_and_b64 vcc, exec, s[8:9]
	v_pk_mov_b32 v[4:5], s[0:1], s[0:1] op_sel:[0,1]
	s_cbranch_vccnz .LBB317_2
; %bb.1:
	v_pk_mov_b32 v[2:3], s[0:1], s[0:1] op_sel:[0,1]
	flat_load_dwordx2 v[4:5], v[2:3]
.LBB317_2:
	s_waitcnt vmcnt(0) lgkmcnt(0)
	v_cmp_neq_f64_e32 vcc, 0, v[4:5]
	s_and_saveexec_b64 s[0:1], vcc
	s_cbranch_execz .LBB317_23
; %bb.3:
	s_load_dwordx2 s[18:19], s[4:5], 0x0
	s_load_dword s0, s[4:5], 0x48
	s_load_dwordx2 s[20:21], s[4:5], 0x38
	s_load_dwordx8 s[8:15], s[4:5], 0x18
	v_and_b32_e32 v7, 31, v0
	v_lshl_or_b32 v0, s6, 8, v0
	s_waitcnt lgkmcnt(0)
	s_and_b32 s1, s18, 1
	s_lshl_b32 s17, s0, 3
	v_lshrrev_b32_e32 v6, 5, v0
	s_cmp_eq_u32 s1, 0
	v_cmp_gt_i32_e64 s[0:1], s19, v6
	s_mov_b64 s[4:5], -1
	s_cbranch_scc0 .LBB317_13
; %bb.4:
	s_and_saveexec_b64 s[4:5], s[0:1]
	s_cbranch_execz .LBB317_12
; %bb.5:
	v_subrev_co_u32_e32 v20, vcc, s16, v7
	s_mov_b32 s18, 0
	v_subb_co_u32_e64 v21, s[6:7], 0, 0, vcc
	s_mov_b64 s[6:7], 0
	v_mov_b32_e32 v22, s3
	v_mov_b32_e32 v23, s9
	;; [unrolled: 1-line block ×4, first 2 shown]
	s_branch .LBB317_7
.LBB317_6:                              ;   in Loop: Header=BB317_7 Depth=1
	s_or_b64 exec, exec, s[22:23]
	v_add_u32_e32 v8, s17, v8
	v_cmp_le_i32_e32 vcc, s19, v8
	s_or_b64 s[6:7], vcc, s[6:7]
	s_andn2_b64 exec, exec, s[6:7]
	s_cbranch_execz .LBB317_12
.LBB317_7:                              ; =>This Loop Header: Depth=1
                                        ;     Child Loop BB317_9 Depth 2
                                        ;       Child Loop BB317_10 Depth 3
	v_ashrrev_i32_e32 v9, 31, v8
	v_lshlrev_b64 v[0:1], 3, v[8:9]
	v_add_co_u32_e32 v2, vcc, s8, v0
	v_addc_co_u32_e32 v3, vcc, v23, v1, vcc
	global_load_dwordx2 v[2:3], v[2:3], off
	v_add_co_u32_e32 v10, vcc, s2, v0
	v_addc_co_u32_e32 v11, vcc, v22, v1, vcc
	global_load_dwordx2 v[12:13], v[10:11], off
	s_waitcnt vmcnt(1)
	v_subrev_co_u32_e32 v10, vcc, s16, v2
	v_subb_co_u32_e32 v11, vcc, v3, v24, vcc
	s_waitcnt vmcnt(0)
	v_add_co_u32_e32 v12, vcc, v12, v20
	v_addc_co_u32_e32 v13, vcc, v13, v21, vcc
	v_cmp_lt_i64_e32 vcc, v[12:13], v[10:11]
	s_and_saveexec_b64 s[22:23], vcc
	s_cbranch_execz .LBB317_6
; %bb.8:                                ;   in Loop: Header=BB317_7 Depth=1
	v_mov_b32_e32 v2, s15
	v_add_co_u32_e32 v0, vcc, s14, v0
	v_addc_co_u32_e32 v1, vcc, v2, v1, vcc
	global_load_dwordx2 v[0:1], v[0:1], off
	s_mov_b64 s[24:25], 0
	s_waitcnt vmcnt(0)
	v_mul_f64 v[14:15], v[4:5], v[0:1]
.LBB317_9:                              ;   Parent Loop BB317_7 Depth=1
                                        ; =>  This Loop Header: Depth=2
                                        ;       Child Loop BB317_10 Depth 3
	v_lshlrev_b64 v[0:1], 2, v[12:13]
	v_mov_b32_e32 v3, s11
	v_add_co_u32_e32 v2, vcc, s10, v0
	v_addc_co_u32_e32 v3, vcc, v3, v1, vcc
	global_load_dword v2, v[2:3], off
	v_mov_b32_e32 v3, s13
	v_add_co_u32_e32 v0, vcc, s12, v0
	v_addc_co_u32_e32 v1, vcc, v3, v1, vcc
	global_load_dword v18, v[0:1], off
	v_mov_b32_e32 v9, s21
	s_mov_b64 s[26:27], 0
	s_waitcnt vmcnt(1)
	v_subrev_u32_e32 v0, s16, v2
	v_ashrrev_i32_e32 v1, 31, v0
	v_lshlrev_b64 v[0:1], 3, v[0:1]
	v_add_co_u32_e32 v16, vcc, s20, v0
	v_addc_co_u32_e32 v17, vcc, v9, v1, vcc
	global_load_dwordx2 v[2:3], v[16:17], off
	s_waitcnt vmcnt(1)
	v_cvt_f64_f32_e32 v[0:1], v18
	v_mul_f64 v[18:19], v[14:15], v[0:1]
.LBB317_10:                             ;   Parent Loop BB317_7 Depth=1
                                        ;     Parent Loop BB317_9 Depth=2
                                        ; =>    This Inner Loop Header: Depth=3
	s_waitcnt vmcnt(0)
	v_add_f64 v[0:1], v[2:3], v[18:19]
	global_atomic_cmpswap_x2 v[0:1], v[16:17], v[0:3], off glc
	s_waitcnt vmcnt(0)
	v_cmp_eq_u64_e32 vcc, v[0:1], v[2:3]
	s_or_b64 s[26:27], vcc, s[26:27]
	v_pk_mov_b32 v[2:3], v[0:1], v[0:1] op_sel:[0,1]
	s_andn2_b64 exec, exec, s[26:27]
	s_cbranch_execnz .LBB317_10
; %bb.11:                               ;   in Loop: Header=BB317_9 Depth=2
	s_or_b64 exec, exec, s[26:27]
	v_add_co_u32_e32 v12, vcc, 32, v12
	v_addc_co_u32_e32 v13, vcc, 0, v13, vcc
	v_cmp_ge_i64_e32 vcc, v[12:13], v[10:11]
	s_or_b64 s[24:25], vcc, s[24:25]
	s_andn2_b64 exec, exec, s[24:25]
	s_cbranch_execnz .LBB317_9
	s_branch .LBB317_6
.LBB317_12:
	s_or_b64 exec, exec, s[4:5]
	s_mov_b64 s[4:5], 0
.LBB317_13:
	s_andn2_b64 vcc, exec, s[4:5]
	s_cbranch_vccnz .LBB317_23
; %bb.14:
	s_and_b64 exec, exec, s[0:1]
	s_cbranch_execz .LBB317_23
; %bb.15:
	v_subrev_co_u32_e32 v18, vcc, s16, v7
	s_mov_b32 s4, 0
	v_subb_co_u32_e64 v19, s[0:1], 0, 0, vcc
	s_mov_b64 s[0:1], 0
	v_mov_b32_e32 v20, s3
	v_mov_b32_e32 v21, s9
	;; [unrolled: 1-line block ×3, first 2 shown]
	s_branch .LBB317_17
.LBB317_16:                             ;   in Loop: Header=BB317_17 Depth=1
	s_or_b64 exec, exec, s[4:5]
	v_add_u32_e32 v6, s17, v6
	v_cmp_le_i32_e32 vcc, s19, v6
	s_or_b64 s[0:1], vcc, s[0:1]
	s_andn2_b64 exec, exec, s[0:1]
	s_cbranch_execz .LBB317_23
.LBB317_17:                             ; =>This Loop Header: Depth=1
                                        ;     Child Loop BB317_20 Depth 2
                                        ;       Child Loop BB317_22 Depth 3
	v_ashrrev_i32_e32 v7, 31, v6
	v_lshlrev_b64 v[0:1], 3, v[6:7]
	v_add_co_u32_e32 v2, vcc, s8, v0
	v_addc_co_u32_e32 v3, vcc, v21, v1, vcc
	global_load_dwordx2 v[2:3], v[2:3], off
	v_add_co_u32_e32 v8, vcc, s2, v0
	v_addc_co_u32_e32 v9, vcc, v20, v1, vcc
	global_load_dwordx2 v[10:11], v[8:9], off
	s_waitcnt vmcnt(1)
	v_subrev_co_u32_e32 v8, vcc, s16, v2
	v_subb_co_u32_e32 v9, vcc, v3, v22, vcc
	s_waitcnt vmcnt(0)
	v_add_co_u32_e32 v10, vcc, v10, v18
	v_addc_co_u32_e32 v11, vcc, v11, v19, vcc
	v_cmp_lt_i64_e32 vcc, v[10:11], v[8:9]
	s_and_saveexec_b64 s[4:5], vcc
	s_cbranch_execz .LBB317_16
; %bb.18:                               ;   in Loop: Header=BB317_17 Depth=1
	v_mov_b32_e32 v2, s15
	v_add_co_u32_e32 v0, vcc, s14, v0
	v_addc_co_u32_e32 v1, vcc, v2, v1, vcc
	global_load_dwordx2 v[0:1], v[0:1], off
	s_mov_b64 s[6:7], 0
	s_waitcnt vmcnt(0)
	v_mul_f64 v[12:13], v[4:5], v[0:1]
	s_branch .LBB317_20
.LBB317_19:                             ;   in Loop: Header=BB317_20 Depth=2
	s_or_b64 exec, exec, s[22:23]
	v_add_co_u32_e32 v10, vcc, 32, v10
	v_addc_co_u32_e32 v11, vcc, 0, v11, vcc
	v_cmp_ge_i64_e32 vcc, v[10:11], v[8:9]
	s_or_b64 s[6:7], vcc, s[6:7]
	s_andn2_b64 exec, exec, s[6:7]
	s_cbranch_execz .LBB317_16
.LBB317_20:                             ;   Parent Loop BB317_17 Depth=1
                                        ; =>  This Loop Header: Depth=2
                                        ;       Child Loop BB317_22 Depth 3
	v_lshlrev_b64 v[0:1], 2, v[10:11]
	v_mov_b32_e32 v3, s11
	v_add_co_u32_e32 v2, vcc, s10, v0
	v_addc_co_u32_e32 v3, vcc, v3, v1, vcc
	global_load_dword v2, v[2:3], off
	s_waitcnt vmcnt(0)
	v_subrev_u32_e32 v2, s16, v2
	v_cmp_ne_u32_e32 vcc, v2, v6
	s_and_saveexec_b64 s[22:23], vcc
	s_cbranch_execz .LBB317_19
; %bb.21:                               ;   in Loop: Header=BB317_20 Depth=2
	v_mov_b32_e32 v3, s13
	v_add_co_u32_e32 v0, vcc, s12, v0
	v_addc_co_u32_e32 v1, vcc, v3, v1, vcc
	v_ashrrev_i32_e32 v3, 31, v2
	v_lshlrev_b64 v[2:3], 3, v[2:3]
	v_mov_b32_e32 v7, s21
	global_load_dword v0, v[0:1], off
	v_add_co_u32_e32 v14, vcc, s20, v2
	v_addc_co_u32_e32 v15, vcc, v7, v3, vcc
	global_load_dwordx2 v[2:3], v[14:15], off
	s_mov_b64 s[24:25], 0
	s_waitcnt vmcnt(1)
	v_cvt_f64_f32_e32 v[0:1], v0
	v_mul_f64 v[16:17], v[12:13], v[0:1]
.LBB317_22:                             ;   Parent Loop BB317_17 Depth=1
                                        ;     Parent Loop BB317_20 Depth=2
                                        ; =>    This Inner Loop Header: Depth=3
	s_waitcnt vmcnt(0)
	v_add_f64 v[0:1], v[2:3], v[16:17]
	global_atomic_cmpswap_x2 v[0:1], v[14:15], v[0:3], off glc
	s_waitcnt vmcnt(0)
	v_cmp_eq_u64_e32 vcc, v[0:1], v[2:3]
	s_or_b64 s[24:25], vcc, s[24:25]
	v_pk_mov_b32 v[2:3], v[0:1], v[0:1] op_sel:[0,1]
	s_andn2_b64 exec, exec, s[24:25]
	s_cbranch_execnz .LBB317_22
	s_branch .LBB317_19
.LBB317_23:
	s_endpgm
	.section	.rodata,"a",@progbits
	.p2align	6, 0x0
	.amdhsa_kernel _ZN9rocsparseL21csrmvt_general_kernelILj256ELj32ElifdddEEvbbT2_NS_24const_host_device_scalarIT6_EEPKT1_S7_PKS1_PKT3_PKT4_PT5_21rocsparse_index_base_b
		.amdhsa_group_segment_fixed_size 0
		.amdhsa_private_segment_fixed_size 0
		.amdhsa_kernarg_size 328
		.amdhsa_user_sgpr_count 6
		.amdhsa_user_sgpr_private_segment_buffer 1
		.amdhsa_user_sgpr_dispatch_ptr 0
		.amdhsa_user_sgpr_queue_ptr 0
		.amdhsa_user_sgpr_kernarg_segment_ptr 1
		.amdhsa_user_sgpr_dispatch_id 0
		.amdhsa_user_sgpr_flat_scratch_init 0
		.amdhsa_user_sgpr_kernarg_preload_length 0
		.amdhsa_user_sgpr_kernarg_preload_offset 0
		.amdhsa_user_sgpr_private_segment_size 0
		.amdhsa_uses_dynamic_stack 0
		.amdhsa_system_sgpr_private_segment_wavefront_offset 0
		.amdhsa_system_sgpr_workgroup_id_x 1
		.amdhsa_system_sgpr_workgroup_id_y 0
		.amdhsa_system_sgpr_workgroup_id_z 0
		.amdhsa_system_sgpr_workgroup_info 0
		.amdhsa_system_vgpr_workitem_id 0
		.amdhsa_next_free_vgpr 25
		.amdhsa_next_free_sgpr 28
		.amdhsa_accum_offset 28
		.amdhsa_reserve_vcc 1
		.amdhsa_reserve_flat_scratch 0
		.amdhsa_float_round_mode_32 0
		.amdhsa_float_round_mode_16_64 0
		.amdhsa_float_denorm_mode_32 3
		.amdhsa_float_denorm_mode_16_64 3
		.amdhsa_dx10_clamp 1
		.amdhsa_ieee_mode 1
		.amdhsa_fp16_overflow 0
		.amdhsa_tg_split 0
		.amdhsa_exception_fp_ieee_invalid_op 0
		.amdhsa_exception_fp_denorm_src 0
		.amdhsa_exception_fp_ieee_div_zero 0
		.amdhsa_exception_fp_ieee_overflow 0
		.amdhsa_exception_fp_ieee_underflow 0
		.amdhsa_exception_fp_ieee_inexact 0
		.amdhsa_exception_int_div_zero 0
	.end_amdhsa_kernel
	.section	.text._ZN9rocsparseL21csrmvt_general_kernelILj256ELj32ElifdddEEvbbT2_NS_24const_host_device_scalarIT6_EEPKT1_S7_PKS1_PKT3_PKT4_PT5_21rocsparse_index_base_b,"axG",@progbits,_ZN9rocsparseL21csrmvt_general_kernelILj256ELj32ElifdddEEvbbT2_NS_24const_host_device_scalarIT6_EEPKT1_S7_PKS1_PKT3_PKT4_PT5_21rocsparse_index_base_b,comdat
.Lfunc_end317:
	.size	_ZN9rocsparseL21csrmvt_general_kernelILj256ELj32ElifdddEEvbbT2_NS_24const_host_device_scalarIT6_EEPKT1_S7_PKS1_PKT3_PKT4_PT5_21rocsparse_index_base_b, .Lfunc_end317-_ZN9rocsparseL21csrmvt_general_kernelILj256ELj32ElifdddEEvbbT2_NS_24const_host_device_scalarIT6_EEPKT1_S7_PKS1_PKT3_PKT4_PT5_21rocsparse_index_base_b
                                        ; -- End function
	.section	.AMDGPU.csdata,"",@progbits
; Kernel info:
; codeLenInByte = 940
; NumSgprs: 32
; NumVgprs: 25
; NumAgprs: 0
; TotalNumVgprs: 25
; ScratchSize: 0
; MemoryBound: 0
; FloatMode: 240
; IeeeMode: 1
; LDSByteSize: 0 bytes/workgroup (compile time only)
; SGPRBlocks: 3
; VGPRBlocks: 3
; NumSGPRsForWavesPerEU: 32
; NumVGPRsForWavesPerEU: 25
; AccumOffset: 28
; Occupancy: 8
; WaveLimiterHint : 1
; COMPUTE_PGM_RSRC2:SCRATCH_EN: 0
; COMPUTE_PGM_RSRC2:USER_SGPR: 6
; COMPUTE_PGM_RSRC2:TRAP_HANDLER: 0
; COMPUTE_PGM_RSRC2:TGID_X_EN: 1
; COMPUTE_PGM_RSRC2:TGID_Y_EN: 0
; COMPUTE_PGM_RSRC2:TGID_Z_EN: 0
; COMPUTE_PGM_RSRC2:TIDIG_COMP_CNT: 0
; COMPUTE_PGM_RSRC3_GFX90A:ACCUM_OFFSET: 6
; COMPUTE_PGM_RSRC3_GFX90A:TG_SPLIT: 0
	.section	.text._ZN9rocsparseL21csrmvt_general_kernelILj256ELj64ElifdddEEvbbT2_NS_24const_host_device_scalarIT6_EEPKT1_S7_PKS1_PKT3_PKT4_PT5_21rocsparse_index_base_b,"axG",@progbits,_ZN9rocsparseL21csrmvt_general_kernelILj256ELj64ElifdddEEvbbT2_NS_24const_host_device_scalarIT6_EEPKT1_S7_PKS1_PKT3_PKT4_PT5_21rocsparse_index_base_b,comdat
	.globl	_ZN9rocsparseL21csrmvt_general_kernelILj256ELj64ElifdddEEvbbT2_NS_24const_host_device_scalarIT6_EEPKT1_S7_PKS1_PKT3_PKT4_PT5_21rocsparse_index_base_b ; -- Begin function _ZN9rocsparseL21csrmvt_general_kernelILj256ELj64ElifdddEEvbbT2_NS_24const_host_device_scalarIT6_EEPKT1_S7_PKS1_PKT3_PKT4_PT5_21rocsparse_index_base_b
	.p2align	8
	.type	_ZN9rocsparseL21csrmvt_general_kernelILj256ELj64ElifdddEEvbbT2_NS_24const_host_device_scalarIT6_EEPKT1_S7_PKS1_PKT3_PKT4_PT5_21rocsparse_index_base_b,@function
_ZN9rocsparseL21csrmvt_general_kernelILj256ELj64ElifdddEEvbbT2_NS_24const_host_device_scalarIT6_EEPKT1_S7_PKS1_PKT3_PKT4_PT5_21rocsparse_index_base_b: ; @_ZN9rocsparseL21csrmvt_general_kernelILj256ELj64ElifdddEEvbbT2_NS_24const_host_device_scalarIT6_EEPKT1_S7_PKS1_PKT3_PKT4_PT5_21rocsparse_index_base_b
; %bb.0:
	s_load_dwordx2 s[16:17], s[4:5], 0x40
	s_load_dwordx4 s[0:3], s[4:5], 0x8
	s_waitcnt lgkmcnt(0)
	s_bitcmp1_b32 s17, 0
	s_cselect_b64 s[8:9], -1, 0
	s_and_b64 vcc, exec, s[8:9]
	v_pk_mov_b32 v[4:5], s[0:1], s[0:1] op_sel:[0,1]
	s_cbranch_vccnz .LBB318_2
; %bb.1:
	v_pk_mov_b32 v[2:3], s[0:1], s[0:1] op_sel:[0,1]
	flat_load_dwordx2 v[4:5], v[2:3]
.LBB318_2:
	s_waitcnt vmcnt(0) lgkmcnt(0)
	v_cmp_neq_f64_e32 vcc, 0, v[4:5]
	s_and_saveexec_b64 s[0:1], vcc
	s_cbranch_execz .LBB318_23
; %bb.3:
	s_load_dwordx2 s[18:19], s[4:5], 0x0
	s_load_dword s0, s[4:5], 0x48
	s_load_dwordx2 s[20:21], s[4:5], 0x38
	s_load_dwordx8 s[8:15], s[4:5], 0x18
	v_and_b32_e32 v7, 63, v0
	v_lshl_or_b32 v0, s6, 8, v0
	s_waitcnt lgkmcnt(0)
	s_and_b32 s1, s18, 1
	s_lshl_b32 s17, s0, 2
	v_lshrrev_b32_e32 v6, 6, v0
	s_cmp_eq_u32 s1, 0
	v_cmp_gt_i32_e64 s[0:1], s19, v6
	s_mov_b64 s[4:5], -1
	s_cbranch_scc0 .LBB318_13
; %bb.4:
	s_and_saveexec_b64 s[4:5], s[0:1]
	s_cbranch_execz .LBB318_12
; %bb.5:
	v_subrev_co_u32_e32 v20, vcc, s16, v7
	s_mov_b32 s18, 0
	v_subb_co_u32_e64 v21, s[6:7], 0, 0, vcc
	s_mov_b64 s[6:7], 0
	v_mov_b32_e32 v22, s3
	v_mov_b32_e32 v23, s9
	;; [unrolled: 1-line block ×4, first 2 shown]
	s_branch .LBB318_7
.LBB318_6:                              ;   in Loop: Header=BB318_7 Depth=1
	s_or_b64 exec, exec, s[22:23]
	v_add_u32_e32 v8, s17, v8
	v_cmp_le_i32_e32 vcc, s19, v8
	s_or_b64 s[6:7], vcc, s[6:7]
	s_andn2_b64 exec, exec, s[6:7]
	s_cbranch_execz .LBB318_12
.LBB318_7:                              ; =>This Loop Header: Depth=1
                                        ;     Child Loop BB318_9 Depth 2
                                        ;       Child Loop BB318_10 Depth 3
	v_ashrrev_i32_e32 v9, 31, v8
	v_lshlrev_b64 v[0:1], 3, v[8:9]
	v_add_co_u32_e32 v2, vcc, s8, v0
	v_addc_co_u32_e32 v3, vcc, v23, v1, vcc
	global_load_dwordx2 v[2:3], v[2:3], off
	v_add_co_u32_e32 v10, vcc, s2, v0
	v_addc_co_u32_e32 v11, vcc, v22, v1, vcc
	global_load_dwordx2 v[12:13], v[10:11], off
	s_waitcnt vmcnt(1)
	v_subrev_co_u32_e32 v10, vcc, s16, v2
	v_subb_co_u32_e32 v11, vcc, v3, v24, vcc
	s_waitcnt vmcnt(0)
	v_add_co_u32_e32 v12, vcc, v12, v20
	v_addc_co_u32_e32 v13, vcc, v13, v21, vcc
	v_cmp_lt_i64_e32 vcc, v[12:13], v[10:11]
	s_and_saveexec_b64 s[22:23], vcc
	s_cbranch_execz .LBB318_6
; %bb.8:                                ;   in Loop: Header=BB318_7 Depth=1
	v_mov_b32_e32 v2, s15
	v_add_co_u32_e32 v0, vcc, s14, v0
	v_addc_co_u32_e32 v1, vcc, v2, v1, vcc
	global_load_dwordx2 v[0:1], v[0:1], off
	s_mov_b64 s[24:25], 0
	s_waitcnt vmcnt(0)
	v_mul_f64 v[14:15], v[4:5], v[0:1]
.LBB318_9:                              ;   Parent Loop BB318_7 Depth=1
                                        ; =>  This Loop Header: Depth=2
                                        ;       Child Loop BB318_10 Depth 3
	v_lshlrev_b64 v[0:1], 2, v[12:13]
	v_mov_b32_e32 v3, s11
	v_add_co_u32_e32 v2, vcc, s10, v0
	v_addc_co_u32_e32 v3, vcc, v3, v1, vcc
	global_load_dword v2, v[2:3], off
	v_mov_b32_e32 v3, s13
	v_add_co_u32_e32 v0, vcc, s12, v0
	v_addc_co_u32_e32 v1, vcc, v3, v1, vcc
	global_load_dword v18, v[0:1], off
	v_mov_b32_e32 v9, s21
	s_mov_b64 s[26:27], 0
	s_waitcnt vmcnt(1)
	v_subrev_u32_e32 v0, s16, v2
	v_ashrrev_i32_e32 v1, 31, v0
	v_lshlrev_b64 v[0:1], 3, v[0:1]
	v_add_co_u32_e32 v16, vcc, s20, v0
	v_addc_co_u32_e32 v17, vcc, v9, v1, vcc
	global_load_dwordx2 v[2:3], v[16:17], off
	s_waitcnt vmcnt(1)
	v_cvt_f64_f32_e32 v[0:1], v18
	v_mul_f64 v[18:19], v[14:15], v[0:1]
.LBB318_10:                             ;   Parent Loop BB318_7 Depth=1
                                        ;     Parent Loop BB318_9 Depth=2
                                        ; =>    This Inner Loop Header: Depth=3
	s_waitcnt vmcnt(0)
	v_add_f64 v[0:1], v[2:3], v[18:19]
	global_atomic_cmpswap_x2 v[0:1], v[16:17], v[0:3], off glc
	s_waitcnt vmcnt(0)
	v_cmp_eq_u64_e32 vcc, v[0:1], v[2:3]
	s_or_b64 s[26:27], vcc, s[26:27]
	v_pk_mov_b32 v[2:3], v[0:1], v[0:1] op_sel:[0,1]
	s_andn2_b64 exec, exec, s[26:27]
	s_cbranch_execnz .LBB318_10
; %bb.11:                               ;   in Loop: Header=BB318_9 Depth=2
	s_or_b64 exec, exec, s[26:27]
	v_add_co_u32_e32 v12, vcc, 64, v12
	v_addc_co_u32_e32 v13, vcc, 0, v13, vcc
	v_cmp_ge_i64_e32 vcc, v[12:13], v[10:11]
	s_or_b64 s[24:25], vcc, s[24:25]
	s_andn2_b64 exec, exec, s[24:25]
	s_cbranch_execnz .LBB318_9
	s_branch .LBB318_6
.LBB318_12:
	s_or_b64 exec, exec, s[4:5]
	s_mov_b64 s[4:5], 0
.LBB318_13:
	s_andn2_b64 vcc, exec, s[4:5]
	s_cbranch_vccnz .LBB318_23
; %bb.14:
	s_and_b64 exec, exec, s[0:1]
	s_cbranch_execz .LBB318_23
; %bb.15:
	v_subrev_co_u32_e32 v18, vcc, s16, v7
	s_mov_b32 s4, 0
	v_subb_co_u32_e64 v19, s[0:1], 0, 0, vcc
	s_mov_b64 s[0:1], 0
	v_mov_b32_e32 v20, s3
	v_mov_b32_e32 v21, s9
	;; [unrolled: 1-line block ×3, first 2 shown]
	s_branch .LBB318_17
.LBB318_16:                             ;   in Loop: Header=BB318_17 Depth=1
	s_or_b64 exec, exec, s[4:5]
	v_add_u32_e32 v6, s17, v6
	v_cmp_le_i32_e32 vcc, s19, v6
	s_or_b64 s[0:1], vcc, s[0:1]
	s_andn2_b64 exec, exec, s[0:1]
	s_cbranch_execz .LBB318_23
.LBB318_17:                             ; =>This Loop Header: Depth=1
                                        ;     Child Loop BB318_20 Depth 2
                                        ;       Child Loop BB318_22 Depth 3
	v_ashrrev_i32_e32 v7, 31, v6
	v_lshlrev_b64 v[0:1], 3, v[6:7]
	v_add_co_u32_e32 v2, vcc, s8, v0
	v_addc_co_u32_e32 v3, vcc, v21, v1, vcc
	global_load_dwordx2 v[2:3], v[2:3], off
	v_add_co_u32_e32 v8, vcc, s2, v0
	v_addc_co_u32_e32 v9, vcc, v20, v1, vcc
	global_load_dwordx2 v[10:11], v[8:9], off
	s_waitcnt vmcnt(1)
	v_subrev_co_u32_e32 v8, vcc, s16, v2
	v_subb_co_u32_e32 v9, vcc, v3, v22, vcc
	s_waitcnt vmcnt(0)
	v_add_co_u32_e32 v10, vcc, v10, v18
	v_addc_co_u32_e32 v11, vcc, v11, v19, vcc
	v_cmp_lt_i64_e32 vcc, v[10:11], v[8:9]
	s_and_saveexec_b64 s[4:5], vcc
	s_cbranch_execz .LBB318_16
; %bb.18:                               ;   in Loop: Header=BB318_17 Depth=1
	v_mov_b32_e32 v2, s15
	v_add_co_u32_e32 v0, vcc, s14, v0
	v_addc_co_u32_e32 v1, vcc, v2, v1, vcc
	global_load_dwordx2 v[0:1], v[0:1], off
	s_mov_b64 s[6:7], 0
	s_waitcnt vmcnt(0)
	v_mul_f64 v[12:13], v[4:5], v[0:1]
	s_branch .LBB318_20
.LBB318_19:                             ;   in Loop: Header=BB318_20 Depth=2
	s_or_b64 exec, exec, s[22:23]
	v_add_co_u32_e32 v10, vcc, 64, v10
	v_addc_co_u32_e32 v11, vcc, 0, v11, vcc
	v_cmp_ge_i64_e32 vcc, v[10:11], v[8:9]
	s_or_b64 s[6:7], vcc, s[6:7]
	s_andn2_b64 exec, exec, s[6:7]
	s_cbranch_execz .LBB318_16
.LBB318_20:                             ;   Parent Loop BB318_17 Depth=1
                                        ; =>  This Loop Header: Depth=2
                                        ;       Child Loop BB318_22 Depth 3
	v_lshlrev_b64 v[0:1], 2, v[10:11]
	v_mov_b32_e32 v3, s11
	v_add_co_u32_e32 v2, vcc, s10, v0
	v_addc_co_u32_e32 v3, vcc, v3, v1, vcc
	global_load_dword v2, v[2:3], off
	s_waitcnt vmcnt(0)
	v_subrev_u32_e32 v2, s16, v2
	v_cmp_ne_u32_e32 vcc, v2, v6
	s_and_saveexec_b64 s[22:23], vcc
	s_cbranch_execz .LBB318_19
; %bb.21:                               ;   in Loop: Header=BB318_20 Depth=2
	v_mov_b32_e32 v3, s13
	v_add_co_u32_e32 v0, vcc, s12, v0
	v_addc_co_u32_e32 v1, vcc, v3, v1, vcc
	v_ashrrev_i32_e32 v3, 31, v2
	v_lshlrev_b64 v[2:3], 3, v[2:3]
	v_mov_b32_e32 v7, s21
	global_load_dword v0, v[0:1], off
	v_add_co_u32_e32 v14, vcc, s20, v2
	v_addc_co_u32_e32 v15, vcc, v7, v3, vcc
	global_load_dwordx2 v[2:3], v[14:15], off
	s_mov_b64 s[24:25], 0
	s_waitcnt vmcnt(1)
	v_cvt_f64_f32_e32 v[0:1], v0
	v_mul_f64 v[16:17], v[12:13], v[0:1]
.LBB318_22:                             ;   Parent Loop BB318_17 Depth=1
                                        ;     Parent Loop BB318_20 Depth=2
                                        ; =>    This Inner Loop Header: Depth=3
	s_waitcnt vmcnt(0)
	v_add_f64 v[0:1], v[2:3], v[16:17]
	global_atomic_cmpswap_x2 v[0:1], v[14:15], v[0:3], off glc
	s_waitcnt vmcnt(0)
	v_cmp_eq_u64_e32 vcc, v[0:1], v[2:3]
	s_or_b64 s[24:25], vcc, s[24:25]
	v_pk_mov_b32 v[2:3], v[0:1], v[0:1] op_sel:[0,1]
	s_andn2_b64 exec, exec, s[24:25]
	s_cbranch_execnz .LBB318_22
	s_branch .LBB318_19
.LBB318_23:
	s_endpgm
	.section	.rodata,"a",@progbits
	.p2align	6, 0x0
	.amdhsa_kernel _ZN9rocsparseL21csrmvt_general_kernelILj256ELj64ElifdddEEvbbT2_NS_24const_host_device_scalarIT6_EEPKT1_S7_PKS1_PKT3_PKT4_PT5_21rocsparse_index_base_b
		.amdhsa_group_segment_fixed_size 0
		.amdhsa_private_segment_fixed_size 0
		.amdhsa_kernarg_size 328
		.amdhsa_user_sgpr_count 6
		.amdhsa_user_sgpr_private_segment_buffer 1
		.amdhsa_user_sgpr_dispatch_ptr 0
		.amdhsa_user_sgpr_queue_ptr 0
		.amdhsa_user_sgpr_kernarg_segment_ptr 1
		.amdhsa_user_sgpr_dispatch_id 0
		.amdhsa_user_sgpr_flat_scratch_init 0
		.amdhsa_user_sgpr_kernarg_preload_length 0
		.amdhsa_user_sgpr_kernarg_preload_offset 0
		.amdhsa_user_sgpr_private_segment_size 0
		.amdhsa_uses_dynamic_stack 0
		.amdhsa_system_sgpr_private_segment_wavefront_offset 0
		.amdhsa_system_sgpr_workgroup_id_x 1
		.amdhsa_system_sgpr_workgroup_id_y 0
		.amdhsa_system_sgpr_workgroup_id_z 0
		.amdhsa_system_sgpr_workgroup_info 0
		.amdhsa_system_vgpr_workitem_id 0
		.amdhsa_next_free_vgpr 25
		.amdhsa_next_free_sgpr 28
		.amdhsa_accum_offset 28
		.amdhsa_reserve_vcc 1
		.amdhsa_reserve_flat_scratch 0
		.amdhsa_float_round_mode_32 0
		.amdhsa_float_round_mode_16_64 0
		.amdhsa_float_denorm_mode_32 3
		.amdhsa_float_denorm_mode_16_64 3
		.amdhsa_dx10_clamp 1
		.amdhsa_ieee_mode 1
		.amdhsa_fp16_overflow 0
		.amdhsa_tg_split 0
		.amdhsa_exception_fp_ieee_invalid_op 0
		.amdhsa_exception_fp_denorm_src 0
		.amdhsa_exception_fp_ieee_div_zero 0
		.amdhsa_exception_fp_ieee_overflow 0
		.amdhsa_exception_fp_ieee_underflow 0
		.amdhsa_exception_fp_ieee_inexact 0
		.amdhsa_exception_int_div_zero 0
	.end_amdhsa_kernel
	.section	.text._ZN9rocsparseL21csrmvt_general_kernelILj256ELj64ElifdddEEvbbT2_NS_24const_host_device_scalarIT6_EEPKT1_S7_PKS1_PKT3_PKT4_PT5_21rocsparse_index_base_b,"axG",@progbits,_ZN9rocsparseL21csrmvt_general_kernelILj256ELj64ElifdddEEvbbT2_NS_24const_host_device_scalarIT6_EEPKT1_S7_PKS1_PKT3_PKT4_PT5_21rocsparse_index_base_b,comdat
.Lfunc_end318:
	.size	_ZN9rocsparseL21csrmvt_general_kernelILj256ELj64ElifdddEEvbbT2_NS_24const_host_device_scalarIT6_EEPKT1_S7_PKS1_PKT3_PKT4_PT5_21rocsparse_index_base_b, .Lfunc_end318-_ZN9rocsparseL21csrmvt_general_kernelILj256ELj64ElifdddEEvbbT2_NS_24const_host_device_scalarIT6_EEPKT1_S7_PKS1_PKT3_PKT4_PT5_21rocsparse_index_base_b
                                        ; -- End function
	.section	.AMDGPU.csdata,"",@progbits
; Kernel info:
; codeLenInByte = 940
; NumSgprs: 32
; NumVgprs: 25
; NumAgprs: 0
; TotalNumVgprs: 25
; ScratchSize: 0
; MemoryBound: 0
; FloatMode: 240
; IeeeMode: 1
; LDSByteSize: 0 bytes/workgroup (compile time only)
; SGPRBlocks: 3
; VGPRBlocks: 3
; NumSGPRsForWavesPerEU: 32
; NumVGPRsForWavesPerEU: 25
; AccumOffset: 28
; Occupancy: 8
; WaveLimiterHint : 1
; COMPUTE_PGM_RSRC2:SCRATCH_EN: 0
; COMPUTE_PGM_RSRC2:USER_SGPR: 6
; COMPUTE_PGM_RSRC2:TRAP_HANDLER: 0
; COMPUTE_PGM_RSRC2:TGID_X_EN: 1
; COMPUTE_PGM_RSRC2:TGID_Y_EN: 0
; COMPUTE_PGM_RSRC2:TGID_Z_EN: 0
; COMPUTE_PGM_RSRC2:TIDIG_COMP_CNT: 0
; COMPUTE_PGM_RSRC3_GFX90A:ACCUM_OFFSET: 6
; COMPUTE_PGM_RSRC3_GFX90A:TG_SPLIT: 0
	.section	.text._ZN9rocsparseL21csrmvn_general_kernelILj256ELj2EllfdddEEvbT2_NS_24const_host_device_scalarIT6_EEPKT1_S7_PKS1_PKT3_PKT4_S4_PT5_21rocsparse_index_base_b,"axG",@progbits,_ZN9rocsparseL21csrmvn_general_kernelILj256ELj2EllfdddEEvbT2_NS_24const_host_device_scalarIT6_EEPKT1_S7_PKS1_PKT3_PKT4_S4_PT5_21rocsparse_index_base_b,comdat
	.globl	_ZN9rocsparseL21csrmvn_general_kernelILj256ELj2EllfdddEEvbT2_NS_24const_host_device_scalarIT6_EEPKT1_S7_PKS1_PKT3_PKT4_S4_PT5_21rocsparse_index_base_b ; -- Begin function _ZN9rocsparseL21csrmvn_general_kernelILj256ELj2EllfdddEEvbT2_NS_24const_host_device_scalarIT6_EEPKT1_S7_PKS1_PKT3_PKT4_S4_PT5_21rocsparse_index_base_b
	.p2align	8
	.type	_ZN9rocsparseL21csrmvn_general_kernelILj256ELj2EllfdddEEvbT2_NS_24const_host_device_scalarIT6_EEPKT1_S7_PKS1_PKT3_PKT4_S4_PT5_21rocsparse_index_base_b,@function
_ZN9rocsparseL21csrmvn_general_kernelILj256ELj2EllfdddEEvbT2_NS_24const_host_device_scalarIT6_EEPKT1_S7_PKS1_PKT3_PKT4_S4_PT5_21rocsparse_index_base_b: ; @_ZN9rocsparseL21csrmvn_general_kernelILj256ELj2EllfdddEEvbT2_NS_24const_host_device_scalarIT6_EEPKT1_S7_PKS1_PKT3_PKT4_S4_PT5_21rocsparse_index_base_b
; %bb.0:
	s_load_dwordx2 s[20:21], s[4:5], 0x50
	s_load_dwordx2 s[0:1], s[4:5], 0x40
	s_load_dwordx8 s[8:15], s[4:5], 0x8
	s_waitcnt lgkmcnt(0)
	s_bitcmp1_b32 s21, 0
	s_cselect_b64 s[16:17], -1, 0
	s_xor_b64 s[2:3], s[16:17], -1
	s_and_b64 vcc, exec, s[16:17]
	v_pk_mov_b32 v[2:3], s[10:11], s[10:11] op_sel:[0,1]
	s_cbranch_vccnz .LBB319_2
; %bb.1:
	v_pk_mov_b32 v[2:3], s[10:11], s[10:11] op_sel:[0,1]
	flat_load_dwordx2 v[2:3], v[2:3]
.LBB319_2:
	s_andn2_b64 vcc, exec, s[2:3]
	v_pk_mov_b32 v[4:5], s[0:1], s[0:1] op_sel:[0,1]
	s_cbranch_vccnz .LBB319_4
; %bb.3:
	v_pk_mov_b32 v[4:5], s[0:1], s[0:1] op_sel:[0,1]
	flat_load_dwordx2 v[4:5], v[4:5]
.LBB319_4:
	s_waitcnt vmcnt(0) lgkmcnt(0)
	v_cmp_neq_f64_e32 vcc, 0, v[2:3]
	v_cmp_neq_f64_e64 s[0:1], 1.0, v[4:5]
	s_or_b64 s[0:1], vcc, s[0:1]
	s_and_saveexec_b64 s[2:3], s[0:1]
	s_cbranch_execz .LBB319_16
; %bb.5:
	v_lshl_or_b32 v1, s6, 8, v0
	v_lshrrev_b32_e32 v6, 1, v1
	v_mov_b32_e32 v7, 0
	v_cmp_gt_i64_e32 vcc, s[8:9], v[6:7]
	s_and_b64 exec, exec, vcc
	s_cbranch_execz .LBB319_16
; %bb.6:
	s_load_dword s2, s[4:5], 0x58
	s_load_dwordx2 s[6:7], s[4:5], 0x48
	s_load_dwordx4 s[16:19], s[4:5], 0x28
	s_load_dwordx2 s[0:1], s[4:5], 0x38
	v_and_b32_e32 v0, 1, v0
	v_subrev_co_u32_e32 v18, vcc, s20, v0
	s_waitcnt lgkmcnt(0)
	s_lshl_b32 s24, s2, 7
	v_subb_co_u32_e64 v19, s[2:3], 0, 0, vcc
	s_ashr_i32 s3, s20, 31
	s_mov_b32 s2, s20
	s_lshl_b64 s[2:3], s[2:3], 3
	s_sub_u32 s25, s0, s2
	s_mov_b32 s21, 0
	s_subb_u32 s2, s1, s3
	v_cmp_eq_u32_e32 vcc, 1, v0
	s_mov_b64 s[4:5], 0
	v_cmp_neq_f64_e64 s[0:1], 0, v[4:5]
	v_mov_b32_e32 v20, s13
	v_mov_b32_e32 v21, s15
	;; [unrolled: 1-line block ×4, first 2 shown]
	s_mov_b32 s10, s21
	s_branch .LBB319_9
.LBB319_7:                              ;   in Loop: Header=BB319_9 Depth=1
	s_or_b64 exec, exec, s[2:3]
	global_store_dwordx2 v[0:1], v[8:9], off
.LBB319_8:                              ;   in Loop: Header=BB319_9 Depth=1
	s_or_b64 exec, exec, s[10:11]
	v_mov_b32_e32 v0, s21
	v_add_co_u32_e64 v6, s[2:3], s24, v6
	v_addc_co_u32_e64 v7, s[2:3], v7, v0, s[2:3]
	v_cmp_le_i64_e64 s[2:3], s[8:9], v[6:7]
	s_or_b64 s[4:5], s[2:3], s[4:5]
	s_andn2_b64 exec, exec, s[4:5]
	s_cbranch_execz .LBB319_16
.LBB319_9:                              ; =>This Loop Header: Depth=1
                                        ;     Child Loop BB319_11 Depth 2
	v_lshlrev_b64 v[0:1], 3, v[6:7]
	v_add_co_u32_e64 v8, s[2:3], s14, v0
	v_addc_co_u32_e64 v9, s[2:3], v21, v1, s[2:3]
	global_load_dwordx2 v[8:9], v[8:9], off
	v_add_co_u32_e64 v10, s[2:3], s12, v0
	v_addc_co_u32_e64 v11, s[2:3], v20, v1, s[2:3]
	global_load_dwordx2 v[10:11], v[10:11], off
	v_pk_mov_b32 v[12:13], 0, 0
	s_waitcnt vmcnt(1)
	v_subrev_co_u32_e64 v8, s[2:3], s20, v8
	v_subb_co_u32_e64 v9, s[2:3], v9, v22, s[2:3]
	s_waitcnt vmcnt(0)
	v_add_co_u32_e64 v10, s[2:3], v10, v18
	v_addc_co_u32_e64 v11, s[2:3], v11, v19, s[2:3]
	v_cmp_lt_i64_e64 s[2:3], v[10:11], v[8:9]
	s_and_saveexec_b64 s[10:11], s[2:3]
	s_cbranch_execz .LBB319_13
; %bb.10:                               ;   in Loop: Header=BB319_9 Depth=1
	v_lshlrev_b64 v[12:13], 2, v[10:11]
	v_mov_b32_e32 v15, s19
	v_add_co_u32_e64 v14, s[2:3], s18, v12
	v_addc_co_u32_e64 v15, s[2:3], v15, v13, s[2:3]
	v_lshlrev_b64 v[12:13], 3, v[10:11]
	v_mov_b32_e32 v17, s17
	v_add_co_u32_e64 v16, s[2:3], s16, v12
	v_addc_co_u32_e64 v17, s[2:3], v17, v13, s[2:3]
	s_mov_b64 s[22:23], 0
	v_pk_mov_b32 v[12:13], 0, 0
.LBB319_11:                             ;   Parent Loop BB319_9 Depth=1
                                        ; =>  This Inner Loop Header: Depth=2
	global_load_dwordx2 v[24:25], v[16:17], off
	global_load_dword v26, v[14:15], off
	s_waitcnt vmcnt(1)
	v_lshlrev_b64 v[24:25], 3, v[24:25]
	v_add_co_u32_e64 v24, s[2:3], s25, v24
	v_addc_co_u32_e64 v25, s[2:3], v23, v25, s[2:3]
	global_load_dwordx2 v[24:25], v[24:25], off
	v_add_co_u32_e64 v10, s[2:3], 2, v10
	v_addc_co_u32_e64 v11, s[2:3], 0, v11, s[2:3]
	v_add_co_u32_e64 v14, s[2:3], 8, v14
	v_addc_co_u32_e64 v15, s[2:3], 0, v15, s[2:3]
	;; [unrolled: 2-line block ×3, first 2 shown]
	s_waitcnt vmcnt(1)
	v_cvt_f64_f32_e32 v[26:27], v26
	v_cmp_ge_i64_e64 s[2:3], v[10:11], v[8:9]
	v_mul_f64 v[26:27], v[2:3], v[26:27]
	s_or_b64 s[22:23], s[2:3], s[22:23]
	s_waitcnt vmcnt(0)
	v_fmac_f64_e32 v[12:13], v[26:27], v[24:25]
	s_andn2_b64 exec, exec, s[22:23]
	s_cbranch_execnz .LBB319_11
; %bb.12:                               ;   in Loop: Header=BB319_9 Depth=1
	s_or_b64 exec, exec, s[22:23]
.LBB319_13:                             ;   in Loop: Header=BB319_9 Depth=1
	s_or_b64 exec, exec, s[10:11]
	v_mov_b32_dpp v8, v12 row_shr:1 row_mask:0xf bank_mask:0xf
	v_mov_b32_dpp v9, v13 row_shr:1 row_mask:0xf bank_mask:0xf
	s_and_saveexec_b64 s[10:11], vcc
	s_cbranch_execz .LBB319_8
; %bb.14:                               ;   in Loop: Header=BB319_9 Depth=1
	v_mov_b32_e32 v10, s7
	v_add_co_u32_e64 v0, s[2:3], s6, v0
	v_add_f64 v[8:9], v[12:13], v[8:9]
	v_addc_co_u32_e64 v1, s[2:3], v10, v1, s[2:3]
	s_and_saveexec_b64 s[2:3], s[0:1]
	s_cbranch_execz .LBB319_7
; %bb.15:                               ;   in Loop: Header=BB319_9 Depth=1
	global_load_dwordx2 v[10:11], v[0:1], off
	s_waitcnt vmcnt(0)
	v_fmac_f64_e32 v[8:9], v[4:5], v[10:11]
	s_branch .LBB319_7
.LBB319_16:
	s_endpgm
	.section	.rodata,"a",@progbits
	.p2align	6, 0x0
	.amdhsa_kernel _ZN9rocsparseL21csrmvn_general_kernelILj256ELj2EllfdddEEvbT2_NS_24const_host_device_scalarIT6_EEPKT1_S7_PKS1_PKT3_PKT4_S4_PT5_21rocsparse_index_base_b
		.amdhsa_group_segment_fixed_size 0
		.amdhsa_private_segment_fixed_size 0
		.amdhsa_kernarg_size 344
		.amdhsa_user_sgpr_count 6
		.amdhsa_user_sgpr_private_segment_buffer 1
		.amdhsa_user_sgpr_dispatch_ptr 0
		.amdhsa_user_sgpr_queue_ptr 0
		.amdhsa_user_sgpr_kernarg_segment_ptr 1
		.amdhsa_user_sgpr_dispatch_id 0
		.amdhsa_user_sgpr_flat_scratch_init 0
		.amdhsa_user_sgpr_kernarg_preload_length 0
		.amdhsa_user_sgpr_kernarg_preload_offset 0
		.amdhsa_user_sgpr_private_segment_size 0
		.amdhsa_uses_dynamic_stack 0
		.amdhsa_system_sgpr_private_segment_wavefront_offset 0
		.amdhsa_system_sgpr_workgroup_id_x 1
		.amdhsa_system_sgpr_workgroup_id_y 0
		.amdhsa_system_sgpr_workgroup_id_z 0
		.amdhsa_system_sgpr_workgroup_info 0
		.amdhsa_system_vgpr_workitem_id 0
		.amdhsa_next_free_vgpr 28
		.amdhsa_next_free_sgpr 26
		.amdhsa_accum_offset 28
		.amdhsa_reserve_vcc 1
		.amdhsa_reserve_flat_scratch 0
		.amdhsa_float_round_mode_32 0
		.amdhsa_float_round_mode_16_64 0
		.amdhsa_float_denorm_mode_32 3
		.amdhsa_float_denorm_mode_16_64 3
		.amdhsa_dx10_clamp 1
		.amdhsa_ieee_mode 1
		.amdhsa_fp16_overflow 0
		.amdhsa_tg_split 0
		.amdhsa_exception_fp_ieee_invalid_op 0
		.amdhsa_exception_fp_denorm_src 0
		.amdhsa_exception_fp_ieee_div_zero 0
		.amdhsa_exception_fp_ieee_overflow 0
		.amdhsa_exception_fp_ieee_underflow 0
		.amdhsa_exception_fp_ieee_inexact 0
		.amdhsa_exception_int_div_zero 0
	.end_amdhsa_kernel
	.section	.text._ZN9rocsparseL21csrmvn_general_kernelILj256ELj2EllfdddEEvbT2_NS_24const_host_device_scalarIT6_EEPKT1_S7_PKS1_PKT3_PKT4_S4_PT5_21rocsparse_index_base_b,"axG",@progbits,_ZN9rocsparseL21csrmvn_general_kernelILj256ELj2EllfdddEEvbT2_NS_24const_host_device_scalarIT6_EEPKT1_S7_PKS1_PKT3_PKT4_S4_PT5_21rocsparse_index_base_b,comdat
.Lfunc_end319:
	.size	_ZN9rocsparseL21csrmvn_general_kernelILj256ELj2EllfdddEEvbT2_NS_24const_host_device_scalarIT6_EEPKT1_S7_PKS1_PKT3_PKT4_S4_PT5_21rocsparse_index_base_b, .Lfunc_end319-_ZN9rocsparseL21csrmvn_general_kernelILj256ELj2EllfdddEEvbT2_NS_24const_host_device_scalarIT6_EEPKT1_S7_PKS1_PKT3_PKT4_S4_PT5_21rocsparse_index_base_b
                                        ; -- End function
	.section	.AMDGPU.csdata,"",@progbits
; Kernel info:
; codeLenInByte = 760
; NumSgprs: 30
; NumVgprs: 28
; NumAgprs: 0
; TotalNumVgprs: 28
; ScratchSize: 0
; MemoryBound: 1
; FloatMode: 240
; IeeeMode: 1
; LDSByteSize: 0 bytes/workgroup (compile time only)
; SGPRBlocks: 3
; VGPRBlocks: 3
; NumSGPRsForWavesPerEU: 30
; NumVGPRsForWavesPerEU: 28
; AccumOffset: 28
; Occupancy: 8
; WaveLimiterHint : 1
; COMPUTE_PGM_RSRC2:SCRATCH_EN: 0
; COMPUTE_PGM_RSRC2:USER_SGPR: 6
; COMPUTE_PGM_RSRC2:TRAP_HANDLER: 0
; COMPUTE_PGM_RSRC2:TGID_X_EN: 1
; COMPUTE_PGM_RSRC2:TGID_Y_EN: 0
; COMPUTE_PGM_RSRC2:TGID_Z_EN: 0
; COMPUTE_PGM_RSRC2:TIDIG_COMP_CNT: 0
; COMPUTE_PGM_RSRC3_GFX90A:ACCUM_OFFSET: 6
; COMPUTE_PGM_RSRC3_GFX90A:TG_SPLIT: 0
	.section	.text._ZN9rocsparseL21csrmvn_general_kernelILj256ELj4EllfdddEEvbT2_NS_24const_host_device_scalarIT6_EEPKT1_S7_PKS1_PKT3_PKT4_S4_PT5_21rocsparse_index_base_b,"axG",@progbits,_ZN9rocsparseL21csrmvn_general_kernelILj256ELj4EllfdddEEvbT2_NS_24const_host_device_scalarIT6_EEPKT1_S7_PKS1_PKT3_PKT4_S4_PT5_21rocsparse_index_base_b,comdat
	.globl	_ZN9rocsparseL21csrmvn_general_kernelILj256ELj4EllfdddEEvbT2_NS_24const_host_device_scalarIT6_EEPKT1_S7_PKS1_PKT3_PKT4_S4_PT5_21rocsparse_index_base_b ; -- Begin function _ZN9rocsparseL21csrmvn_general_kernelILj256ELj4EllfdddEEvbT2_NS_24const_host_device_scalarIT6_EEPKT1_S7_PKS1_PKT3_PKT4_S4_PT5_21rocsparse_index_base_b
	.p2align	8
	.type	_ZN9rocsparseL21csrmvn_general_kernelILj256ELj4EllfdddEEvbT2_NS_24const_host_device_scalarIT6_EEPKT1_S7_PKS1_PKT3_PKT4_S4_PT5_21rocsparse_index_base_b,@function
_ZN9rocsparseL21csrmvn_general_kernelILj256ELj4EllfdddEEvbT2_NS_24const_host_device_scalarIT6_EEPKT1_S7_PKS1_PKT3_PKT4_S4_PT5_21rocsparse_index_base_b: ; @_ZN9rocsparseL21csrmvn_general_kernelILj256ELj4EllfdddEEvbT2_NS_24const_host_device_scalarIT6_EEPKT1_S7_PKS1_PKT3_PKT4_S4_PT5_21rocsparse_index_base_b
; %bb.0:
	s_load_dwordx2 s[20:21], s[4:5], 0x50
	s_load_dwordx2 s[0:1], s[4:5], 0x40
	s_load_dwordx8 s[8:15], s[4:5], 0x8
	s_waitcnt lgkmcnt(0)
	s_bitcmp1_b32 s21, 0
	s_cselect_b64 s[16:17], -1, 0
	s_xor_b64 s[2:3], s[16:17], -1
	s_and_b64 vcc, exec, s[16:17]
	v_pk_mov_b32 v[2:3], s[10:11], s[10:11] op_sel:[0,1]
	s_cbranch_vccnz .LBB320_2
; %bb.1:
	v_pk_mov_b32 v[2:3], s[10:11], s[10:11] op_sel:[0,1]
	flat_load_dwordx2 v[2:3], v[2:3]
.LBB320_2:
	s_andn2_b64 vcc, exec, s[2:3]
	v_pk_mov_b32 v[4:5], s[0:1], s[0:1] op_sel:[0,1]
	s_cbranch_vccnz .LBB320_4
; %bb.3:
	v_pk_mov_b32 v[4:5], s[0:1], s[0:1] op_sel:[0,1]
	flat_load_dwordx2 v[4:5], v[4:5]
.LBB320_4:
	s_waitcnt vmcnt(0) lgkmcnt(0)
	v_cmp_neq_f64_e32 vcc, 0, v[2:3]
	v_cmp_neq_f64_e64 s[0:1], 1.0, v[4:5]
	s_or_b64 s[0:1], vcc, s[0:1]
	s_and_saveexec_b64 s[2:3], s[0:1]
	s_cbranch_execz .LBB320_16
; %bb.5:
	v_lshl_or_b32 v1, s6, 8, v0
	v_lshrrev_b32_e32 v6, 2, v1
	v_mov_b32_e32 v7, 0
	v_cmp_gt_i64_e32 vcc, s[8:9], v[6:7]
	s_and_b64 exec, exec, vcc
	s_cbranch_execz .LBB320_16
; %bb.6:
	s_load_dword s2, s[4:5], 0x58
	s_load_dwordx2 s[6:7], s[4:5], 0x48
	s_load_dwordx4 s[16:19], s[4:5], 0x28
	s_load_dwordx2 s[0:1], s[4:5], 0x38
	v_and_b32_e32 v0, 3, v0
	v_subrev_co_u32_e32 v18, vcc, s20, v0
	s_waitcnt lgkmcnt(0)
	s_lshl_b32 s24, s2, 6
	v_subb_co_u32_e64 v19, s[2:3], 0, 0, vcc
	s_ashr_i32 s3, s20, 31
	s_mov_b32 s2, s20
	s_lshl_b64 s[2:3], s[2:3], 3
	s_sub_u32 s25, s0, s2
	s_mov_b32 s21, 0
	s_subb_u32 s2, s1, s3
	v_cmp_eq_u32_e32 vcc, 3, v0
	s_mov_b64 s[4:5], 0
	v_cmp_neq_f64_e64 s[0:1], 0, v[4:5]
	v_mov_b32_e32 v20, s13
	v_mov_b32_e32 v21, s15
	;; [unrolled: 1-line block ×4, first 2 shown]
	s_mov_b32 s10, s21
	s_branch .LBB320_9
.LBB320_7:                              ;   in Loop: Header=BB320_9 Depth=1
	s_or_b64 exec, exec, s[2:3]
	global_store_dwordx2 v[0:1], v[8:9], off
.LBB320_8:                              ;   in Loop: Header=BB320_9 Depth=1
	s_or_b64 exec, exec, s[10:11]
	v_mov_b32_e32 v0, s21
	v_add_co_u32_e64 v6, s[2:3], s24, v6
	v_addc_co_u32_e64 v7, s[2:3], v7, v0, s[2:3]
	v_cmp_le_i64_e64 s[2:3], s[8:9], v[6:7]
	s_or_b64 s[4:5], s[2:3], s[4:5]
	s_andn2_b64 exec, exec, s[4:5]
	s_cbranch_execz .LBB320_16
.LBB320_9:                              ; =>This Loop Header: Depth=1
                                        ;     Child Loop BB320_11 Depth 2
	v_lshlrev_b64 v[0:1], 3, v[6:7]
	v_add_co_u32_e64 v8, s[2:3], s14, v0
	v_addc_co_u32_e64 v9, s[2:3], v21, v1, s[2:3]
	global_load_dwordx2 v[8:9], v[8:9], off
	v_add_co_u32_e64 v10, s[2:3], s12, v0
	v_addc_co_u32_e64 v11, s[2:3], v20, v1, s[2:3]
	global_load_dwordx2 v[10:11], v[10:11], off
	v_pk_mov_b32 v[12:13], 0, 0
	s_waitcnt vmcnt(1)
	v_subrev_co_u32_e64 v8, s[2:3], s20, v8
	v_subb_co_u32_e64 v9, s[2:3], v9, v22, s[2:3]
	s_waitcnt vmcnt(0)
	v_add_co_u32_e64 v10, s[2:3], v10, v18
	v_addc_co_u32_e64 v11, s[2:3], v11, v19, s[2:3]
	v_cmp_lt_i64_e64 s[2:3], v[10:11], v[8:9]
	s_and_saveexec_b64 s[10:11], s[2:3]
	s_cbranch_execz .LBB320_13
; %bb.10:                               ;   in Loop: Header=BB320_9 Depth=1
	v_lshlrev_b64 v[12:13], 2, v[10:11]
	v_mov_b32_e32 v15, s19
	v_add_co_u32_e64 v14, s[2:3], s18, v12
	v_addc_co_u32_e64 v15, s[2:3], v15, v13, s[2:3]
	v_lshlrev_b64 v[12:13], 3, v[10:11]
	v_mov_b32_e32 v17, s17
	v_add_co_u32_e64 v16, s[2:3], s16, v12
	v_addc_co_u32_e64 v17, s[2:3], v17, v13, s[2:3]
	s_mov_b64 s[22:23], 0
	v_pk_mov_b32 v[12:13], 0, 0
.LBB320_11:                             ;   Parent Loop BB320_9 Depth=1
                                        ; =>  This Inner Loop Header: Depth=2
	global_load_dwordx2 v[24:25], v[16:17], off
	global_load_dword v26, v[14:15], off
	s_waitcnt vmcnt(1)
	v_lshlrev_b64 v[24:25], 3, v[24:25]
	v_add_co_u32_e64 v24, s[2:3], s25, v24
	v_addc_co_u32_e64 v25, s[2:3], v23, v25, s[2:3]
	global_load_dwordx2 v[24:25], v[24:25], off
	v_add_co_u32_e64 v10, s[2:3], 4, v10
	v_addc_co_u32_e64 v11, s[2:3], 0, v11, s[2:3]
	v_add_co_u32_e64 v14, s[2:3], 16, v14
	v_addc_co_u32_e64 v15, s[2:3], 0, v15, s[2:3]
	;; [unrolled: 2-line block ×3, first 2 shown]
	s_waitcnt vmcnt(1)
	v_cvt_f64_f32_e32 v[26:27], v26
	v_cmp_ge_i64_e64 s[2:3], v[10:11], v[8:9]
	v_mul_f64 v[26:27], v[2:3], v[26:27]
	s_or_b64 s[22:23], s[2:3], s[22:23]
	s_waitcnt vmcnt(0)
	v_fmac_f64_e32 v[12:13], v[26:27], v[24:25]
	s_andn2_b64 exec, exec, s[22:23]
	s_cbranch_execnz .LBB320_11
; %bb.12:                               ;   in Loop: Header=BB320_9 Depth=1
	s_or_b64 exec, exec, s[22:23]
.LBB320_13:                             ;   in Loop: Header=BB320_9 Depth=1
	s_or_b64 exec, exec, s[10:11]
	v_mov_b32_dpp v8, v12 row_shr:1 row_mask:0xf bank_mask:0xf
	v_mov_b32_dpp v9, v13 row_shr:1 row_mask:0xf bank_mask:0xf
	v_add_f64 v[8:9], v[12:13], v[8:9]
	s_nop 1
	v_mov_b32_dpp v10, v8 row_shr:2 row_mask:0xf bank_mask:0xf
	v_mov_b32_dpp v11, v9 row_shr:2 row_mask:0xf bank_mask:0xf
	s_and_saveexec_b64 s[10:11], vcc
	s_cbranch_execz .LBB320_8
; %bb.14:                               ;   in Loop: Header=BB320_9 Depth=1
	v_add_f64 v[8:9], v[8:9], v[10:11]
	v_mov_b32_e32 v10, s7
	v_add_co_u32_e64 v0, s[2:3], s6, v0
	v_addc_co_u32_e64 v1, s[2:3], v10, v1, s[2:3]
	s_and_saveexec_b64 s[2:3], s[0:1]
	s_cbranch_execz .LBB320_7
; %bb.15:                               ;   in Loop: Header=BB320_9 Depth=1
	global_load_dwordx2 v[10:11], v[0:1], off
	s_waitcnt vmcnt(0)
	v_fmac_f64_e32 v[8:9], v[4:5], v[10:11]
	s_branch .LBB320_7
.LBB320_16:
	s_endpgm
	.section	.rodata,"a",@progbits
	.p2align	6, 0x0
	.amdhsa_kernel _ZN9rocsparseL21csrmvn_general_kernelILj256ELj4EllfdddEEvbT2_NS_24const_host_device_scalarIT6_EEPKT1_S7_PKS1_PKT3_PKT4_S4_PT5_21rocsparse_index_base_b
		.amdhsa_group_segment_fixed_size 0
		.amdhsa_private_segment_fixed_size 0
		.amdhsa_kernarg_size 344
		.amdhsa_user_sgpr_count 6
		.amdhsa_user_sgpr_private_segment_buffer 1
		.amdhsa_user_sgpr_dispatch_ptr 0
		.amdhsa_user_sgpr_queue_ptr 0
		.amdhsa_user_sgpr_kernarg_segment_ptr 1
		.amdhsa_user_sgpr_dispatch_id 0
		.amdhsa_user_sgpr_flat_scratch_init 0
		.amdhsa_user_sgpr_kernarg_preload_length 0
		.amdhsa_user_sgpr_kernarg_preload_offset 0
		.amdhsa_user_sgpr_private_segment_size 0
		.amdhsa_uses_dynamic_stack 0
		.amdhsa_system_sgpr_private_segment_wavefront_offset 0
		.amdhsa_system_sgpr_workgroup_id_x 1
		.amdhsa_system_sgpr_workgroup_id_y 0
		.amdhsa_system_sgpr_workgroup_id_z 0
		.amdhsa_system_sgpr_workgroup_info 0
		.amdhsa_system_vgpr_workitem_id 0
		.amdhsa_next_free_vgpr 28
		.amdhsa_next_free_sgpr 26
		.amdhsa_accum_offset 28
		.amdhsa_reserve_vcc 1
		.amdhsa_reserve_flat_scratch 0
		.amdhsa_float_round_mode_32 0
		.amdhsa_float_round_mode_16_64 0
		.amdhsa_float_denorm_mode_32 3
		.amdhsa_float_denorm_mode_16_64 3
		.amdhsa_dx10_clamp 1
		.amdhsa_ieee_mode 1
		.amdhsa_fp16_overflow 0
		.amdhsa_tg_split 0
		.amdhsa_exception_fp_ieee_invalid_op 0
		.amdhsa_exception_fp_denorm_src 0
		.amdhsa_exception_fp_ieee_div_zero 0
		.amdhsa_exception_fp_ieee_overflow 0
		.amdhsa_exception_fp_ieee_underflow 0
		.amdhsa_exception_fp_ieee_inexact 0
		.amdhsa_exception_int_div_zero 0
	.end_amdhsa_kernel
	.section	.text._ZN9rocsparseL21csrmvn_general_kernelILj256ELj4EllfdddEEvbT2_NS_24const_host_device_scalarIT6_EEPKT1_S7_PKS1_PKT3_PKT4_S4_PT5_21rocsparse_index_base_b,"axG",@progbits,_ZN9rocsparseL21csrmvn_general_kernelILj256ELj4EllfdddEEvbT2_NS_24const_host_device_scalarIT6_EEPKT1_S7_PKS1_PKT3_PKT4_S4_PT5_21rocsparse_index_base_b,comdat
.Lfunc_end320:
	.size	_ZN9rocsparseL21csrmvn_general_kernelILj256ELj4EllfdddEEvbT2_NS_24const_host_device_scalarIT6_EEPKT1_S7_PKS1_PKT3_PKT4_S4_PT5_21rocsparse_index_base_b, .Lfunc_end320-_ZN9rocsparseL21csrmvn_general_kernelILj256ELj4EllfdddEEvbT2_NS_24const_host_device_scalarIT6_EEPKT1_S7_PKS1_PKT3_PKT4_S4_PT5_21rocsparse_index_base_b
                                        ; -- End function
	.section	.AMDGPU.csdata,"",@progbits
; Kernel info:
; codeLenInByte = 788
; NumSgprs: 30
; NumVgprs: 28
; NumAgprs: 0
; TotalNumVgprs: 28
; ScratchSize: 0
; MemoryBound: 1
; FloatMode: 240
; IeeeMode: 1
; LDSByteSize: 0 bytes/workgroup (compile time only)
; SGPRBlocks: 3
; VGPRBlocks: 3
; NumSGPRsForWavesPerEU: 30
; NumVGPRsForWavesPerEU: 28
; AccumOffset: 28
; Occupancy: 8
; WaveLimiterHint : 1
; COMPUTE_PGM_RSRC2:SCRATCH_EN: 0
; COMPUTE_PGM_RSRC2:USER_SGPR: 6
; COMPUTE_PGM_RSRC2:TRAP_HANDLER: 0
; COMPUTE_PGM_RSRC2:TGID_X_EN: 1
; COMPUTE_PGM_RSRC2:TGID_Y_EN: 0
; COMPUTE_PGM_RSRC2:TGID_Z_EN: 0
; COMPUTE_PGM_RSRC2:TIDIG_COMP_CNT: 0
; COMPUTE_PGM_RSRC3_GFX90A:ACCUM_OFFSET: 6
; COMPUTE_PGM_RSRC3_GFX90A:TG_SPLIT: 0
	.section	.text._ZN9rocsparseL21csrmvn_general_kernelILj256ELj8EllfdddEEvbT2_NS_24const_host_device_scalarIT6_EEPKT1_S7_PKS1_PKT3_PKT4_S4_PT5_21rocsparse_index_base_b,"axG",@progbits,_ZN9rocsparseL21csrmvn_general_kernelILj256ELj8EllfdddEEvbT2_NS_24const_host_device_scalarIT6_EEPKT1_S7_PKS1_PKT3_PKT4_S4_PT5_21rocsparse_index_base_b,comdat
	.globl	_ZN9rocsparseL21csrmvn_general_kernelILj256ELj8EllfdddEEvbT2_NS_24const_host_device_scalarIT6_EEPKT1_S7_PKS1_PKT3_PKT4_S4_PT5_21rocsparse_index_base_b ; -- Begin function _ZN9rocsparseL21csrmvn_general_kernelILj256ELj8EllfdddEEvbT2_NS_24const_host_device_scalarIT6_EEPKT1_S7_PKS1_PKT3_PKT4_S4_PT5_21rocsparse_index_base_b
	.p2align	8
	.type	_ZN9rocsparseL21csrmvn_general_kernelILj256ELj8EllfdddEEvbT2_NS_24const_host_device_scalarIT6_EEPKT1_S7_PKS1_PKT3_PKT4_S4_PT5_21rocsparse_index_base_b,@function
_ZN9rocsparseL21csrmvn_general_kernelILj256ELj8EllfdddEEvbT2_NS_24const_host_device_scalarIT6_EEPKT1_S7_PKS1_PKT3_PKT4_S4_PT5_21rocsparse_index_base_b: ; @_ZN9rocsparseL21csrmvn_general_kernelILj256ELj8EllfdddEEvbT2_NS_24const_host_device_scalarIT6_EEPKT1_S7_PKS1_PKT3_PKT4_S4_PT5_21rocsparse_index_base_b
; %bb.0:
	s_load_dwordx2 s[20:21], s[4:5], 0x50
	s_load_dwordx2 s[0:1], s[4:5], 0x40
	s_load_dwordx8 s[8:15], s[4:5], 0x8
	s_waitcnt lgkmcnt(0)
	s_bitcmp1_b32 s21, 0
	s_cselect_b64 s[16:17], -1, 0
	s_xor_b64 s[2:3], s[16:17], -1
	s_and_b64 vcc, exec, s[16:17]
	v_pk_mov_b32 v[2:3], s[10:11], s[10:11] op_sel:[0,1]
	s_cbranch_vccnz .LBB321_2
; %bb.1:
	v_pk_mov_b32 v[2:3], s[10:11], s[10:11] op_sel:[0,1]
	flat_load_dwordx2 v[2:3], v[2:3]
.LBB321_2:
	s_andn2_b64 vcc, exec, s[2:3]
	v_pk_mov_b32 v[4:5], s[0:1], s[0:1] op_sel:[0,1]
	s_cbranch_vccnz .LBB321_4
; %bb.3:
	v_pk_mov_b32 v[4:5], s[0:1], s[0:1] op_sel:[0,1]
	flat_load_dwordx2 v[4:5], v[4:5]
.LBB321_4:
	s_waitcnt vmcnt(0) lgkmcnt(0)
	v_cmp_neq_f64_e32 vcc, 0, v[2:3]
	v_cmp_neq_f64_e64 s[0:1], 1.0, v[4:5]
	s_or_b64 s[0:1], vcc, s[0:1]
	s_and_saveexec_b64 s[2:3], s[0:1]
	s_cbranch_execz .LBB321_16
; %bb.5:
	v_lshl_or_b32 v1, s6, 8, v0
	v_lshrrev_b32_e32 v6, 3, v1
	v_mov_b32_e32 v7, 0
	v_cmp_gt_i64_e32 vcc, s[8:9], v[6:7]
	s_and_b64 exec, exec, vcc
	s_cbranch_execz .LBB321_16
; %bb.6:
	s_load_dword s2, s[4:5], 0x58
	s_load_dwordx2 s[6:7], s[4:5], 0x48
	s_load_dwordx4 s[16:19], s[4:5], 0x28
	s_load_dwordx2 s[0:1], s[4:5], 0x38
	v_and_b32_e32 v0, 7, v0
	v_subrev_co_u32_e32 v18, vcc, s20, v0
	s_waitcnt lgkmcnt(0)
	s_lshl_b32 s24, s2, 5
	v_subb_co_u32_e64 v19, s[2:3], 0, 0, vcc
	s_ashr_i32 s3, s20, 31
	s_mov_b32 s2, s20
	s_lshl_b64 s[2:3], s[2:3], 3
	s_sub_u32 s25, s0, s2
	s_mov_b32 s21, 0
	s_subb_u32 s2, s1, s3
	v_cmp_eq_u32_e32 vcc, 7, v0
	s_mov_b64 s[4:5], 0
	v_cmp_neq_f64_e64 s[0:1], 0, v[4:5]
	v_mov_b32_e32 v20, s13
	v_mov_b32_e32 v21, s15
	;; [unrolled: 1-line block ×4, first 2 shown]
	s_mov_b32 s10, s21
	s_branch .LBB321_9
.LBB321_7:                              ;   in Loop: Header=BB321_9 Depth=1
	s_or_b64 exec, exec, s[2:3]
	global_store_dwordx2 v[0:1], v[8:9], off
.LBB321_8:                              ;   in Loop: Header=BB321_9 Depth=1
	s_or_b64 exec, exec, s[10:11]
	v_mov_b32_e32 v0, s21
	v_add_co_u32_e64 v6, s[2:3], s24, v6
	v_addc_co_u32_e64 v7, s[2:3], v7, v0, s[2:3]
	v_cmp_le_i64_e64 s[2:3], s[8:9], v[6:7]
	s_or_b64 s[4:5], s[2:3], s[4:5]
	s_andn2_b64 exec, exec, s[4:5]
	s_cbranch_execz .LBB321_16
.LBB321_9:                              ; =>This Loop Header: Depth=1
                                        ;     Child Loop BB321_11 Depth 2
	v_lshlrev_b64 v[0:1], 3, v[6:7]
	v_add_co_u32_e64 v8, s[2:3], s14, v0
	v_addc_co_u32_e64 v9, s[2:3], v21, v1, s[2:3]
	global_load_dwordx2 v[8:9], v[8:9], off
	v_add_co_u32_e64 v10, s[2:3], s12, v0
	v_addc_co_u32_e64 v11, s[2:3], v20, v1, s[2:3]
	global_load_dwordx2 v[10:11], v[10:11], off
	v_pk_mov_b32 v[12:13], 0, 0
	s_waitcnt vmcnt(1)
	v_subrev_co_u32_e64 v8, s[2:3], s20, v8
	v_subb_co_u32_e64 v9, s[2:3], v9, v22, s[2:3]
	s_waitcnt vmcnt(0)
	v_add_co_u32_e64 v10, s[2:3], v10, v18
	v_addc_co_u32_e64 v11, s[2:3], v11, v19, s[2:3]
	v_cmp_lt_i64_e64 s[2:3], v[10:11], v[8:9]
	s_and_saveexec_b64 s[10:11], s[2:3]
	s_cbranch_execz .LBB321_13
; %bb.10:                               ;   in Loop: Header=BB321_9 Depth=1
	v_lshlrev_b64 v[12:13], 2, v[10:11]
	v_mov_b32_e32 v15, s19
	v_add_co_u32_e64 v14, s[2:3], s18, v12
	v_addc_co_u32_e64 v15, s[2:3], v15, v13, s[2:3]
	v_lshlrev_b64 v[12:13], 3, v[10:11]
	v_mov_b32_e32 v17, s17
	v_add_co_u32_e64 v16, s[2:3], s16, v12
	v_addc_co_u32_e64 v17, s[2:3], v17, v13, s[2:3]
	s_mov_b64 s[22:23], 0
	v_pk_mov_b32 v[12:13], 0, 0
.LBB321_11:                             ;   Parent Loop BB321_9 Depth=1
                                        ; =>  This Inner Loop Header: Depth=2
	global_load_dwordx2 v[24:25], v[16:17], off
	global_load_dword v26, v[14:15], off
	s_waitcnt vmcnt(1)
	v_lshlrev_b64 v[24:25], 3, v[24:25]
	v_add_co_u32_e64 v24, s[2:3], s25, v24
	v_addc_co_u32_e64 v25, s[2:3], v23, v25, s[2:3]
	global_load_dwordx2 v[24:25], v[24:25], off
	v_add_co_u32_e64 v10, s[2:3], 8, v10
	v_addc_co_u32_e64 v11, s[2:3], 0, v11, s[2:3]
	v_add_co_u32_e64 v14, s[2:3], 32, v14
	v_addc_co_u32_e64 v15, s[2:3], 0, v15, s[2:3]
	;; [unrolled: 2-line block ×3, first 2 shown]
	s_waitcnt vmcnt(1)
	v_cvt_f64_f32_e32 v[26:27], v26
	v_cmp_ge_i64_e64 s[2:3], v[10:11], v[8:9]
	v_mul_f64 v[26:27], v[2:3], v[26:27]
	s_or_b64 s[22:23], s[2:3], s[22:23]
	s_waitcnt vmcnt(0)
	v_fmac_f64_e32 v[12:13], v[26:27], v[24:25]
	s_andn2_b64 exec, exec, s[22:23]
	s_cbranch_execnz .LBB321_11
; %bb.12:                               ;   in Loop: Header=BB321_9 Depth=1
	s_or_b64 exec, exec, s[22:23]
.LBB321_13:                             ;   in Loop: Header=BB321_9 Depth=1
	s_or_b64 exec, exec, s[10:11]
	v_mov_b32_dpp v8, v12 row_shr:1 row_mask:0xf bank_mask:0xf
	v_mov_b32_dpp v9, v13 row_shr:1 row_mask:0xf bank_mask:0xf
	v_add_f64 v[8:9], v[12:13], v[8:9]
	s_nop 1
	v_mov_b32_dpp v10, v8 row_shr:2 row_mask:0xf bank_mask:0xf
	v_mov_b32_dpp v11, v9 row_shr:2 row_mask:0xf bank_mask:0xf
	v_add_f64 v[8:9], v[8:9], v[10:11]
	s_nop 1
	v_mov_b32_dpp v10, v8 row_shr:4 row_mask:0xf bank_mask:0xe
	v_mov_b32_dpp v11, v9 row_shr:4 row_mask:0xf bank_mask:0xe
	s_and_saveexec_b64 s[10:11], vcc
	s_cbranch_execz .LBB321_8
; %bb.14:                               ;   in Loop: Header=BB321_9 Depth=1
	v_add_f64 v[8:9], v[8:9], v[10:11]
	v_mov_b32_e32 v10, s7
	v_add_co_u32_e64 v0, s[2:3], s6, v0
	v_addc_co_u32_e64 v1, s[2:3], v10, v1, s[2:3]
	s_and_saveexec_b64 s[2:3], s[0:1]
	s_cbranch_execz .LBB321_7
; %bb.15:                               ;   in Loop: Header=BB321_9 Depth=1
	global_load_dwordx2 v[10:11], v[0:1], off
	s_waitcnt vmcnt(0)
	v_fmac_f64_e32 v[8:9], v[4:5], v[10:11]
	s_branch .LBB321_7
.LBB321_16:
	s_endpgm
	.section	.rodata,"a",@progbits
	.p2align	6, 0x0
	.amdhsa_kernel _ZN9rocsparseL21csrmvn_general_kernelILj256ELj8EllfdddEEvbT2_NS_24const_host_device_scalarIT6_EEPKT1_S7_PKS1_PKT3_PKT4_S4_PT5_21rocsparse_index_base_b
		.amdhsa_group_segment_fixed_size 0
		.amdhsa_private_segment_fixed_size 0
		.amdhsa_kernarg_size 344
		.amdhsa_user_sgpr_count 6
		.amdhsa_user_sgpr_private_segment_buffer 1
		.amdhsa_user_sgpr_dispatch_ptr 0
		.amdhsa_user_sgpr_queue_ptr 0
		.amdhsa_user_sgpr_kernarg_segment_ptr 1
		.amdhsa_user_sgpr_dispatch_id 0
		.amdhsa_user_sgpr_flat_scratch_init 0
		.amdhsa_user_sgpr_kernarg_preload_length 0
		.amdhsa_user_sgpr_kernarg_preload_offset 0
		.amdhsa_user_sgpr_private_segment_size 0
		.amdhsa_uses_dynamic_stack 0
		.amdhsa_system_sgpr_private_segment_wavefront_offset 0
		.amdhsa_system_sgpr_workgroup_id_x 1
		.amdhsa_system_sgpr_workgroup_id_y 0
		.amdhsa_system_sgpr_workgroup_id_z 0
		.amdhsa_system_sgpr_workgroup_info 0
		.amdhsa_system_vgpr_workitem_id 0
		.amdhsa_next_free_vgpr 28
		.amdhsa_next_free_sgpr 26
		.amdhsa_accum_offset 28
		.amdhsa_reserve_vcc 1
		.amdhsa_reserve_flat_scratch 0
		.amdhsa_float_round_mode_32 0
		.amdhsa_float_round_mode_16_64 0
		.amdhsa_float_denorm_mode_32 3
		.amdhsa_float_denorm_mode_16_64 3
		.amdhsa_dx10_clamp 1
		.amdhsa_ieee_mode 1
		.amdhsa_fp16_overflow 0
		.amdhsa_tg_split 0
		.amdhsa_exception_fp_ieee_invalid_op 0
		.amdhsa_exception_fp_denorm_src 0
		.amdhsa_exception_fp_ieee_div_zero 0
		.amdhsa_exception_fp_ieee_overflow 0
		.amdhsa_exception_fp_ieee_underflow 0
		.amdhsa_exception_fp_ieee_inexact 0
		.amdhsa_exception_int_div_zero 0
	.end_amdhsa_kernel
	.section	.text._ZN9rocsparseL21csrmvn_general_kernelILj256ELj8EllfdddEEvbT2_NS_24const_host_device_scalarIT6_EEPKT1_S7_PKS1_PKT3_PKT4_S4_PT5_21rocsparse_index_base_b,"axG",@progbits,_ZN9rocsparseL21csrmvn_general_kernelILj256ELj8EllfdddEEvbT2_NS_24const_host_device_scalarIT6_EEPKT1_S7_PKS1_PKT3_PKT4_S4_PT5_21rocsparse_index_base_b,comdat
.Lfunc_end321:
	.size	_ZN9rocsparseL21csrmvn_general_kernelILj256ELj8EllfdddEEvbT2_NS_24const_host_device_scalarIT6_EEPKT1_S7_PKS1_PKT3_PKT4_S4_PT5_21rocsparse_index_base_b, .Lfunc_end321-_ZN9rocsparseL21csrmvn_general_kernelILj256ELj8EllfdddEEvbT2_NS_24const_host_device_scalarIT6_EEPKT1_S7_PKS1_PKT3_PKT4_S4_PT5_21rocsparse_index_base_b
                                        ; -- End function
	.section	.AMDGPU.csdata,"",@progbits
; Kernel info:
; codeLenInByte = 816
; NumSgprs: 30
; NumVgprs: 28
; NumAgprs: 0
; TotalNumVgprs: 28
; ScratchSize: 0
; MemoryBound: 1
; FloatMode: 240
; IeeeMode: 1
; LDSByteSize: 0 bytes/workgroup (compile time only)
; SGPRBlocks: 3
; VGPRBlocks: 3
; NumSGPRsForWavesPerEU: 30
; NumVGPRsForWavesPerEU: 28
; AccumOffset: 28
; Occupancy: 8
; WaveLimiterHint : 1
; COMPUTE_PGM_RSRC2:SCRATCH_EN: 0
; COMPUTE_PGM_RSRC2:USER_SGPR: 6
; COMPUTE_PGM_RSRC2:TRAP_HANDLER: 0
; COMPUTE_PGM_RSRC2:TGID_X_EN: 1
; COMPUTE_PGM_RSRC2:TGID_Y_EN: 0
; COMPUTE_PGM_RSRC2:TGID_Z_EN: 0
; COMPUTE_PGM_RSRC2:TIDIG_COMP_CNT: 0
; COMPUTE_PGM_RSRC3_GFX90A:ACCUM_OFFSET: 6
; COMPUTE_PGM_RSRC3_GFX90A:TG_SPLIT: 0
	.section	.text._ZN9rocsparseL21csrmvn_general_kernelILj256ELj16EllfdddEEvbT2_NS_24const_host_device_scalarIT6_EEPKT1_S7_PKS1_PKT3_PKT4_S4_PT5_21rocsparse_index_base_b,"axG",@progbits,_ZN9rocsparseL21csrmvn_general_kernelILj256ELj16EllfdddEEvbT2_NS_24const_host_device_scalarIT6_EEPKT1_S7_PKS1_PKT3_PKT4_S4_PT5_21rocsparse_index_base_b,comdat
	.globl	_ZN9rocsparseL21csrmvn_general_kernelILj256ELj16EllfdddEEvbT2_NS_24const_host_device_scalarIT6_EEPKT1_S7_PKS1_PKT3_PKT4_S4_PT5_21rocsparse_index_base_b ; -- Begin function _ZN9rocsparseL21csrmvn_general_kernelILj256ELj16EllfdddEEvbT2_NS_24const_host_device_scalarIT6_EEPKT1_S7_PKS1_PKT3_PKT4_S4_PT5_21rocsparse_index_base_b
	.p2align	8
	.type	_ZN9rocsparseL21csrmvn_general_kernelILj256ELj16EllfdddEEvbT2_NS_24const_host_device_scalarIT6_EEPKT1_S7_PKS1_PKT3_PKT4_S4_PT5_21rocsparse_index_base_b,@function
_ZN9rocsparseL21csrmvn_general_kernelILj256ELj16EllfdddEEvbT2_NS_24const_host_device_scalarIT6_EEPKT1_S7_PKS1_PKT3_PKT4_S4_PT5_21rocsparse_index_base_b: ; @_ZN9rocsparseL21csrmvn_general_kernelILj256ELj16EllfdddEEvbT2_NS_24const_host_device_scalarIT6_EEPKT1_S7_PKS1_PKT3_PKT4_S4_PT5_21rocsparse_index_base_b
; %bb.0:
	s_load_dwordx2 s[20:21], s[4:5], 0x50
	s_load_dwordx2 s[0:1], s[4:5], 0x40
	s_load_dwordx8 s[8:15], s[4:5], 0x8
	s_waitcnt lgkmcnt(0)
	s_bitcmp1_b32 s21, 0
	s_cselect_b64 s[16:17], -1, 0
	s_xor_b64 s[2:3], s[16:17], -1
	s_and_b64 vcc, exec, s[16:17]
	v_pk_mov_b32 v[2:3], s[10:11], s[10:11] op_sel:[0,1]
	s_cbranch_vccnz .LBB322_2
; %bb.1:
	v_pk_mov_b32 v[2:3], s[10:11], s[10:11] op_sel:[0,1]
	flat_load_dwordx2 v[2:3], v[2:3]
.LBB322_2:
	s_andn2_b64 vcc, exec, s[2:3]
	v_pk_mov_b32 v[4:5], s[0:1], s[0:1] op_sel:[0,1]
	s_cbranch_vccnz .LBB322_4
; %bb.3:
	v_pk_mov_b32 v[4:5], s[0:1], s[0:1] op_sel:[0,1]
	flat_load_dwordx2 v[4:5], v[4:5]
.LBB322_4:
	s_waitcnt vmcnt(0) lgkmcnt(0)
	v_cmp_neq_f64_e32 vcc, 0, v[2:3]
	v_cmp_neq_f64_e64 s[0:1], 1.0, v[4:5]
	s_or_b64 s[0:1], vcc, s[0:1]
	s_and_saveexec_b64 s[2:3], s[0:1]
	s_cbranch_execz .LBB322_16
; %bb.5:
	v_lshl_or_b32 v1, s6, 8, v0
	v_lshrrev_b32_e32 v6, 4, v1
	v_mov_b32_e32 v7, 0
	v_cmp_gt_i64_e32 vcc, s[8:9], v[6:7]
	s_and_b64 exec, exec, vcc
	s_cbranch_execz .LBB322_16
; %bb.6:
	s_load_dword s2, s[4:5], 0x58
	s_load_dwordx2 s[6:7], s[4:5], 0x48
	s_load_dwordx4 s[16:19], s[4:5], 0x28
	s_load_dwordx2 s[0:1], s[4:5], 0x38
	v_and_b32_e32 v0, 15, v0
	v_subrev_co_u32_e32 v18, vcc, s20, v0
	s_waitcnt lgkmcnt(0)
	s_lshl_b32 s24, s2, 4
	v_subb_co_u32_e64 v19, s[2:3], 0, 0, vcc
	s_ashr_i32 s3, s20, 31
	s_mov_b32 s2, s20
	s_lshl_b64 s[2:3], s[2:3], 3
	s_sub_u32 s25, s0, s2
	s_mov_b32 s21, 0
	s_subb_u32 s11, s1, s3
	v_cmp_eq_u32_e64 s[0:1], 15, v0
	s_mov_b64 s[4:5], 0
	v_cmp_neq_f64_e64 s[2:3], 0, v[4:5]
	v_mov_b32_e32 v20, s13
	v_mov_b32_e32 v21, s15
	;; [unrolled: 1-line block ×4, first 2 shown]
	s_mov_b32 s10, s21
	s_branch .LBB322_9
.LBB322_7:                              ;   in Loop: Header=BB322_9 Depth=1
	s_or_b64 exec, exec, s[22:23]
	global_store_dwordx2 v[0:1], v[8:9], off
.LBB322_8:                              ;   in Loop: Header=BB322_9 Depth=1
	s_or_b64 exec, exec, s[10:11]
	v_mov_b32_e32 v0, s21
	v_add_co_u32_e32 v6, vcc, s24, v6
	v_addc_co_u32_e32 v7, vcc, v7, v0, vcc
	v_cmp_le_i64_e32 vcc, s[8:9], v[6:7]
	s_or_b64 s[4:5], vcc, s[4:5]
	s_andn2_b64 exec, exec, s[4:5]
	s_cbranch_execz .LBB322_16
.LBB322_9:                              ; =>This Loop Header: Depth=1
                                        ;     Child Loop BB322_11 Depth 2
	v_lshlrev_b64 v[0:1], 3, v[6:7]
	v_add_co_u32_e32 v8, vcc, s14, v0
	v_addc_co_u32_e32 v9, vcc, v21, v1, vcc
	global_load_dwordx2 v[8:9], v[8:9], off
	v_add_co_u32_e32 v10, vcc, s12, v0
	v_addc_co_u32_e32 v11, vcc, v20, v1, vcc
	global_load_dwordx2 v[10:11], v[10:11], off
	v_pk_mov_b32 v[12:13], 0, 0
	s_waitcnt vmcnt(1)
	v_subrev_co_u32_e32 v8, vcc, s20, v8
	v_subb_co_u32_e32 v9, vcc, v9, v22, vcc
	s_waitcnt vmcnt(0)
	v_add_co_u32_e32 v10, vcc, v10, v18
	v_addc_co_u32_e32 v11, vcc, v11, v19, vcc
	v_cmp_lt_i64_e32 vcc, v[10:11], v[8:9]
	s_and_saveexec_b64 s[10:11], vcc
	s_cbranch_execz .LBB322_13
; %bb.10:                               ;   in Loop: Header=BB322_9 Depth=1
	v_lshlrev_b64 v[12:13], 2, v[10:11]
	v_mov_b32_e32 v15, s19
	v_add_co_u32_e32 v14, vcc, s18, v12
	v_addc_co_u32_e32 v15, vcc, v15, v13, vcc
	v_lshlrev_b64 v[12:13], 3, v[10:11]
	v_mov_b32_e32 v17, s17
	v_add_co_u32_e32 v16, vcc, s16, v12
	v_addc_co_u32_e32 v17, vcc, v17, v13, vcc
	s_mov_b64 s[22:23], 0
	v_pk_mov_b32 v[12:13], 0, 0
.LBB322_11:                             ;   Parent Loop BB322_9 Depth=1
                                        ; =>  This Inner Loop Header: Depth=2
	global_load_dwordx2 v[24:25], v[16:17], off
	global_load_dword v26, v[14:15], off
	s_waitcnt vmcnt(1)
	v_lshlrev_b64 v[24:25], 3, v[24:25]
	v_add_co_u32_e32 v24, vcc, s25, v24
	v_addc_co_u32_e32 v25, vcc, v23, v25, vcc
	global_load_dwordx2 v[24:25], v[24:25], off
	v_add_co_u32_e32 v10, vcc, 16, v10
	v_addc_co_u32_e32 v11, vcc, 0, v11, vcc
	v_add_co_u32_e32 v14, vcc, 64, v14
	v_addc_co_u32_e32 v15, vcc, 0, v15, vcc
	v_add_co_u32_e32 v16, vcc, 0x80, v16
	v_addc_co_u32_e32 v17, vcc, 0, v17, vcc
	s_waitcnt vmcnt(1)
	v_cvt_f64_f32_e32 v[26:27], v26
	v_cmp_ge_i64_e32 vcc, v[10:11], v[8:9]
	v_mul_f64 v[26:27], v[2:3], v[26:27]
	s_or_b64 s[22:23], vcc, s[22:23]
	s_waitcnt vmcnt(0)
	v_fmac_f64_e32 v[12:13], v[26:27], v[24:25]
	s_andn2_b64 exec, exec, s[22:23]
	s_cbranch_execnz .LBB322_11
; %bb.12:                               ;   in Loop: Header=BB322_9 Depth=1
	s_or_b64 exec, exec, s[22:23]
.LBB322_13:                             ;   in Loop: Header=BB322_9 Depth=1
	s_or_b64 exec, exec, s[10:11]
	v_mov_b32_dpp v8, v12 row_shr:1 row_mask:0xf bank_mask:0xf
	v_mov_b32_dpp v9, v13 row_shr:1 row_mask:0xf bank_mask:0xf
	v_add_f64 v[8:9], v[12:13], v[8:9]
	s_nop 1
	v_mov_b32_dpp v10, v8 row_shr:2 row_mask:0xf bank_mask:0xf
	v_mov_b32_dpp v11, v9 row_shr:2 row_mask:0xf bank_mask:0xf
	v_add_f64 v[8:9], v[8:9], v[10:11]
	s_nop 1
	v_mov_b32_dpp v10, v8 row_shr:4 row_mask:0xf bank_mask:0xe
	v_mov_b32_dpp v11, v9 row_shr:4 row_mask:0xf bank_mask:0xe
	v_add_f64 v[8:9], v[8:9], v[10:11]
	s_nop 1
	v_mov_b32_dpp v10, v8 row_shr:8 row_mask:0xf bank_mask:0xc
	v_mov_b32_dpp v11, v9 row_shr:8 row_mask:0xf bank_mask:0xc
	s_and_saveexec_b64 s[10:11], s[0:1]
	s_cbranch_execz .LBB322_8
; %bb.14:                               ;   in Loop: Header=BB322_9 Depth=1
	v_add_f64 v[8:9], v[8:9], v[10:11]
	v_mov_b32_e32 v10, s7
	v_add_co_u32_e32 v0, vcc, s6, v0
	v_addc_co_u32_e32 v1, vcc, v10, v1, vcc
	s_and_saveexec_b64 s[22:23], s[2:3]
	s_cbranch_execz .LBB322_7
; %bb.15:                               ;   in Loop: Header=BB322_9 Depth=1
	global_load_dwordx2 v[10:11], v[0:1], off
	s_waitcnt vmcnt(0)
	v_fmac_f64_e32 v[8:9], v[4:5], v[10:11]
	s_branch .LBB322_7
.LBB322_16:
	s_endpgm
	.section	.rodata,"a",@progbits
	.p2align	6, 0x0
	.amdhsa_kernel _ZN9rocsparseL21csrmvn_general_kernelILj256ELj16EllfdddEEvbT2_NS_24const_host_device_scalarIT6_EEPKT1_S7_PKS1_PKT3_PKT4_S4_PT5_21rocsparse_index_base_b
		.amdhsa_group_segment_fixed_size 0
		.amdhsa_private_segment_fixed_size 0
		.amdhsa_kernarg_size 344
		.amdhsa_user_sgpr_count 6
		.amdhsa_user_sgpr_private_segment_buffer 1
		.amdhsa_user_sgpr_dispatch_ptr 0
		.amdhsa_user_sgpr_queue_ptr 0
		.amdhsa_user_sgpr_kernarg_segment_ptr 1
		.amdhsa_user_sgpr_dispatch_id 0
		.amdhsa_user_sgpr_flat_scratch_init 0
		.amdhsa_user_sgpr_kernarg_preload_length 0
		.amdhsa_user_sgpr_kernarg_preload_offset 0
		.amdhsa_user_sgpr_private_segment_size 0
		.amdhsa_uses_dynamic_stack 0
		.amdhsa_system_sgpr_private_segment_wavefront_offset 0
		.amdhsa_system_sgpr_workgroup_id_x 1
		.amdhsa_system_sgpr_workgroup_id_y 0
		.amdhsa_system_sgpr_workgroup_id_z 0
		.amdhsa_system_sgpr_workgroup_info 0
		.amdhsa_system_vgpr_workitem_id 0
		.amdhsa_next_free_vgpr 28
		.amdhsa_next_free_sgpr 26
		.amdhsa_accum_offset 28
		.amdhsa_reserve_vcc 1
		.amdhsa_reserve_flat_scratch 0
		.amdhsa_float_round_mode_32 0
		.amdhsa_float_round_mode_16_64 0
		.amdhsa_float_denorm_mode_32 3
		.amdhsa_float_denorm_mode_16_64 3
		.amdhsa_dx10_clamp 1
		.amdhsa_ieee_mode 1
		.amdhsa_fp16_overflow 0
		.amdhsa_tg_split 0
		.amdhsa_exception_fp_ieee_invalid_op 0
		.amdhsa_exception_fp_denorm_src 0
		.amdhsa_exception_fp_ieee_div_zero 0
		.amdhsa_exception_fp_ieee_overflow 0
		.amdhsa_exception_fp_ieee_underflow 0
		.amdhsa_exception_fp_ieee_inexact 0
		.amdhsa_exception_int_div_zero 0
	.end_amdhsa_kernel
	.section	.text._ZN9rocsparseL21csrmvn_general_kernelILj256ELj16EllfdddEEvbT2_NS_24const_host_device_scalarIT6_EEPKT1_S7_PKS1_PKT3_PKT4_S4_PT5_21rocsparse_index_base_b,"axG",@progbits,_ZN9rocsparseL21csrmvn_general_kernelILj256ELj16EllfdddEEvbT2_NS_24const_host_device_scalarIT6_EEPKT1_S7_PKS1_PKT3_PKT4_S4_PT5_21rocsparse_index_base_b,comdat
.Lfunc_end322:
	.size	_ZN9rocsparseL21csrmvn_general_kernelILj256ELj16EllfdddEEvbT2_NS_24const_host_device_scalarIT6_EEPKT1_S7_PKS1_PKT3_PKT4_S4_PT5_21rocsparse_index_base_b, .Lfunc_end322-_ZN9rocsparseL21csrmvn_general_kernelILj256ELj16EllfdddEEvbT2_NS_24const_host_device_scalarIT6_EEPKT1_S7_PKS1_PKT3_PKT4_S4_PT5_21rocsparse_index_base_b
                                        ; -- End function
	.section	.AMDGPU.csdata,"",@progbits
; Kernel info:
; codeLenInByte = 744
; NumSgprs: 30
; NumVgprs: 28
; NumAgprs: 0
; TotalNumVgprs: 28
; ScratchSize: 0
; MemoryBound: 1
; FloatMode: 240
; IeeeMode: 1
; LDSByteSize: 0 bytes/workgroup (compile time only)
; SGPRBlocks: 3
; VGPRBlocks: 3
; NumSGPRsForWavesPerEU: 30
; NumVGPRsForWavesPerEU: 28
; AccumOffset: 28
; Occupancy: 8
; WaveLimiterHint : 1
; COMPUTE_PGM_RSRC2:SCRATCH_EN: 0
; COMPUTE_PGM_RSRC2:USER_SGPR: 6
; COMPUTE_PGM_RSRC2:TRAP_HANDLER: 0
; COMPUTE_PGM_RSRC2:TGID_X_EN: 1
; COMPUTE_PGM_RSRC2:TGID_Y_EN: 0
; COMPUTE_PGM_RSRC2:TGID_Z_EN: 0
; COMPUTE_PGM_RSRC2:TIDIG_COMP_CNT: 0
; COMPUTE_PGM_RSRC3_GFX90A:ACCUM_OFFSET: 6
; COMPUTE_PGM_RSRC3_GFX90A:TG_SPLIT: 0
	.section	.text._ZN9rocsparseL21csrmvn_general_kernelILj256ELj32EllfdddEEvbT2_NS_24const_host_device_scalarIT6_EEPKT1_S7_PKS1_PKT3_PKT4_S4_PT5_21rocsparse_index_base_b,"axG",@progbits,_ZN9rocsparseL21csrmvn_general_kernelILj256ELj32EllfdddEEvbT2_NS_24const_host_device_scalarIT6_EEPKT1_S7_PKS1_PKT3_PKT4_S4_PT5_21rocsparse_index_base_b,comdat
	.globl	_ZN9rocsparseL21csrmvn_general_kernelILj256ELj32EllfdddEEvbT2_NS_24const_host_device_scalarIT6_EEPKT1_S7_PKS1_PKT3_PKT4_S4_PT5_21rocsparse_index_base_b ; -- Begin function _ZN9rocsparseL21csrmvn_general_kernelILj256ELj32EllfdddEEvbT2_NS_24const_host_device_scalarIT6_EEPKT1_S7_PKS1_PKT3_PKT4_S4_PT5_21rocsparse_index_base_b
	.p2align	8
	.type	_ZN9rocsparseL21csrmvn_general_kernelILj256ELj32EllfdddEEvbT2_NS_24const_host_device_scalarIT6_EEPKT1_S7_PKS1_PKT3_PKT4_S4_PT5_21rocsparse_index_base_b,@function
_ZN9rocsparseL21csrmvn_general_kernelILj256ELj32EllfdddEEvbT2_NS_24const_host_device_scalarIT6_EEPKT1_S7_PKS1_PKT3_PKT4_S4_PT5_21rocsparse_index_base_b: ; @_ZN9rocsparseL21csrmvn_general_kernelILj256ELj32EllfdddEEvbT2_NS_24const_host_device_scalarIT6_EEPKT1_S7_PKS1_PKT3_PKT4_S4_PT5_21rocsparse_index_base_b
; %bb.0:
	s_load_dwordx2 s[20:21], s[4:5], 0x50
	s_load_dwordx2 s[0:1], s[4:5], 0x40
	s_load_dwordx8 s[8:15], s[4:5], 0x8
	s_waitcnt lgkmcnt(0)
	s_bitcmp1_b32 s21, 0
	s_cselect_b64 s[16:17], -1, 0
	s_xor_b64 s[2:3], s[16:17], -1
	s_and_b64 vcc, exec, s[16:17]
	v_pk_mov_b32 v[2:3], s[10:11], s[10:11] op_sel:[0,1]
	s_cbranch_vccnz .LBB323_2
; %bb.1:
	v_pk_mov_b32 v[2:3], s[10:11], s[10:11] op_sel:[0,1]
	flat_load_dwordx2 v[2:3], v[2:3]
.LBB323_2:
	s_andn2_b64 vcc, exec, s[2:3]
	v_pk_mov_b32 v[4:5], s[0:1], s[0:1] op_sel:[0,1]
	s_cbranch_vccnz .LBB323_4
; %bb.3:
	v_pk_mov_b32 v[4:5], s[0:1], s[0:1] op_sel:[0,1]
	flat_load_dwordx2 v[4:5], v[4:5]
.LBB323_4:
	s_waitcnt vmcnt(0) lgkmcnt(0)
	v_cmp_neq_f64_e32 vcc, 0, v[2:3]
	v_cmp_neq_f64_e64 s[0:1], 1.0, v[4:5]
	s_or_b64 s[0:1], vcc, s[0:1]
	s_and_saveexec_b64 s[2:3], s[0:1]
	s_cbranch_execz .LBB323_16
; %bb.5:
	v_lshl_or_b32 v1, s6, 8, v0
	v_lshrrev_b32_e32 v6, 5, v1
	v_mov_b32_e32 v7, 0
	v_cmp_gt_i64_e32 vcc, s[8:9], v[6:7]
	s_and_b64 exec, exec, vcc
	s_cbranch_execz .LBB323_16
; %bb.6:
	s_load_dword s2, s[4:5], 0x58
	s_load_dwordx2 s[6:7], s[4:5], 0x48
	s_load_dwordx4 s[16:19], s[4:5], 0x28
	s_load_dwordx2 s[0:1], s[4:5], 0x38
	v_and_b32_e32 v0, 31, v0
	v_subrev_co_u32_e32 v18, vcc, s20, v0
	s_waitcnt lgkmcnt(0)
	s_lshl_b32 s26, s2, 3
	v_subb_co_u32_e64 v19, s[2:3], 0, 0, vcc
	s_ashr_i32 s3, s20, 31
	s_mov_b32 s2, s20
	s_lshl_b64 s[2:3], s[2:3], 3
	s_sub_u32 s27, s0, s2
	s_mov_b32 s21, 0
	s_subb_u32 s5, s1, s3
	v_cmp_eq_u32_e64 s[0:1], 31, v0
	s_mov_b64 s[10:11], 0
	v_cmp_neq_f64_e64 s[2:3], 0, v[4:5]
	v_mov_b32_e32 v20, s13
	v_mov_b32_e32 v21, s15
	;; [unrolled: 1-line block ×4, first 2 shown]
	s_branch .LBB323_9
.LBB323_7:                              ;   in Loop: Header=BB323_9 Depth=1
	s_or_b64 exec, exec, s[22:23]
	global_store_dwordx2 v[0:1], v[8:9], off
.LBB323_8:                              ;   in Loop: Header=BB323_9 Depth=1
	s_or_b64 exec, exec, s[4:5]
	v_mov_b32_e32 v0, s21
	v_add_co_u32_e32 v6, vcc, s26, v6
	v_addc_co_u32_e32 v7, vcc, v7, v0, vcc
	v_cmp_le_i64_e32 vcc, s[8:9], v[6:7]
	s_or_b64 s[10:11], vcc, s[10:11]
	s_andn2_b64 exec, exec, s[10:11]
	s_cbranch_execz .LBB323_16
.LBB323_9:                              ; =>This Loop Header: Depth=1
                                        ;     Child Loop BB323_11 Depth 2
	v_lshlrev_b64 v[0:1], 3, v[6:7]
	v_add_co_u32_e32 v8, vcc, s14, v0
	v_addc_co_u32_e32 v9, vcc, v21, v1, vcc
	global_load_dwordx2 v[8:9], v[8:9], off
	v_add_co_u32_e32 v10, vcc, s12, v0
	v_addc_co_u32_e32 v11, vcc, v20, v1, vcc
	global_load_dwordx2 v[10:11], v[10:11], off
	v_pk_mov_b32 v[12:13], 0, 0
	s_waitcnt vmcnt(1)
	v_subrev_co_u32_e32 v8, vcc, s20, v8
	v_subb_co_u32_e32 v9, vcc, v9, v22, vcc
	s_waitcnt vmcnt(0)
	v_add_co_u32_e32 v10, vcc, v10, v18
	v_addc_co_u32_e32 v11, vcc, v11, v19, vcc
	v_cmp_lt_i64_e32 vcc, v[10:11], v[8:9]
	s_and_saveexec_b64 s[22:23], vcc
	s_cbranch_execz .LBB323_13
; %bb.10:                               ;   in Loop: Header=BB323_9 Depth=1
	v_lshlrev_b64 v[12:13], 2, v[10:11]
	v_mov_b32_e32 v15, s19
	v_add_co_u32_e32 v14, vcc, s18, v12
	v_addc_co_u32_e32 v15, vcc, v15, v13, vcc
	v_lshlrev_b64 v[12:13], 3, v[10:11]
	v_mov_b32_e32 v17, s17
	v_add_co_u32_e32 v16, vcc, s16, v12
	v_addc_co_u32_e32 v17, vcc, v17, v13, vcc
	s_mov_b64 s[24:25], 0
	v_pk_mov_b32 v[12:13], 0, 0
.LBB323_11:                             ;   Parent Loop BB323_9 Depth=1
                                        ; =>  This Inner Loop Header: Depth=2
	global_load_dwordx2 v[24:25], v[16:17], off
	global_load_dword v26, v[14:15], off
	s_waitcnt vmcnt(1)
	v_lshlrev_b64 v[24:25], 3, v[24:25]
	v_add_co_u32_e32 v24, vcc, s27, v24
	v_addc_co_u32_e32 v25, vcc, v23, v25, vcc
	global_load_dwordx2 v[24:25], v[24:25], off
	v_add_co_u32_e32 v10, vcc, 32, v10
	v_addc_co_u32_e32 v11, vcc, 0, v11, vcc
	v_add_co_u32_e32 v14, vcc, 0x80, v14
	v_addc_co_u32_e32 v15, vcc, 0, v15, vcc
	s_waitcnt vmcnt(1)
	v_cvt_f64_f32_e32 v[26:27], v26
	v_add_co_u32_e32 v16, vcc, 0x100, v16
	v_cmp_ge_i64_e64 s[4:5], v[10:11], v[8:9]
	v_mul_f64 v[26:27], v[2:3], v[26:27]
	v_addc_co_u32_e32 v17, vcc, 0, v17, vcc
	s_or_b64 s[24:25], s[4:5], s[24:25]
	s_waitcnt vmcnt(0)
	v_fmac_f64_e32 v[12:13], v[26:27], v[24:25]
	s_andn2_b64 exec, exec, s[24:25]
	s_cbranch_execnz .LBB323_11
; %bb.12:                               ;   in Loop: Header=BB323_9 Depth=1
	s_or_b64 exec, exec, s[24:25]
.LBB323_13:                             ;   in Loop: Header=BB323_9 Depth=1
	s_or_b64 exec, exec, s[22:23]
	v_mov_b32_dpp v8, v12 row_shr:1 row_mask:0xf bank_mask:0xf
	v_mov_b32_dpp v9, v13 row_shr:1 row_mask:0xf bank_mask:0xf
	v_add_f64 v[8:9], v[12:13], v[8:9]
	s_nop 1
	v_mov_b32_dpp v10, v8 row_shr:2 row_mask:0xf bank_mask:0xf
	v_mov_b32_dpp v11, v9 row_shr:2 row_mask:0xf bank_mask:0xf
	v_add_f64 v[8:9], v[8:9], v[10:11]
	s_nop 1
	;; [unrolled: 4-line block ×4, first 2 shown]
	v_mov_b32_dpp v10, v8 row_bcast:15 row_mask:0xa bank_mask:0xf
	v_mov_b32_dpp v11, v9 row_bcast:15 row_mask:0xa bank_mask:0xf
	s_and_saveexec_b64 s[4:5], s[0:1]
	s_cbranch_execz .LBB323_8
; %bb.14:                               ;   in Loop: Header=BB323_9 Depth=1
	v_add_f64 v[8:9], v[8:9], v[10:11]
	v_mov_b32_e32 v10, s7
	v_add_co_u32_e32 v0, vcc, s6, v0
	v_addc_co_u32_e32 v1, vcc, v10, v1, vcc
	s_and_saveexec_b64 s[22:23], s[2:3]
	s_cbranch_execz .LBB323_7
; %bb.15:                               ;   in Loop: Header=BB323_9 Depth=1
	global_load_dwordx2 v[10:11], v[0:1], off
	s_waitcnt vmcnt(0)
	v_fmac_f64_e32 v[8:9], v[4:5], v[10:11]
	s_branch .LBB323_7
.LBB323_16:
	s_endpgm
	.section	.rodata,"a",@progbits
	.p2align	6, 0x0
	.amdhsa_kernel _ZN9rocsparseL21csrmvn_general_kernelILj256ELj32EllfdddEEvbT2_NS_24const_host_device_scalarIT6_EEPKT1_S7_PKS1_PKT3_PKT4_S4_PT5_21rocsparse_index_base_b
		.amdhsa_group_segment_fixed_size 0
		.amdhsa_private_segment_fixed_size 0
		.amdhsa_kernarg_size 344
		.amdhsa_user_sgpr_count 6
		.amdhsa_user_sgpr_private_segment_buffer 1
		.amdhsa_user_sgpr_dispatch_ptr 0
		.amdhsa_user_sgpr_queue_ptr 0
		.amdhsa_user_sgpr_kernarg_segment_ptr 1
		.amdhsa_user_sgpr_dispatch_id 0
		.amdhsa_user_sgpr_flat_scratch_init 0
		.amdhsa_user_sgpr_kernarg_preload_length 0
		.amdhsa_user_sgpr_kernarg_preload_offset 0
		.amdhsa_user_sgpr_private_segment_size 0
		.amdhsa_uses_dynamic_stack 0
		.amdhsa_system_sgpr_private_segment_wavefront_offset 0
		.amdhsa_system_sgpr_workgroup_id_x 1
		.amdhsa_system_sgpr_workgroup_id_y 0
		.amdhsa_system_sgpr_workgroup_id_z 0
		.amdhsa_system_sgpr_workgroup_info 0
		.amdhsa_system_vgpr_workitem_id 0
		.amdhsa_next_free_vgpr 28
		.amdhsa_next_free_sgpr 28
		.amdhsa_accum_offset 28
		.amdhsa_reserve_vcc 1
		.amdhsa_reserve_flat_scratch 0
		.amdhsa_float_round_mode_32 0
		.amdhsa_float_round_mode_16_64 0
		.amdhsa_float_denorm_mode_32 3
		.amdhsa_float_denorm_mode_16_64 3
		.amdhsa_dx10_clamp 1
		.amdhsa_ieee_mode 1
		.amdhsa_fp16_overflow 0
		.amdhsa_tg_split 0
		.amdhsa_exception_fp_ieee_invalid_op 0
		.amdhsa_exception_fp_denorm_src 0
		.amdhsa_exception_fp_ieee_div_zero 0
		.amdhsa_exception_fp_ieee_overflow 0
		.amdhsa_exception_fp_ieee_underflow 0
		.amdhsa_exception_fp_ieee_inexact 0
		.amdhsa_exception_int_div_zero 0
	.end_amdhsa_kernel
	.section	.text._ZN9rocsparseL21csrmvn_general_kernelILj256ELj32EllfdddEEvbT2_NS_24const_host_device_scalarIT6_EEPKT1_S7_PKS1_PKT3_PKT4_S4_PT5_21rocsparse_index_base_b,"axG",@progbits,_ZN9rocsparseL21csrmvn_general_kernelILj256ELj32EllfdddEEvbT2_NS_24const_host_device_scalarIT6_EEPKT1_S7_PKS1_PKT3_PKT4_S4_PT5_21rocsparse_index_base_b,comdat
.Lfunc_end323:
	.size	_ZN9rocsparseL21csrmvn_general_kernelILj256ELj32EllfdddEEvbT2_NS_24const_host_device_scalarIT6_EEPKT1_S7_PKS1_PKT3_PKT4_S4_PT5_21rocsparse_index_base_b, .Lfunc_end323-_ZN9rocsparseL21csrmvn_general_kernelILj256ELj32EllfdddEEvbT2_NS_24const_host_device_scalarIT6_EEPKT1_S7_PKS1_PKT3_PKT4_S4_PT5_21rocsparse_index_base_b
                                        ; -- End function
	.section	.AMDGPU.csdata,"",@progbits
; Kernel info:
; codeLenInByte = 776
; NumSgprs: 32
; NumVgprs: 28
; NumAgprs: 0
; TotalNumVgprs: 28
; ScratchSize: 0
; MemoryBound: 1
; FloatMode: 240
; IeeeMode: 1
; LDSByteSize: 0 bytes/workgroup (compile time only)
; SGPRBlocks: 3
; VGPRBlocks: 3
; NumSGPRsForWavesPerEU: 32
; NumVGPRsForWavesPerEU: 28
; AccumOffset: 28
; Occupancy: 8
; WaveLimiterHint : 1
; COMPUTE_PGM_RSRC2:SCRATCH_EN: 0
; COMPUTE_PGM_RSRC2:USER_SGPR: 6
; COMPUTE_PGM_RSRC2:TRAP_HANDLER: 0
; COMPUTE_PGM_RSRC2:TGID_X_EN: 1
; COMPUTE_PGM_RSRC2:TGID_Y_EN: 0
; COMPUTE_PGM_RSRC2:TGID_Z_EN: 0
; COMPUTE_PGM_RSRC2:TIDIG_COMP_CNT: 0
; COMPUTE_PGM_RSRC3_GFX90A:ACCUM_OFFSET: 6
; COMPUTE_PGM_RSRC3_GFX90A:TG_SPLIT: 0
	.section	.text._ZN9rocsparseL21csrmvn_general_kernelILj256ELj64EllfdddEEvbT2_NS_24const_host_device_scalarIT6_EEPKT1_S7_PKS1_PKT3_PKT4_S4_PT5_21rocsparse_index_base_b,"axG",@progbits,_ZN9rocsparseL21csrmvn_general_kernelILj256ELj64EllfdddEEvbT2_NS_24const_host_device_scalarIT6_EEPKT1_S7_PKS1_PKT3_PKT4_S4_PT5_21rocsparse_index_base_b,comdat
	.globl	_ZN9rocsparseL21csrmvn_general_kernelILj256ELj64EllfdddEEvbT2_NS_24const_host_device_scalarIT6_EEPKT1_S7_PKS1_PKT3_PKT4_S4_PT5_21rocsparse_index_base_b ; -- Begin function _ZN9rocsparseL21csrmvn_general_kernelILj256ELj64EllfdddEEvbT2_NS_24const_host_device_scalarIT6_EEPKT1_S7_PKS1_PKT3_PKT4_S4_PT5_21rocsparse_index_base_b
	.p2align	8
	.type	_ZN9rocsparseL21csrmvn_general_kernelILj256ELj64EllfdddEEvbT2_NS_24const_host_device_scalarIT6_EEPKT1_S7_PKS1_PKT3_PKT4_S4_PT5_21rocsparse_index_base_b,@function
_ZN9rocsparseL21csrmvn_general_kernelILj256ELj64EllfdddEEvbT2_NS_24const_host_device_scalarIT6_EEPKT1_S7_PKS1_PKT3_PKT4_S4_PT5_21rocsparse_index_base_b: ; @_ZN9rocsparseL21csrmvn_general_kernelILj256ELj64EllfdddEEvbT2_NS_24const_host_device_scalarIT6_EEPKT1_S7_PKS1_PKT3_PKT4_S4_PT5_21rocsparse_index_base_b
; %bb.0:
	s_load_dwordx2 s[20:21], s[4:5], 0x50
	s_load_dwordx2 s[0:1], s[4:5], 0x40
	s_load_dwordx8 s[8:15], s[4:5], 0x8
	s_waitcnt lgkmcnt(0)
	s_bitcmp1_b32 s21, 0
	s_cselect_b64 s[16:17], -1, 0
	s_xor_b64 s[2:3], s[16:17], -1
	s_and_b64 vcc, exec, s[16:17]
	v_pk_mov_b32 v[2:3], s[10:11], s[10:11] op_sel:[0,1]
	s_cbranch_vccnz .LBB324_2
; %bb.1:
	v_pk_mov_b32 v[2:3], s[10:11], s[10:11] op_sel:[0,1]
	flat_load_dwordx2 v[2:3], v[2:3]
.LBB324_2:
	s_andn2_b64 vcc, exec, s[2:3]
	v_pk_mov_b32 v[4:5], s[0:1], s[0:1] op_sel:[0,1]
	s_cbranch_vccnz .LBB324_4
; %bb.3:
	v_pk_mov_b32 v[4:5], s[0:1], s[0:1] op_sel:[0,1]
	flat_load_dwordx2 v[4:5], v[4:5]
.LBB324_4:
	s_waitcnt vmcnt(0) lgkmcnt(0)
	v_cmp_neq_f64_e32 vcc, 0, v[2:3]
	v_cmp_neq_f64_e64 s[0:1], 1.0, v[4:5]
	s_or_b64 s[0:1], vcc, s[0:1]
	s_and_saveexec_b64 s[2:3], s[0:1]
	s_cbranch_execz .LBB324_16
; %bb.5:
	v_lshl_or_b32 v1, s6, 8, v0
	v_lshrrev_b32_e32 v6, 6, v1
	v_mov_b32_e32 v7, 0
	v_cmp_gt_i64_e32 vcc, s[8:9], v[6:7]
	s_and_b64 exec, exec, vcc
	s_cbranch_execz .LBB324_16
; %bb.6:
	s_load_dword s2, s[4:5], 0x58
	s_load_dwordx2 s[6:7], s[4:5], 0x48
	s_load_dwordx4 s[16:19], s[4:5], 0x28
	s_load_dwordx2 s[0:1], s[4:5], 0x38
	v_and_b32_e32 v0, 63, v0
	v_subrev_co_u32_e32 v18, vcc, s20, v0
	s_waitcnt lgkmcnt(0)
	s_lshl_b32 s26, s2, 2
	v_subb_co_u32_e64 v19, s[2:3], 0, 0, vcc
	s_ashr_i32 s3, s20, 31
	s_mov_b32 s2, s20
	s_lshl_b64 s[2:3], s[2:3], 3
	s_sub_u32 s27, s0, s2
	s_mov_b32 s21, 0
	s_subb_u32 s5, s1, s3
	v_cmp_eq_u32_e64 s[0:1], 63, v0
	s_mov_b64 s[10:11], 0
	v_cmp_neq_f64_e64 s[2:3], 0, v[4:5]
	v_mov_b32_e32 v20, s13
	v_mov_b32_e32 v21, s15
	;; [unrolled: 1-line block ×4, first 2 shown]
	s_branch .LBB324_9
.LBB324_7:                              ;   in Loop: Header=BB324_9 Depth=1
	s_or_b64 exec, exec, s[22:23]
	global_store_dwordx2 v[0:1], v[8:9], off
.LBB324_8:                              ;   in Loop: Header=BB324_9 Depth=1
	s_or_b64 exec, exec, s[4:5]
	v_mov_b32_e32 v0, s21
	v_add_co_u32_e32 v6, vcc, s26, v6
	v_addc_co_u32_e32 v7, vcc, v7, v0, vcc
	v_cmp_le_i64_e32 vcc, s[8:9], v[6:7]
	s_or_b64 s[10:11], vcc, s[10:11]
	s_andn2_b64 exec, exec, s[10:11]
	s_cbranch_execz .LBB324_16
.LBB324_9:                              ; =>This Loop Header: Depth=1
                                        ;     Child Loop BB324_11 Depth 2
	v_lshlrev_b64 v[0:1], 3, v[6:7]
	v_add_co_u32_e32 v8, vcc, s14, v0
	v_addc_co_u32_e32 v9, vcc, v21, v1, vcc
	global_load_dwordx2 v[8:9], v[8:9], off
	v_add_co_u32_e32 v10, vcc, s12, v0
	v_addc_co_u32_e32 v11, vcc, v20, v1, vcc
	global_load_dwordx2 v[10:11], v[10:11], off
	v_pk_mov_b32 v[12:13], 0, 0
	s_waitcnt vmcnt(1)
	v_subrev_co_u32_e32 v8, vcc, s20, v8
	v_subb_co_u32_e32 v9, vcc, v9, v22, vcc
	s_waitcnt vmcnt(0)
	v_add_co_u32_e32 v10, vcc, v10, v18
	v_addc_co_u32_e32 v11, vcc, v11, v19, vcc
	v_cmp_lt_i64_e32 vcc, v[10:11], v[8:9]
	s_and_saveexec_b64 s[22:23], vcc
	s_cbranch_execz .LBB324_13
; %bb.10:                               ;   in Loop: Header=BB324_9 Depth=1
	v_lshlrev_b64 v[12:13], 2, v[10:11]
	v_mov_b32_e32 v15, s19
	v_add_co_u32_e32 v14, vcc, s18, v12
	v_addc_co_u32_e32 v15, vcc, v15, v13, vcc
	v_lshlrev_b64 v[12:13], 3, v[10:11]
	v_mov_b32_e32 v17, s17
	v_add_co_u32_e32 v16, vcc, s16, v12
	v_addc_co_u32_e32 v17, vcc, v17, v13, vcc
	s_mov_b64 s[24:25], 0
	v_pk_mov_b32 v[12:13], 0, 0
.LBB324_11:                             ;   Parent Loop BB324_9 Depth=1
                                        ; =>  This Inner Loop Header: Depth=2
	global_load_dwordx2 v[24:25], v[16:17], off
	global_load_dword v26, v[14:15], off
	s_waitcnt vmcnt(1)
	v_lshlrev_b64 v[24:25], 3, v[24:25]
	v_add_co_u32_e32 v24, vcc, s27, v24
	v_addc_co_u32_e32 v25, vcc, v23, v25, vcc
	global_load_dwordx2 v[24:25], v[24:25], off
	v_add_co_u32_e32 v10, vcc, 64, v10
	v_addc_co_u32_e32 v11, vcc, 0, v11, vcc
	v_add_co_u32_e32 v14, vcc, 0x100, v14
	v_addc_co_u32_e32 v15, vcc, 0, v15, vcc
	s_waitcnt vmcnt(1)
	v_cvt_f64_f32_e32 v[26:27], v26
	v_add_co_u32_e32 v16, vcc, 0x200, v16
	v_cmp_ge_i64_e64 s[4:5], v[10:11], v[8:9]
	v_mul_f64 v[26:27], v[2:3], v[26:27]
	v_addc_co_u32_e32 v17, vcc, 0, v17, vcc
	s_or_b64 s[24:25], s[4:5], s[24:25]
	s_waitcnt vmcnt(0)
	v_fmac_f64_e32 v[12:13], v[26:27], v[24:25]
	s_andn2_b64 exec, exec, s[24:25]
	s_cbranch_execnz .LBB324_11
; %bb.12:                               ;   in Loop: Header=BB324_9 Depth=1
	s_or_b64 exec, exec, s[24:25]
.LBB324_13:                             ;   in Loop: Header=BB324_9 Depth=1
	s_or_b64 exec, exec, s[22:23]
	v_mov_b32_dpp v8, v12 row_shr:1 row_mask:0xf bank_mask:0xf
	v_mov_b32_dpp v9, v13 row_shr:1 row_mask:0xf bank_mask:0xf
	v_add_f64 v[8:9], v[12:13], v[8:9]
	s_nop 1
	v_mov_b32_dpp v10, v8 row_shr:2 row_mask:0xf bank_mask:0xf
	v_mov_b32_dpp v11, v9 row_shr:2 row_mask:0xf bank_mask:0xf
	v_add_f64 v[8:9], v[8:9], v[10:11]
	s_nop 1
	;; [unrolled: 4-line block ×4, first 2 shown]
	v_mov_b32_dpp v10, v8 row_bcast:15 row_mask:0xa bank_mask:0xf
	v_mov_b32_dpp v11, v9 row_bcast:15 row_mask:0xa bank_mask:0xf
	v_add_f64 v[8:9], v[8:9], v[10:11]
	s_nop 1
	v_mov_b32_dpp v10, v8 row_bcast:31 row_mask:0xc bank_mask:0xf
	v_mov_b32_dpp v11, v9 row_bcast:31 row_mask:0xc bank_mask:0xf
	s_and_saveexec_b64 s[4:5], s[0:1]
	s_cbranch_execz .LBB324_8
; %bb.14:                               ;   in Loop: Header=BB324_9 Depth=1
	v_add_f64 v[8:9], v[8:9], v[10:11]
	v_mov_b32_e32 v10, s7
	v_add_co_u32_e32 v0, vcc, s6, v0
	v_addc_co_u32_e32 v1, vcc, v10, v1, vcc
	s_and_saveexec_b64 s[22:23], s[2:3]
	s_cbranch_execz .LBB324_7
; %bb.15:                               ;   in Loop: Header=BB324_9 Depth=1
	global_load_dwordx2 v[10:11], v[0:1], off
	s_waitcnt vmcnt(0)
	v_fmac_f64_e32 v[8:9], v[4:5], v[10:11]
	s_branch .LBB324_7
.LBB324_16:
	s_endpgm
	.section	.rodata,"a",@progbits
	.p2align	6, 0x0
	.amdhsa_kernel _ZN9rocsparseL21csrmvn_general_kernelILj256ELj64EllfdddEEvbT2_NS_24const_host_device_scalarIT6_EEPKT1_S7_PKS1_PKT3_PKT4_S4_PT5_21rocsparse_index_base_b
		.amdhsa_group_segment_fixed_size 0
		.amdhsa_private_segment_fixed_size 0
		.amdhsa_kernarg_size 344
		.amdhsa_user_sgpr_count 6
		.amdhsa_user_sgpr_private_segment_buffer 1
		.amdhsa_user_sgpr_dispatch_ptr 0
		.amdhsa_user_sgpr_queue_ptr 0
		.amdhsa_user_sgpr_kernarg_segment_ptr 1
		.amdhsa_user_sgpr_dispatch_id 0
		.amdhsa_user_sgpr_flat_scratch_init 0
		.amdhsa_user_sgpr_kernarg_preload_length 0
		.amdhsa_user_sgpr_kernarg_preload_offset 0
		.amdhsa_user_sgpr_private_segment_size 0
		.amdhsa_uses_dynamic_stack 0
		.amdhsa_system_sgpr_private_segment_wavefront_offset 0
		.amdhsa_system_sgpr_workgroup_id_x 1
		.amdhsa_system_sgpr_workgroup_id_y 0
		.amdhsa_system_sgpr_workgroup_id_z 0
		.amdhsa_system_sgpr_workgroup_info 0
		.amdhsa_system_vgpr_workitem_id 0
		.amdhsa_next_free_vgpr 28
		.amdhsa_next_free_sgpr 28
		.amdhsa_accum_offset 28
		.amdhsa_reserve_vcc 1
		.amdhsa_reserve_flat_scratch 0
		.amdhsa_float_round_mode_32 0
		.amdhsa_float_round_mode_16_64 0
		.amdhsa_float_denorm_mode_32 3
		.amdhsa_float_denorm_mode_16_64 3
		.amdhsa_dx10_clamp 1
		.amdhsa_ieee_mode 1
		.amdhsa_fp16_overflow 0
		.amdhsa_tg_split 0
		.amdhsa_exception_fp_ieee_invalid_op 0
		.amdhsa_exception_fp_denorm_src 0
		.amdhsa_exception_fp_ieee_div_zero 0
		.amdhsa_exception_fp_ieee_overflow 0
		.amdhsa_exception_fp_ieee_underflow 0
		.amdhsa_exception_fp_ieee_inexact 0
		.amdhsa_exception_int_div_zero 0
	.end_amdhsa_kernel
	.section	.text._ZN9rocsparseL21csrmvn_general_kernelILj256ELj64EllfdddEEvbT2_NS_24const_host_device_scalarIT6_EEPKT1_S7_PKS1_PKT3_PKT4_S4_PT5_21rocsparse_index_base_b,"axG",@progbits,_ZN9rocsparseL21csrmvn_general_kernelILj256ELj64EllfdddEEvbT2_NS_24const_host_device_scalarIT6_EEPKT1_S7_PKS1_PKT3_PKT4_S4_PT5_21rocsparse_index_base_b,comdat
.Lfunc_end324:
	.size	_ZN9rocsparseL21csrmvn_general_kernelILj256ELj64EllfdddEEvbT2_NS_24const_host_device_scalarIT6_EEPKT1_S7_PKS1_PKT3_PKT4_S4_PT5_21rocsparse_index_base_b, .Lfunc_end324-_ZN9rocsparseL21csrmvn_general_kernelILj256ELj64EllfdddEEvbT2_NS_24const_host_device_scalarIT6_EEPKT1_S7_PKS1_PKT3_PKT4_S4_PT5_21rocsparse_index_base_b
                                        ; -- End function
	.section	.AMDGPU.csdata,"",@progbits
; Kernel info:
; codeLenInByte = 804
; NumSgprs: 32
; NumVgprs: 28
; NumAgprs: 0
; TotalNumVgprs: 28
; ScratchSize: 0
; MemoryBound: 1
; FloatMode: 240
; IeeeMode: 1
; LDSByteSize: 0 bytes/workgroup (compile time only)
; SGPRBlocks: 3
; VGPRBlocks: 3
; NumSGPRsForWavesPerEU: 32
; NumVGPRsForWavesPerEU: 28
; AccumOffset: 28
; Occupancy: 8
; WaveLimiterHint : 1
; COMPUTE_PGM_RSRC2:SCRATCH_EN: 0
; COMPUTE_PGM_RSRC2:USER_SGPR: 6
; COMPUTE_PGM_RSRC2:TRAP_HANDLER: 0
; COMPUTE_PGM_RSRC2:TGID_X_EN: 1
; COMPUTE_PGM_RSRC2:TGID_Y_EN: 0
; COMPUTE_PGM_RSRC2:TGID_Z_EN: 0
; COMPUTE_PGM_RSRC2:TIDIG_COMP_CNT: 0
; COMPUTE_PGM_RSRC3_GFX90A:ACCUM_OFFSET: 6
; COMPUTE_PGM_RSRC3_GFX90A:TG_SPLIT: 0
	.section	.text._ZN9rocsparseL21csrmvt_general_kernelILj256ELj4EllfdddEEvbbT2_NS_24const_host_device_scalarIT6_EEPKT1_S7_PKS1_PKT3_PKT4_PT5_21rocsparse_index_base_b,"axG",@progbits,_ZN9rocsparseL21csrmvt_general_kernelILj256ELj4EllfdddEEvbbT2_NS_24const_host_device_scalarIT6_EEPKT1_S7_PKS1_PKT3_PKT4_PT5_21rocsparse_index_base_b,comdat
	.globl	_ZN9rocsparseL21csrmvt_general_kernelILj256ELj4EllfdddEEvbbT2_NS_24const_host_device_scalarIT6_EEPKT1_S7_PKS1_PKT3_PKT4_PT5_21rocsparse_index_base_b ; -- Begin function _ZN9rocsparseL21csrmvt_general_kernelILj256ELj4EllfdddEEvbbT2_NS_24const_host_device_scalarIT6_EEPKT1_S7_PKS1_PKT3_PKT4_PT5_21rocsparse_index_base_b
	.p2align	8
	.type	_ZN9rocsparseL21csrmvt_general_kernelILj256ELj4EllfdddEEvbbT2_NS_24const_host_device_scalarIT6_EEPKT1_S7_PKS1_PKT3_PKT4_PT5_21rocsparse_index_base_b,@function
_ZN9rocsparseL21csrmvt_general_kernelILj256ELj4EllfdddEEvbbT2_NS_24const_host_device_scalarIT6_EEPKT1_S7_PKS1_PKT3_PKT4_PT5_21rocsparse_index_base_b: ; @_ZN9rocsparseL21csrmvt_general_kernelILj256ELj4EllfdddEEvbbT2_NS_24const_host_device_scalarIT6_EEPKT1_S7_PKS1_PKT3_PKT4_PT5_21rocsparse_index_base_b
; %bb.0:
	s_load_dwordx2 s[2:3], s[4:5], 0x48
	s_load_dwordx8 s[8:15], s[4:5], 0x8
	s_waitcnt lgkmcnt(0)
	s_bitcmp1_b32 s3, 0
	s_cselect_b64 s[0:1], -1, 0
	s_and_b64 vcc, exec, s[0:1]
	v_pk_mov_b32 v[4:5], s[10:11], s[10:11] op_sel:[0,1]
	s_cbranch_vccnz .LBB325_2
; %bb.1:
	v_pk_mov_b32 v[2:3], s[10:11], s[10:11] op_sel:[0,1]
	flat_load_dwordx2 v[4:5], v[2:3]
.LBB325_2:
	s_waitcnt vmcnt(0) lgkmcnt(0)
	v_cmp_neq_f64_e32 vcc, 0, v[4:5]
	s_and_saveexec_b64 s[0:1], vcc
	s_cbranch_execz .LBB325_23
; %bb.3:
	s_load_dword s0, s[4:5], 0x0
	s_load_dword s1, s[4:5], 0x50
	s_load_dwordx8 s[16:23], s[4:5], 0x28
	v_and_b32_e32 v20, 3, v0
	v_lshl_or_b32 v0, s6, 8, v0
	s_waitcnt lgkmcnt(0)
	s_and_b32 s0, s0, 1
	s_lshl_b32 s3, s1, 6
	v_lshrrev_b32_e32 v6, 2, v0
	v_mov_b32_e32 v7, 0
	s_cmp_eq_u32 s0, 0
	v_cmp_gt_i64_e64 s[0:1], s[8:9], v[6:7]
	s_mov_b64 s[4:5], -1
	s_cbranch_scc0 .LBB325_13
; %bb.4:
	s_and_saveexec_b64 s[4:5], s[0:1]
	s_cbranch_execz .LBB325_12
; %bb.5:
	v_subrev_co_u32_e32 v21, vcc, s2, v20
	s_mov_b32 s10, 0
	v_subb_co_u32_e64 v22, s[6:7], 0, 0, vcc
	s_mov_b64 s[6:7], 0
	v_mov_b32_e32 v23, s13
	v_mov_b32_e32 v24, s15
	;; [unrolled: 1-line block ×3, first 2 shown]
	v_pk_mov_b32 v[8:9], v[6:7], v[6:7] op_sel:[0,1]
	s_branch .LBB325_7
.LBB325_6:                              ;   in Loop: Header=BB325_7 Depth=1
	s_or_b64 exec, exec, s[10:11]
	v_add_co_u32_e32 v8, vcc, s3, v8
	v_addc_co_u32_e32 v9, vcc, 0, v9, vcc
	v_cmp_le_i64_e32 vcc, s[8:9], v[8:9]
	s_or_b64 s[6:7], vcc, s[6:7]
	s_andn2_b64 exec, exec, s[6:7]
	s_cbranch_execz .LBB325_12
.LBB325_7:                              ; =>This Loop Header: Depth=1
                                        ;     Child Loop BB325_9 Depth 2
                                        ;       Child Loop BB325_10 Depth 3
	v_lshlrev_b64 v[0:1], 3, v[8:9]
	v_add_co_u32_e32 v2, vcc, s14, v0
	v_addc_co_u32_e32 v3, vcc, v24, v1, vcc
	global_load_dwordx2 v[2:3], v[2:3], off
	v_add_co_u32_e32 v10, vcc, s12, v0
	v_addc_co_u32_e32 v11, vcc, v23, v1, vcc
	global_load_dwordx2 v[12:13], v[10:11], off
	s_waitcnt vmcnt(1)
	v_subrev_co_u32_e32 v10, vcc, s2, v2
	v_subb_co_u32_e32 v11, vcc, v3, v25, vcc
	s_waitcnt vmcnt(0)
	v_add_co_u32_e32 v12, vcc, v12, v21
	v_addc_co_u32_e32 v13, vcc, v13, v22, vcc
	v_cmp_lt_i64_e32 vcc, v[12:13], v[10:11]
	s_and_saveexec_b64 s[10:11], vcc
	s_cbranch_execz .LBB325_6
; %bb.8:                                ;   in Loop: Header=BB325_7 Depth=1
	v_mov_b32_e32 v2, s21
	v_add_co_u32_e32 v0, vcc, s20, v0
	v_addc_co_u32_e32 v1, vcc, v2, v1, vcc
	global_load_dwordx2 v[0:1], v[0:1], off
	s_mov_b64 s[24:25], 0
	s_waitcnt vmcnt(0)
	v_mul_f64 v[14:15], v[4:5], v[0:1]
.LBB325_9:                              ;   Parent Loop BB325_7 Depth=1
                                        ; =>  This Loop Header: Depth=2
                                        ;       Child Loop BB325_10 Depth 3
	v_lshlrev_b64 v[0:1], 3, v[12:13]
	v_mov_b32_e32 v2, s17
	v_add_co_u32_e32 v0, vcc, s16, v0
	v_addc_co_u32_e32 v1, vcc, v2, v1, vcc
	global_load_dwordx2 v[0:1], v[0:1], off
	v_lshlrev_b64 v[2:3], 2, v[12:13]
	v_mov_b32_e32 v16, s19
	v_add_co_u32_e32 v2, vcc, s18, v2
	v_addc_co_u32_e32 v3, vcc, v16, v3, vcc
	v_mov_b32_e32 v17, s23
	global_load_dword v18, v[2:3], off
	s_mov_b64 s[26:27], 0
	s_waitcnt vmcnt(1)
	v_subrev_co_u32_e32 v0, vcc, s2, v0
	v_subb_co_u32_e32 v1, vcc, v1, v25, vcc
	v_lshlrev_b64 v[0:1], 3, v[0:1]
	v_add_co_u32_e32 v16, vcc, s22, v0
	v_addc_co_u32_e32 v17, vcc, v17, v1, vcc
	global_load_dwordx2 v[2:3], v[16:17], off
	s_waitcnt vmcnt(1)
	v_cvt_f64_f32_e32 v[0:1], v18
	v_mul_f64 v[18:19], v[14:15], v[0:1]
.LBB325_10:                             ;   Parent Loop BB325_7 Depth=1
                                        ;     Parent Loop BB325_9 Depth=2
                                        ; =>    This Inner Loop Header: Depth=3
	s_waitcnt vmcnt(0)
	v_add_f64 v[0:1], v[2:3], v[18:19]
	global_atomic_cmpswap_x2 v[0:1], v[16:17], v[0:3], off glc
	s_waitcnt vmcnt(0)
	v_cmp_eq_u64_e32 vcc, v[0:1], v[2:3]
	s_or_b64 s[26:27], vcc, s[26:27]
	v_pk_mov_b32 v[2:3], v[0:1], v[0:1] op_sel:[0,1]
	s_andn2_b64 exec, exec, s[26:27]
	s_cbranch_execnz .LBB325_10
; %bb.11:                               ;   in Loop: Header=BB325_9 Depth=2
	s_or_b64 exec, exec, s[26:27]
	v_add_co_u32_e32 v12, vcc, 4, v12
	v_addc_co_u32_e32 v13, vcc, 0, v13, vcc
	v_cmp_ge_i64_e32 vcc, v[12:13], v[10:11]
	s_or_b64 s[24:25], vcc, s[24:25]
	s_andn2_b64 exec, exec, s[24:25]
	s_cbranch_execnz .LBB325_9
	s_branch .LBB325_6
.LBB325_12:
	s_or_b64 exec, exec, s[4:5]
	s_mov_b64 s[4:5], 0
.LBB325_13:
	s_andn2_b64 vcc, exec, s[4:5]
	s_cbranch_vccnz .LBB325_23
; %bb.14:
	s_and_b64 exec, exec, s[0:1]
	s_cbranch_execz .LBB325_23
; %bb.15:
	v_subrev_co_u32_e32 v18, vcc, s2, v20
	s_mov_b32 s4, 0
	v_subb_co_u32_e64 v19, s[0:1], 0, 0, vcc
	s_mov_b64 s[0:1], 0
	v_mov_b32_e32 v20, s13
	v_mov_b32_e32 v21, s15
	;; [unrolled: 1-line block ×3, first 2 shown]
	s_branch .LBB325_17
.LBB325_16:                             ;   in Loop: Header=BB325_17 Depth=1
	s_or_b64 exec, exec, s[4:5]
	v_add_co_u32_e32 v6, vcc, s3, v6
	v_addc_co_u32_e32 v7, vcc, 0, v7, vcc
	v_cmp_le_i64_e32 vcc, s[8:9], v[6:7]
	s_or_b64 s[0:1], vcc, s[0:1]
	s_andn2_b64 exec, exec, s[0:1]
	s_cbranch_execz .LBB325_23
.LBB325_17:                             ; =>This Loop Header: Depth=1
                                        ;     Child Loop BB325_20 Depth 2
                                        ;       Child Loop BB325_22 Depth 3
	v_lshlrev_b64 v[0:1], 3, v[6:7]
	v_add_co_u32_e32 v2, vcc, s14, v0
	v_addc_co_u32_e32 v3, vcc, v21, v1, vcc
	global_load_dwordx2 v[2:3], v[2:3], off
	v_add_co_u32_e32 v8, vcc, s12, v0
	v_addc_co_u32_e32 v9, vcc, v20, v1, vcc
	global_load_dwordx2 v[10:11], v[8:9], off
	s_waitcnt vmcnt(1)
	v_subrev_co_u32_e32 v8, vcc, s2, v2
	v_subb_co_u32_e32 v9, vcc, v3, v22, vcc
	s_waitcnt vmcnt(0)
	v_add_co_u32_e32 v10, vcc, v10, v18
	v_addc_co_u32_e32 v11, vcc, v11, v19, vcc
	v_cmp_lt_i64_e32 vcc, v[10:11], v[8:9]
	s_and_saveexec_b64 s[4:5], vcc
	s_cbranch_execz .LBB325_16
; %bb.18:                               ;   in Loop: Header=BB325_17 Depth=1
	v_mov_b32_e32 v2, s21
	v_add_co_u32_e32 v0, vcc, s20, v0
	v_addc_co_u32_e32 v1, vcc, v2, v1, vcc
	global_load_dwordx2 v[0:1], v[0:1], off
	s_mov_b64 s[6:7], 0
	s_waitcnt vmcnt(0)
	v_mul_f64 v[12:13], v[4:5], v[0:1]
	s_branch .LBB325_20
.LBB325_19:                             ;   in Loop: Header=BB325_20 Depth=2
	s_or_b64 exec, exec, s[10:11]
	v_add_co_u32_e32 v10, vcc, 4, v10
	v_addc_co_u32_e32 v11, vcc, 0, v11, vcc
	v_cmp_ge_i64_e32 vcc, v[10:11], v[8:9]
	s_or_b64 s[6:7], vcc, s[6:7]
	s_andn2_b64 exec, exec, s[6:7]
	s_cbranch_execz .LBB325_16
.LBB325_20:                             ;   Parent Loop BB325_17 Depth=1
                                        ; =>  This Loop Header: Depth=2
                                        ;       Child Loop BB325_22 Depth 3
	v_lshlrev_b64 v[0:1], 3, v[10:11]
	v_mov_b32_e32 v2, s17
	v_add_co_u32_e32 v0, vcc, s16, v0
	v_addc_co_u32_e32 v1, vcc, v2, v1, vcc
	global_load_dwordx2 v[0:1], v[0:1], off
	s_waitcnt vmcnt(0)
	v_subrev_co_u32_e32 v0, vcc, s2, v0
	v_subb_co_u32_e32 v1, vcc, v1, v22, vcc
	v_cmp_ne_u64_e32 vcc, v[0:1], v[6:7]
	s_and_saveexec_b64 s[10:11], vcc
	s_cbranch_execz .LBB325_19
; %bb.21:                               ;   in Loop: Header=BB325_20 Depth=2
	v_lshlrev_b64 v[2:3], 2, v[10:11]
	v_mov_b32_e32 v14, s19
	v_add_co_u32_e32 v2, vcc, s18, v2
	v_addc_co_u32_e32 v3, vcc, v14, v3, vcc
	v_lshlrev_b64 v[0:1], 3, v[0:1]
	v_mov_b32_e32 v15, s23
	global_load_dword v16, v[2:3], off
	v_add_co_u32_e32 v14, vcc, s22, v0
	v_addc_co_u32_e32 v15, vcc, v15, v1, vcc
	global_load_dwordx2 v[2:3], v[14:15], off
	s_mov_b64 s[24:25], 0
	s_waitcnt vmcnt(1)
	v_cvt_f64_f32_e32 v[0:1], v16
	v_mul_f64 v[16:17], v[12:13], v[0:1]
.LBB325_22:                             ;   Parent Loop BB325_17 Depth=1
                                        ;     Parent Loop BB325_20 Depth=2
                                        ; =>    This Inner Loop Header: Depth=3
	s_waitcnt vmcnt(0)
	v_add_f64 v[0:1], v[2:3], v[16:17]
	global_atomic_cmpswap_x2 v[0:1], v[14:15], v[0:3], off glc
	s_waitcnt vmcnt(0)
	v_cmp_eq_u64_e32 vcc, v[0:1], v[2:3]
	s_or_b64 s[24:25], vcc, s[24:25]
	v_pk_mov_b32 v[2:3], v[0:1], v[0:1] op_sel:[0,1]
	s_andn2_b64 exec, exec, s[24:25]
	s_cbranch_execnz .LBB325_22
	s_branch .LBB325_19
.LBB325_23:
	s_endpgm
	.section	.rodata,"a",@progbits
	.p2align	6, 0x0
	.amdhsa_kernel _ZN9rocsparseL21csrmvt_general_kernelILj256ELj4EllfdddEEvbbT2_NS_24const_host_device_scalarIT6_EEPKT1_S7_PKS1_PKT3_PKT4_PT5_21rocsparse_index_base_b
		.amdhsa_group_segment_fixed_size 0
		.amdhsa_private_segment_fixed_size 0
		.amdhsa_kernarg_size 336
		.amdhsa_user_sgpr_count 6
		.amdhsa_user_sgpr_private_segment_buffer 1
		.amdhsa_user_sgpr_dispatch_ptr 0
		.amdhsa_user_sgpr_queue_ptr 0
		.amdhsa_user_sgpr_kernarg_segment_ptr 1
		.amdhsa_user_sgpr_dispatch_id 0
		.amdhsa_user_sgpr_flat_scratch_init 0
		.amdhsa_user_sgpr_kernarg_preload_length 0
		.amdhsa_user_sgpr_kernarg_preload_offset 0
		.amdhsa_user_sgpr_private_segment_size 0
		.amdhsa_uses_dynamic_stack 0
		.amdhsa_system_sgpr_private_segment_wavefront_offset 0
		.amdhsa_system_sgpr_workgroup_id_x 1
		.amdhsa_system_sgpr_workgroup_id_y 0
		.amdhsa_system_sgpr_workgroup_id_z 0
		.amdhsa_system_sgpr_workgroup_info 0
		.amdhsa_system_vgpr_workitem_id 0
		.amdhsa_next_free_vgpr 26
		.amdhsa_next_free_sgpr 28
		.amdhsa_accum_offset 28
		.amdhsa_reserve_vcc 1
		.amdhsa_reserve_flat_scratch 0
		.amdhsa_float_round_mode_32 0
		.amdhsa_float_round_mode_16_64 0
		.amdhsa_float_denorm_mode_32 3
		.amdhsa_float_denorm_mode_16_64 3
		.amdhsa_dx10_clamp 1
		.amdhsa_ieee_mode 1
		.amdhsa_fp16_overflow 0
		.amdhsa_tg_split 0
		.amdhsa_exception_fp_ieee_invalid_op 0
		.amdhsa_exception_fp_denorm_src 0
		.amdhsa_exception_fp_ieee_div_zero 0
		.amdhsa_exception_fp_ieee_overflow 0
		.amdhsa_exception_fp_ieee_underflow 0
		.amdhsa_exception_fp_ieee_inexact 0
		.amdhsa_exception_int_div_zero 0
	.end_amdhsa_kernel
	.section	.text._ZN9rocsparseL21csrmvt_general_kernelILj256ELj4EllfdddEEvbbT2_NS_24const_host_device_scalarIT6_EEPKT1_S7_PKS1_PKT3_PKT4_PT5_21rocsparse_index_base_b,"axG",@progbits,_ZN9rocsparseL21csrmvt_general_kernelILj256ELj4EllfdddEEvbbT2_NS_24const_host_device_scalarIT6_EEPKT1_S7_PKS1_PKT3_PKT4_PT5_21rocsparse_index_base_b,comdat
.Lfunc_end325:
	.size	_ZN9rocsparseL21csrmvt_general_kernelILj256ELj4EllfdddEEvbbT2_NS_24const_host_device_scalarIT6_EEPKT1_S7_PKS1_PKT3_PKT4_PT5_21rocsparse_index_base_b, .Lfunc_end325-_ZN9rocsparseL21csrmvt_general_kernelILj256ELj4EllfdddEEvbbT2_NS_24const_host_device_scalarIT6_EEPKT1_S7_PKS1_PKT3_PKT4_PT5_21rocsparse_index_base_b
                                        ; -- End function
	.section	.AMDGPU.csdata,"",@progbits
; Kernel info:
; codeLenInByte = 956
; NumSgprs: 32
; NumVgprs: 26
; NumAgprs: 0
; TotalNumVgprs: 26
; ScratchSize: 0
; MemoryBound: 0
; FloatMode: 240
; IeeeMode: 1
; LDSByteSize: 0 bytes/workgroup (compile time only)
; SGPRBlocks: 3
; VGPRBlocks: 3
; NumSGPRsForWavesPerEU: 32
; NumVGPRsForWavesPerEU: 26
; AccumOffset: 28
; Occupancy: 8
; WaveLimiterHint : 1
; COMPUTE_PGM_RSRC2:SCRATCH_EN: 0
; COMPUTE_PGM_RSRC2:USER_SGPR: 6
; COMPUTE_PGM_RSRC2:TRAP_HANDLER: 0
; COMPUTE_PGM_RSRC2:TGID_X_EN: 1
; COMPUTE_PGM_RSRC2:TGID_Y_EN: 0
; COMPUTE_PGM_RSRC2:TGID_Z_EN: 0
; COMPUTE_PGM_RSRC2:TIDIG_COMP_CNT: 0
; COMPUTE_PGM_RSRC3_GFX90A:ACCUM_OFFSET: 6
; COMPUTE_PGM_RSRC3_GFX90A:TG_SPLIT: 0
	.section	.text._ZN9rocsparseL21csrmvt_general_kernelILj256ELj8EllfdddEEvbbT2_NS_24const_host_device_scalarIT6_EEPKT1_S7_PKS1_PKT3_PKT4_PT5_21rocsparse_index_base_b,"axG",@progbits,_ZN9rocsparseL21csrmvt_general_kernelILj256ELj8EllfdddEEvbbT2_NS_24const_host_device_scalarIT6_EEPKT1_S7_PKS1_PKT3_PKT4_PT5_21rocsparse_index_base_b,comdat
	.globl	_ZN9rocsparseL21csrmvt_general_kernelILj256ELj8EllfdddEEvbbT2_NS_24const_host_device_scalarIT6_EEPKT1_S7_PKS1_PKT3_PKT4_PT5_21rocsparse_index_base_b ; -- Begin function _ZN9rocsparseL21csrmvt_general_kernelILj256ELj8EllfdddEEvbbT2_NS_24const_host_device_scalarIT6_EEPKT1_S7_PKS1_PKT3_PKT4_PT5_21rocsparse_index_base_b
	.p2align	8
	.type	_ZN9rocsparseL21csrmvt_general_kernelILj256ELj8EllfdddEEvbbT2_NS_24const_host_device_scalarIT6_EEPKT1_S7_PKS1_PKT3_PKT4_PT5_21rocsparse_index_base_b,@function
_ZN9rocsparseL21csrmvt_general_kernelILj256ELj8EllfdddEEvbbT2_NS_24const_host_device_scalarIT6_EEPKT1_S7_PKS1_PKT3_PKT4_PT5_21rocsparse_index_base_b: ; @_ZN9rocsparseL21csrmvt_general_kernelILj256ELj8EllfdddEEvbbT2_NS_24const_host_device_scalarIT6_EEPKT1_S7_PKS1_PKT3_PKT4_PT5_21rocsparse_index_base_b
; %bb.0:
	s_load_dwordx2 s[2:3], s[4:5], 0x48
	s_load_dwordx8 s[8:15], s[4:5], 0x8
	s_waitcnt lgkmcnt(0)
	s_bitcmp1_b32 s3, 0
	s_cselect_b64 s[0:1], -1, 0
	s_and_b64 vcc, exec, s[0:1]
	v_pk_mov_b32 v[4:5], s[10:11], s[10:11] op_sel:[0,1]
	s_cbranch_vccnz .LBB326_2
; %bb.1:
	v_pk_mov_b32 v[2:3], s[10:11], s[10:11] op_sel:[0,1]
	flat_load_dwordx2 v[4:5], v[2:3]
.LBB326_2:
	s_waitcnt vmcnt(0) lgkmcnt(0)
	v_cmp_neq_f64_e32 vcc, 0, v[4:5]
	s_and_saveexec_b64 s[0:1], vcc
	s_cbranch_execz .LBB326_23
; %bb.3:
	s_load_dword s0, s[4:5], 0x0
	s_load_dword s1, s[4:5], 0x50
	s_load_dwordx8 s[16:23], s[4:5], 0x28
	v_and_b32_e32 v20, 7, v0
	v_lshl_or_b32 v0, s6, 8, v0
	s_waitcnt lgkmcnt(0)
	s_and_b32 s0, s0, 1
	s_lshl_b32 s3, s1, 5
	v_lshrrev_b32_e32 v6, 3, v0
	v_mov_b32_e32 v7, 0
	s_cmp_eq_u32 s0, 0
	v_cmp_gt_i64_e64 s[0:1], s[8:9], v[6:7]
	s_mov_b64 s[4:5], -1
	s_cbranch_scc0 .LBB326_13
; %bb.4:
	s_and_saveexec_b64 s[4:5], s[0:1]
	s_cbranch_execz .LBB326_12
; %bb.5:
	v_subrev_co_u32_e32 v21, vcc, s2, v20
	s_mov_b32 s10, 0
	v_subb_co_u32_e64 v22, s[6:7], 0, 0, vcc
	s_mov_b64 s[6:7], 0
	v_mov_b32_e32 v23, s13
	v_mov_b32_e32 v24, s15
	;; [unrolled: 1-line block ×3, first 2 shown]
	v_pk_mov_b32 v[8:9], v[6:7], v[6:7] op_sel:[0,1]
	s_branch .LBB326_7
.LBB326_6:                              ;   in Loop: Header=BB326_7 Depth=1
	s_or_b64 exec, exec, s[10:11]
	v_add_co_u32_e32 v8, vcc, s3, v8
	v_addc_co_u32_e32 v9, vcc, 0, v9, vcc
	v_cmp_le_i64_e32 vcc, s[8:9], v[8:9]
	s_or_b64 s[6:7], vcc, s[6:7]
	s_andn2_b64 exec, exec, s[6:7]
	s_cbranch_execz .LBB326_12
.LBB326_7:                              ; =>This Loop Header: Depth=1
                                        ;     Child Loop BB326_9 Depth 2
                                        ;       Child Loop BB326_10 Depth 3
	v_lshlrev_b64 v[0:1], 3, v[8:9]
	v_add_co_u32_e32 v2, vcc, s14, v0
	v_addc_co_u32_e32 v3, vcc, v24, v1, vcc
	global_load_dwordx2 v[2:3], v[2:3], off
	v_add_co_u32_e32 v10, vcc, s12, v0
	v_addc_co_u32_e32 v11, vcc, v23, v1, vcc
	global_load_dwordx2 v[12:13], v[10:11], off
	s_waitcnt vmcnt(1)
	v_subrev_co_u32_e32 v10, vcc, s2, v2
	v_subb_co_u32_e32 v11, vcc, v3, v25, vcc
	s_waitcnt vmcnt(0)
	v_add_co_u32_e32 v12, vcc, v12, v21
	v_addc_co_u32_e32 v13, vcc, v13, v22, vcc
	v_cmp_lt_i64_e32 vcc, v[12:13], v[10:11]
	s_and_saveexec_b64 s[10:11], vcc
	s_cbranch_execz .LBB326_6
; %bb.8:                                ;   in Loop: Header=BB326_7 Depth=1
	v_mov_b32_e32 v2, s21
	v_add_co_u32_e32 v0, vcc, s20, v0
	v_addc_co_u32_e32 v1, vcc, v2, v1, vcc
	global_load_dwordx2 v[0:1], v[0:1], off
	s_mov_b64 s[24:25], 0
	s_waitcnt vmcnt(0)
	v_mul_f64 v[14:15], v[4:5], v[0:1]
.LBB326_9:                              ;   Parent Loop BB326_7 Depth=1
                                        ; =>  This Loop Header: Depth=2
                                        ;       Child Loop BB326_10 Depth 3
	v_lshlrev_b64 v[0:1], 3, v[12:13]
	v_mov_b32_e32 v2, s17
	v_add_co_u32_e32 v0, vcc, s16, v0
	v_addc_co_u32_e32 v1, vcc, v2, v1, vcc
	global_load_dwordx2 v[0:1], v[0:1], off
	v_lshlrev_b64 v[2:3], 2, v[12:13]
	v_mov_b32_e32 v16, s19
	v_add_co_u32_e32 v2, vcc, s18, v2
	v_addc_co_u32_e32 v3, vcc, v16, v3, vcc
	v_mov_b32_e32 v17, s23
	global_load_dword v18, v[2:3], off
	s_mov_b64 s[26:27], 0
	s_waitcnt vmcnt(1)
	v_subrev_co_u32_e32 v0, vcc, s2, v0
	v_subb_co_u32_e32 v1, vcc, v1, v25, vcc
	v_lshlrev_b64 v[0:1], 3, v[0:1]
	v_add_co_u32_e32 v16, vcc, s22, v0
	v_addc_co_u32_e32 v17, vcc, v17, v1, vcc
	global_load_dwordx2 v[2:3], v[16:17], off
	s_waitcnt vmcnt(1)
	v_cvt_f64_f32_e32 v[0:1], v18
	v_mul_f64 v[18:19], v[14:15], v[0:1]
.LBB326_10:                             ;   Parent Loop BB326_7 Depth=1
                                        ;     Parent Loop BB326_9 Depth=2
                                        ; =>    This Inner Loop Header: Depth=3
	s_waitcnt vmcnt(0)
	v_add_f64 v[0:1], v[2:3], v[18:19]
	global_atomic_cmpswap_x2 v[0:1], v[16:17], v[0:3], off glc
	s_waitcnt vmcnt(0)
	v_cmp_eq_u64_e32 vcc, v[0:1], v[2:3]
	s_or_b64 s[26:27], vcc, s[26:27]
	v_pk_mov_b32 v[2:3], v[0:1], v[0:1] op_sel:[0,1]
	s_andn2_b64 exec, exec, s[26:27]
	s_cbranch_execnz .LBB326_10
; %bb.11:                               ;   in Loop: Header=BB326_9 Depth=2
	s_or_b64 exec, exec, s[26:27]
	v_add_co_u32_e32 v12, vcc, 8, v12
	v_addc_co_u32_e32 v13, vcc, 0, v13, vcc
	v_cmp_ge_i64_e32 vcc, v[12:13], v[10:11]
	s_or_b64 s[24:25], vcc, s[24:25]
	s_andn2_b64 exec, exec, s[24:25]
	s_cbranch_execnz .LBB326_9
	s_branch .LBB326_6
.LBB326_12:
	s_or_b64 exec, exec, s[4:5]
	s_mov_b64 s[4:5], 0
.LBB326_13:
	s_andn2_b64 vcc, exec, s[4:5]
	s_cbranch_vccnz .LBB326_23
; %bb.14:
	s_and_b64 exec, exec, s[0:1]
	s_cbranch_execz .LBB326_23
; %bb.15:
	v_subrev_co_u32_e32 v18, vcc, s2, v20
	s_mov_b32 s4, 0
	v_subb_co_u32_e64 v19, s[0:1], 0, 0, vcc
	s_mov_b64 s[0:1], 0
	v_mov_b32_e32 v20, s13
	v_mov_b32_e32 v21, s15
	;; [unrolled: 1-line block ×3, first 2 shown]
	s_branch .LBB326_17
.LBB326_16:                             ;   in Loop: Header=BB326_17 Depth=1
	s_or_b64 exec, exec, s[4:5]
	v_add_co_u32_e32 v6, vcc, s3, v6
	v_addc_co_u32_e32 v7, vcc, 0, v7, vcc
	v_cmp_le_i64_e32 vcc, s[8:9], v[6:7]
	s_or_b64 s[0:1], vcc, s[0:1]
	s_andn2_b64 exec, exec, s[0:1]
	s_cbranch_execz .LBB326_23
.LBB326_17:                             ; =>This Loop Header: Depth=1
                                        ;     Child Loop BB326_20 Depth 2
                                        ;       Child Loop BB326_22 Depth 3
	v_lshlrev_b64 v[0:1], 3, v[6:7]
	v_add_co_u32_e32 v2, vcc, s14, v0
	v_addc_co_u32_e32 v3, vcc, v21, v1, vcc
	global_load_dwordx2 v[2:3], v[2:3], off
	v_add_co_u32_e32 v8, vcc, s12, v0
	v_addc_co_u32_e32 v9, vcc, v20, v1, vcc
	global_load_dwordx2 v[10:11], v[8:9], off
	s_waitcnt vmcnt(1)
	v_subrev_co_u32_e32 v8, vcc, s2, v2
	v_subb_co_u32_e32 v9, vcc, v3, v22, vcc
	s_waitcnt vmcnt(0)
	v_add_co_u32_e32 v10, vcc, v10, v18
	v_addc_co_u32_e32 v11, vcc, v11, v19, vcc
	v_cmp_lt_i64_e32 vcc, v[10:11], v[8:9]
	s_and_saveexec_b64 s[4:5], vcc
	s_cbranch_execz .LBB326_16
; %bb.18:                               ;   in Loop: Header=BB326_17 Depth=1
	v_mov_b32_e32 v2, s21
	v_add_co_u32_e32 v0, vcc, s20, v0
	v_addc_co_u32_e32 v1, vcc, v2, v1, vcc
	global_load_dwordx2 v[0:1], v[0:1], off
	s_mov_b64 s[6:7], 0
	s_waitcnt vmcnt(0)
	v_mul_f64 v[12:13], v[4:5], v[0:1]
	s_branch .LBB326_20
.LBB326_19:                             ;   in Loop: Header=BB326_20 Depth=2
	s_or_b64 exec, exec, s[10:11]
	v_add_co_u32_e32 v10, vcc, 8, v10
	v_addc_co_u32_e32 v11, vcc, 0, v11, vcc
	v_cmp_ge_i64_e32 vcc, v[10:11], v[8:9]
	s_or_b64 s[6:7], vcc, s[6:7]
	s_andn2_b64 exec, exec, s[6:7]
	s_cbranch_execz .LBB326_16
.LBB326_20:                             ;   Parent Loop BB326_17 Depth=1
                                        ; =>  This Loop Header: Depth=2
                                        ;       Child Loop BB326_22 Depth 3
	v_lshlrev_b64 v[0:1], 3, v[10:11]
	v_mov_b32_e32 v2, s17
	v_add_co_u32_e32 v0, vcc, s16, v0
	v_addc_co_u32_e32 v1, vcc, v2, v1, vcc
	global_load_dwordx2 v[0:1], v[0:1], off
	s_waitcnt vmcnt(0)
	v_subrev_co_u32_e32 v0, vcc, s2, v0
	v_subb_co_u32_e32 v1, vcc, v1, v22, vcc
	v_cmp_ne_u64_e32 vcc, v[0:1], v[6:7]
	s_and_saveexec_b64 s[10:11], vcc
	s_cbranch_execz .LBB326_19
; %bb.21:                               ;   in Loop: Header=BB326_20 Depth=2
	v_lshlrev_b64 v[2:3], 2, v[10:11]
	v_mov_b32_e32 v14, s19
	v_add_co_u32_e32 v2, vcc, s18, v2
	v_addc_co_u32_e32 v3, vcc, v14, v3, vcc
	v_lshlrev_b64 v[0:1], 3, v[0:1]
	v_mov_b32_e32 v15, s23
	global_load_dword v16, v[2:3], off
	v_add_co_u32_e32 v14, vcc, s22, v0
	v_addc_co_u32_e32 v15, vcc, v15, v1, vcc
	global_load_dwordx2 v[2:3], v[14:15], off
	s_mov_b64 s[24:25], 0
	s_waitcnt vmcnt(1)
	v_cvt_f64_f32_e32 v[0:1], v16
	v_mul_f64 v[16:17], v[12:13], v[0:1]
.LBB326_22:                             ;   Parent Loop BB326_17 Depth=1
                                        ;     Parent Loop BB326_20 Depth=2
                                        ; =>    This Inner Loop Header: Depth=3
	s_waitcnt vmcnt(0)
	v_add_f64 v[0:1], v[2:3], v[16:17]
	global_atomic_cmpswap_x2 v[0:1], v[14:15], v[0:3], off glc
	s_waitcnt vmcnt(0)
	v_cmp_eq_u64_e32 vcc, v[0:1], v[2:3]
	s_or_b64 s[24:25], vcc, s[24:25]
	v_pk_mov_b32 v[2:3], v[0:1], v[0:1] op_sel:[0,1]
	s_andn2_b64 exec, exec, s[24:25]
	s_cbranch_execnz .LBB326_22
	s_branch .LBB326_19
.LBB326_23:
	s_endpgm
	.section	.rodata,"a",@progbits
	.p2align	6, 0x0
	.amdhsa_kernel _ZN9rocsparseL21csrmvt_general_kernelILj256ELj8EllfdddEEvbbT2_NS_24const_host_device_scalarIT6_EEPKT1_S7_PKS1_PKT3_PKT4_PT5_21rocsparse_index_base_b
		.amdhsa_group_segment_fixed_size 0
		.amdhsa_private_segment_fixed_size 0
		.amdhsa_kernarg_size 336
		.amdhsa_user_sgpr_count 6
		.amdhsa_user_sgpr_private_segment_buffer 1
		.amdhsa_user_sgpr_dispatch_ptr 0
		.amdhsa_user_sgpr_queue_ptr 0
		.amdhsa_user_sgpr_kernarg_segment_ptr 1
		.amdhsa_user_sgpr_dispatch_id 0
		.amdhsa_user_sgpr_flat_scratch_init 0
		.amdhsa_user_sgpr_kernarg_preload_length 0
		.amdhsa_user_sgpr_kernarg_preload_offset 0
		.amdhsa_user_sgpr_private_segment_size 0
		.amdhsa_uses_dynamic_stack 0
		.amdhsa_system_sgpr_private_segment_wavefront_offset 0
		.amdhsa_system_sgpr_workgroup_id_x 1
		.amdhsa_system_sgpr_workgroup_id_y 0
		.amdhsa_system_sgpr_workgroup_id_z 0
		.amdhsa_system_sgpr_workgroup_info 0
		.amdhsa_system_vgpr_workitem_id 0
		.amdhsa_next_free_vgpr 26
		.amdhsa_next_free_sgpr 28
		.amdhsa_accum_offset 28
		.amdhsa_reserve_vcc 1
		.amdhsa_reserve_flat_scratch 0
		.amdhsa_float_round_mode_32 0
		.amdhsa_float_round_mode_16_64 0
		.amdhsa_float_denorm_mode_32 3
		.amdhsa_float_denorm_mode_16_64 3
		.amdhsa_dx10_clamp 1
		.amdhsa_ieee_mode 1
		.amdhsa_fp16_overflow 0
		.amdhsa_tg_split 0
		.amdhsa_exception_fp_ieee_invalid_op 0
		.amdhsa_exception_fp_denorm_src 0
		.amdhsa_exception_fp_ieee_div_zero 0
		.amdhsa_exception_fp_ieee_overflow 0
		.amdhsa_exception_fp_ieee_underflow 0
		.amdhsa_exception_fp_ieee_inexact 0
		.amdhsa_exception_int_div_zero 0
	.end_amdhsa_kernel
	.section	.text._ZN9rocsparseL21csrmvt_general_kernelILj256ELj8EllfdddEEvbbT2_NS_24const_host_device_scalarIT6_EEPKT1_S7_PKS1_PKT3_PKT4_PT5_21rocsparse_index_base_b,"axG",@progbits,_ZN9rocsparseL21csrmvt_general_kernelILj256ELj8EllfdddEEvbbT2_NS_24const_host_device_scalarIT6_EEPKT1_S7_PKS1_PKT3_PKT4_PT5_21rocsparse_index_base_b,comdat
.Lfunc_end326:
	.size	_ZN9rocsparseL21csrmvt_general_kernelILj256ELj8EllfdddEEvbbT2_NS_24const_host_device_scalarIT6_EEPKT1_S7_PKS1_PKT3_PKT4_PT5_21rocsparse_index_base_b, .Lfunc_end326-_ZN9rocsparseL21csrmvt_general_kernelILj256ELj8EllfdddEEvbbT2_NS_24const_host_device_scalarIT6_EEPKT1_S7_PKS1_PKT3_PKT4_PT5_21rocsparse_index_base_b
                                        ; -- End function
	.section	.AMDGPU.csdata,"",@progbits
; Kernel info:
; codeLenInByte = 956
; NumSgprs: 32
; NumVgprs: 26
; NumAgprs: 0
; TotalNumVgprs: 26
; ScratchSize: 0
; MemoryBound: 0
; FloatMode: 240
; IeeeMode: 1
; LDSByteSize: 0 bytes/workgroup (compile time only)
; SGPRBlocks: 3
; VGPRBlocks: 3
; NumSGPRsForWavesPerEU: 32
; NumVGPRsForWavesPerEU: 26
; AccumOffset: 28
; Occupancy: 8
; WaveLimiterHint : 1
; COMPUTE_PGM_RSRC2:SCRATCH_EN: 0
; COMPUTE_PGM_RSRC2:USER_SGPR: 6
; COMPUTE_PGM_RSRC2:TRAP_HANDLER: 0
; COMPUTE_PGM_RSRC2:TGID_X_EN: 1
; COMPUTE_PGM_RSRC2:TGID_Y_EN: 0
; COMPUTE_PGM_RSRC2:TGID_Z_EN: 0
; COMPUTE_PGM_RSRC2:TIDIG_COMP_CNT: 0
; COMPUTE_PGM_RSRC3_GFX90A:ACCUM_OFFSET: 6
; COMPUTE_PGM_RSRC3_GFX90A:TG_SPLIT: 0
	.section	.text._ZN9rocsparseL21csrmvt_general_kernelILj256ELj16EllfdddEEvbbT2_NS_24const_host_device_scalarIT6_EEPKT1_S7_PKS1_PKT3_PKT4_PT5_21rocsparse_index_base_b,"axG",@progbits,_ZN9rocsparseL21csrmvt_general_kernelILj256ELj16EllfdddEEvbbT2_NS_24const_host_device_scalarIT6_EEPKT1_S7_PKS1_PKT3_PKT4_PT5_21rocsparse_index_base_b,comdat
	.globl	_ZN9rocsparseL21csrmvt_general_kernelILj256ELj16EllfdddEEvbbT2_NS_24const_host_device_scalarIT6_EEPKT1_S7_PKS1_PKT3_PKT4_PT5_21rocsparse_index_base_b ; -- Begin function _ZN9rocsparseL21csrmvt_general_kernelILj256ELj16EllfdddEEvbbT2_NS_24const_host_device_scalarIT6_EEPKT1_S7_PKS1_PKT3_PKT4_PT5_21rocsparse_index_base_b
	.p2align	8
	.type	_ZN9rocsparseL21csrmvt_general_kernelILj256ELj16EllfdddEEvbbT2_NS_24const_host_device_scalarIT6_EEPKT1_S7_PKS1_PKT3_PKT4_PT5_21rocsparse_index_base_b,@function
_ZN9rocsparseL21csrmvt_general_kernelILj256ELj16EllfdddEEvbbT2_NS_24const_host_device_scalarIT6_EEPKT1_S7_PKS1_PKT3_PKT4_PT5_21rocsparse_index_base_b: ; @_ZN9rocsparseL21csrmvt_general_kernelILj256ELj16EllfdddEEvbbT2_NS_24const_host_device_scalarIT6_EEPKT1_S7_PKS1_PKT3_PKT4_PT5_21rocsparse_index_base_b
; %bb.0:
	s_load_dwordx2 s[2:3], s[4:5], 0x48
	s_load_dwordx8 s[8:15], s[4:5], 0x8
	s_waitcnt lgkmcnt(0)
	s_bitcmp1_b32 s3, 0
	s_cselect_b64 s[0:1], -1, 0
	s_and_b64 vcc, exec, s[0:1]
	v_pk_mov_b32 v[4:5], s[10:11], s[10:11] op_sel:[0,1]
	s_cbranch_vccnz .LBB327_2
; %bb.1:
	v_pk_mov_b32 v[2:3], s[10:11], s[10:11] op_sel:[0,1]
	flat_load_dwordx2 v[4:5], v[2:3]
.LBB327_2:
	s_waitcnt vmcnt(0) lgkmcnt(0)
	v_cmp_neq_f64_e32 vcc, 0, v[4:5]
	s_and_saveexec_b64 s[0:1], vcc
	s_cbranch_execz .LBB327_23
; %bb.3:
	s_load_dword s0, s[4:5], 0x0
	s_load_dword s1, s[4:5], 0x50
	s_load_dwordx8 s[16:23], s[4:5], 0x28
	v_and_b32_e32 v20, 15, v0
	v_lshl_or_b32 v0, s6, 8, v0
	s_waitcnt lgkmcnt(0)
	s_and_b32 s0, s0, 1
	s_lshl_b32 s3, s1, 4
	v_lshrrev_b32_e32 v6, 4, v0
	v_mov_b32_e32 v7, 0
	s_cmp_eq_u32 s0, 0
	v_cmp_gt_i64_e64 s[0:1], s[8:9], v[6:7]
	s_mov_b64 s[4:5], -1
	s_cbranch_scc0 .LBB327_13
; %bb.4:
	s_and_saveexec_b64 s[4:5], s[0:1]
	s_cbranch_execz .LBB327_12
; %bb.5:
	v_subrev_co_u32_e32 v21, vcc, s2, v20
	s_mov_b32 s10, 0
	v_subb_co_u32_e64 v22, s[6:7], 0, 0, vcc
	s_mov_b64 s[6:7], 0
	v_mov_b32_e32 v23, s13
	v_mov_b32_e32 v24, s15
	;; [unrolled: 1-line block ×3, first 2 shown]
	v_pk_mov_b32 v[8:9], v[6:7], v[6:7] op_sel:[0,1]
	s_branch .LBB327_7
.LBB327_6:                              ;   in Loop: Header=BB327_7 Depth=1
	s_or_b64 exec, exec, s[10:11]
	v_add_co_u32_e32 v8, vcc, s3, v8
	v_addc_co_u32_e32 v9, vcc, 0, v9, vcc
	v_cmp_le_i64_e32 vcc, s[8:9], v[8:9]
	s_or_b64 s[6:7], vcc, s[6:7]
	s_andn2_b64 exec, exec, s[6:7]
	s_cbranch_execz .LBB327_12
.LBB327_7:                              ; =>This Loop Header: Depth=1
                                        ;     Child Loop BB327_9 Depth 2
                                        ;       Child Loop BB327_10 Depth 3
	v_lshlrev_b64 v[0:1], 3, v[8:9]
	v_add_co_u32_e32 v2, vcc, s14, v0
	v_addc_co_u32_e32 v3, vcc, v24, v1, vcc
	global_load_dwordx2 v[2:3], v[2:3], off
	v_add_co_u32_e32 v10, vcc, s12, v0
	v_addc_co_u32_e32 v11, vcc, v23, v1, vcc
	global_load_dwordx2 v[12:13], v[10:11], off
	s_waitcnt vmcnt(1)
	v_subrev_co_u32_e32 v10, vcc, s2, v2
	v_subb_co_u32_e32 v11, vcc, v3, v25, vcc
	s_waitcnt vmcnt(0)
	v_add_co_u32_e32 v12, vcc, v12, v21
	v_addc_co_u32_e32 v13, vcc, v13, v22, vcc
	v_cmp_lt_i64_e32 vcc, v[12:13], v[10:11]
	s_and_saveexec_b64 s[10:11], vcc
	s_cbranch_execz .LBB327_6
; %bb.8:                                ;   in Loop: Header=BB327_7 Depth=1
	v_mov_b32_e32 v2, s21
	v_add_co_u32_e32 v0, vcc, s20, v0
	v_addc_co_u32_e32 v1, vcc, v2, v1, vcc
	global_load_dwordx2 v[0:1], v[0:1], off
	s_mov_b64 s[24:25], 0
	s_waitcnt vmcnt(0)
	v_mul_f64 v[14:15], v[4:5], v[0:1]
.LBB327_9:                              ;   Parent Loop BB327_7 Depth=1
                                        ; =>  This Loop Header: Depth=2
                                        ;       Child Loop BB327_10 Depth 3
	v_lshlrev_b64 v[0:1], 3, v[12:13]
	v_mov_b32_e32 v2, s17
	v_add_co_u32_e32 v0, vcc, s16, v0
	v_addc_co_u32_e32 v1, vcc, v2, v1, vcc
	global_load_dwordx2 v[0:1], v[0:1], off
	v_lshlrev_b64 v[2:3], 2, v[12:13]
	v_mov_b32_e32 v16, s19
	v_add_co_u32_e32 v2, vcc, s18, v2
	v_addc_co_u32_e32 v3, vcc, v16, v3, vcc
	v_mov_b32_e32 v17, s23
	global_load_dword v18, v[2:3], off
	s_mov_b64 s[26:27], 0
	s_waitcnt vmcnt(1)
	v_subrev_co_u32_e32 v0, vcc, s2, v0
	v_subb_co_u32_e32 v1, vcc, v1, v25, vcc
	v_lshlrev_b64 v[0:1], 3, v[0:1]
	v_add_co_u32_e32 v16, vcc, s22, v0
	v_addc_co_u32_e32 v17, vcc, v17, v1, vcc
	global_load_dwordx2 v[2:3], v[16:17], off
	s_waitcnt vmcnt(1)
	v_cvt_f64_f32_e32 v[0:1], v18
	v_mul_f64 v[18:19], v[14:15], v[0:1]
.LBB327_10:                             ;   Parent Loop BB327_7 Depth=1
                                        ;     Parent Loop BB327_9 Depth=2
                                        ; =>    This Inner Loop Header: Depth=3
	s_waitcnt vmcnt(0)
	v_add_f64 v[0:1], v[2:3], v[18:19]
	global_atomic_cmpswap_x2 v[0:1], v[16:17], v[0:3], off glc
	s_waitcnt vmcnt(0)
	v_cmp_eq_u64_e32 vcc, v[0:1], v[2:3]
	s_or_b64 s[26:27], vcc, s[26:27]
	v_pk_mov_b32 v[2:3], v[0:1], v[0:1] op_sel:[0,1]
	s_andn2_b64 exec, exec, s[26:27]
	s_cbranch_execnz .LBB327_10
; %bb.11:                               ;   in Loop: Header=BB327_9 Depth=2
	s_or_b64 exec, exec, s[26:27]
	v_add_co_u32_e32 v12, vcc, 16, v12
	v_addc_co_u32_e32 v13, vcc, 0, v13, vcc
	v_cmp_ge_i64_e32 vcc, v[12:13], v[10:11]
	s_or_b64 s[24:25], vcc, s[24:25]
	s_andn2_b64 exec, exec, s[24:25]
	s_cbranch_execnz .LBB327_9
	s_branch .LBB327_6
.LBB327_12:
	s_or_b64 exec, exec, s[4:5]
	s_mov_b64 s[4:5], 0
.LBB327_13:
	s_andn2_b64 vcc, exec, s[4:5]
	s_cbranch_vccnz .LBB327_23
; %bb.14:
	s_and_b64 exec, exec, s[0:1]
	s_cbranch_execz .LBB327_23
; %bb.15:
	v_subrev_co_u32_e32 v18, vcc, s2, v20
	s_mov_b32 s4, 0
	v_subb_co_u32_e64 v19, s[0:1], 0, 0, vcc
	s_mov_b64 s[0:1], 0
	v_mov_b32_e32 v20, s13
	v_mov_b32_e32 v21, s15
	;; [unrolled: 1-line block ×3, first 2 shown]
	s_branch .LBB327_17
.LBB327_16:                             ;   in Loop: Header=BB327_17 Depth=1
	s_or_b64 exec, exec, s[4:5]
	v_add_co_u32_e32 v6, vcc, s3, v6
	v_addc_co_u32_e32 v7, vcc, 0, v7, vcc
	v_cmp_le_i64_e32 vcc, s[8:9], v[6:7]
	s_or_b64 s[0:1], vcc, s[0:1]
	s_andn2_b64 exec, exec, s[0:1]
	s_cbranch_execz .LBB327_23
.LBB327_17:                             ; =>This Loop Header: Depth=1
                                        ;     Child Loop BB327_20 Depth 2
                                        ;       Child Loop BB327_22 Depth 3
	v_lshlrev_b64 v[0:1], 3, v[6:7]
	v_add_co_u32_e32 v2, vcc, s14, v0
	v_addc_co_u32_e32 v3, vcc, v21, v1, vcc
	global_load_dwordx2 v[2:3], v[2:3], off
	v_add_co_u32_e32 v8, vcc, s12, v0
	v_addc_co_u32_e32 v9, vcc, v20, v1, vcc
	global_load_dwordx2 v[10:11], v[8:9], off
	s_waitcnt vmcnt(1)
	v_subrev_co_u32_e32 v8, vcc, s2, v2
	v_subb_co_u32_e32 v9, vcc, v3, v22, vcc
	s_waitcnt vmcnt(0)
	v_add_co_u32_e32 v10, vcc, v10, v18
	v_addc_co_u32_e32 v11, vcc, v11, v19, vcc
	v_cmp_lt_i64_e32 vcc, v[10:11], v[8:9]
	s_and_saveexec_b64 s[4:5], vcc
	s_cbranch_execz .LBB327_16
; %bb.18:                               ;   in Loop: Header=BB327_17 Depth=1
	v_mov_b32_e32 v2, s21
	v_add_co_u32_e32 v0, vcc, s20, v0
	v_addc_co_u32_e32 v1, vcc, v2, v1, vcc
	global_load_dwordx2 v[0:1], v[0:1], off
	s_mov_b64 s[6:7], 0
	s_waitcnt vmcnt(0)
	v_mul_f64 v[12:13], v[4:5], v[0:1]
	s_branch .LBB327_20
.LBB327_19:                             ;   in Loop: Header=BB327_20 Depth=2
	s_or_b64 exec, exec, s[10:11]
	v_add_co_u32_e32 v10, vcc, 16, v10
	v_addc_co_u32_e32 v11, vcc, 0, v11, vcc
	v_cmp_ge_i64_e32 vcc, v[10:11], v[8:9]
	s_or_b64 s[6:7], vcc, s[6:7]
	s_andn2_b64 exec, exec, s[6:7]
	s_cbranch_execz .LBB327_16
.LBB327_20:                             ;   Parent Loop BB327_17 Depth=1
                                        ; =>  This Loop Header: Depth=2
                                        ;       Child Loop BB327_22 Depth 3
	v_lshlrev_b64 v[0:1], 3, v[10:11]
	v_mov_b32_e32 v2, s17
	v_add_co_u32_e32 v0, vcc, s16, v0
	v_addc_co_u32_e32 v1, vcc, v2, v1, vcc
	global_load_dwordx2 v[0:1], v[0:1], off
	s_waitcnt vmcnt(0)
	v_subrev_co_u32_e32 v0, vcc, s2, v0
	v_subb_co_u32_e32 v1, vcc, v1, v22, vcc
	v_cmp_ne_u64_e32 vcc, v[0:1], v[6:7]
	s_and_saveexec_b64 s[10:11], vcc
	s_cbranch_execz .LBB327_19
; %bb.21:                               ;   in Loop: Header=BB327_20 Depth=2
	v_lshlrev_b64 v[2:3], 2, v[10:11]
	v_mov_b32_e32 v14, s19
	v_add_co_u32_e32 v2, vcc, s18, v2
	v_addc_co_u32_e32 v3, vcc, v14, v3, vcc
	v_lshlrev_b64 v[0:1], 3, v[0:1]
	v_mov_b32_e32 v15, s23
	global_load_dword v16, v[2:3], off
	v_add_co_u32_e32 v14, vcc, s22, v0
	v_addc_co_u32_e32 v15, vcc, v15, v1, vcc
	global_load_dwordx2 v[2:3], v[14:15], off
	s_mov_b64 s[24:25], 0
	s_waitcnt vmcnt(1)
	v_cvt_f64_f32_e32 v[0:1], v16
	v_mul_f64 v[16:17], v[12:13], v[0:1]
.LBB327_22:                             ;   Parent Loop BB327_17 Depth=1
                                        ;     Parent Loop BB327_20 Depth=2
                                        ; =>    This Inner Loop Header: Depth=3
	s_waitcnt vmcnt(0)
	v_add_f64 v[0:1], v[2:3], v[16:17]
	global_atomic_cmpswap_x2 v[0:1], v[14:15], v[0:3], off glc
	s_waitcnt vmcnt(0)
	v_cmp_eq_u64_e32 vcc, v[0:1], v[2:3]
	s_or_b64 s[24:25], vcc, s[24:25]
	v_pk_mov_b32 v[2:3], v[0:1], v[0:1] op_sel:[0,1]
	s_andn2_b64 exec, exec, s[24:25]
	s_cbranch_execnz .LBB327_22
	s_branch .LBB327_19
.LBB327_23:
	s_endpgm
	.section	.rodata,"a",@progbits
	.p2align	6, 0x0
	.amdhsa_kernel _ZN9rocsparseL21csrmvt_general_kernelILj256ELj16EllfdddEEvbbT2_NS_24const_host_device_scalarIT6_EEPKT1_S7_PKS1_PKT3_PKT4_PT5_21rocsparse_index_base_b
		.amdhsa_group_segment_fixed_size 0
		.amdhsa_private_segment_fixed_size 0
		.amdhsa_kernarg_size 336
		.amdhsa_user_sgpr_count 6
		.amdhsa_user_sgpr_private_segment_buffer 1
		.amdhsa_user_sgpr_dispatch_ptr 0
		.amdhsa_user_sgpr_queue_ptr 0
		.amdhsa_user_sgpr_kernarg_segment_ptr 1
		.amdhsa_user_sgpr_dispatch_id 0
		.amdhsa_user_sgpr_flat_scratch_init 0
		.amdhsa_user_sgpr_kernarg_preload_length 0
		.amdhsa_user_sgpr_kernarg_preload_offset 0
		.amdhsa_user_sgpr_private_segment_size 0
		.amdhsa_uses_dynamic_stack 0
		.amdhsa_system_sgpr_private_segment_wavefront_offset 0
		.amdhsa_system_sgpr_workgroup_id_x 1
		.amdhsa_system_sgpr_workgroup_id_y 0
		.amdhsa_system_sgpr_workgroup_id_z 0
		.amdhsa_system_sgpr_workgroup_info 0
		.amdhsa_system_vgpr_workitem_id 0
		.amdhsa_next_free_vgpr 26
		.amdhsa_next_free_sgpr 28
		.amdhsa_accum_offset 28
		.amdhsa_reserve_vcc 1
		.amdhsa_reserve_flat_scratch 0
		.amdhsa_float_round_mode_32 0
		.amdhsa_float_round_mode_16_64 0
		.amdhsa_float_denorm_mode_32 3
		.amdhsa_float_denorm_mode_16_64 3
		.amdhsa_dx10_clamp 1
		.amdhsa_ieee_mode 1
		.amdhsa_fp16_overflow 0
		.amdhsa_tg_split 0
		.amdhsa_exception_fp_ieee_invalid_op 0
		.amdhsa_exception_fp_denorm_src 0
		.amdhsa_exception_fp_ieee_div_zero 0
		.amdhsa_exception_fp_ieee_overflow 0
		.amdhsa_exception_fp_ieee_underflow 0
		.amdhsa_exception_fp_ieee_inexact 0
		.amdhsa_exception_int_div_zero 0
	.end_amdhsa_kernel
	.section	.text._ZN9rocsparseL21csrmvt_general_kernelILj256ELj16EllfdddEEvbbT2_NS_24const_host_device_scalarIT6_EEPKT1_S7_PKS1_PKT3_PKT4_PT5_21rocsparse_index_base_b,"axG",@progbits,_ZN9rocsparseL21csrmvt_general_kernelILj256ELj16EllfdddEEvbbT2_NS_24const_host_device_scalarIT6_EEPKT1_S7_PKS1_PKT3_PKT4_PT5_21rocsparse_index_base_b,comdat
.Lfunc_end327:
	.size	_ZN9rocsparseL21csrmvt_general_kernelILj256ELj16EllfdddEEvbbT2_NS_24const_host_device_scalarIT6_EEPKT1_S7_PKS1_PKT3_PKT4_PT5_21rocsparse_index_base_b, .Lfunc_end327-_ZN9rocsparseL21csrmvt_general_kernelILj256ELj16EllfdddEEvbbT2_NS_24const_host_device_scalarIT6_EEPKT1_S7_PKS1_PKT3_PKT4_PT5_21rocsparse_index_base_b
                                        ; -- End function
	.section	.AMDGPU.csdata,"",@progbits
; Kernel info:
; codeLenInByte = 956
; NumSgprs: 32
; NumVgprs: 26
; NumAgprs: 0
; TotalNumVgprs: 26
; ScratchSize: 0
; MemoryBound: 0
; FloatMode: 240
; IeeeMode: 1
; LDSByteSize: 0 bytes/workgroup (compile time only)
; SGPRBlocks: 3
; VGPRBlocks: 3
; NumSGPRsForWavesPerEU: 32
; NumVGPRsForWavesPerEU: 26
; AccumOffset: 28
; Occupancy: 8
; WaveLimiterHint : 1
; COMPUTE_PGM_RSRC2:SCRATCH_EN: 0
; COMPUTE_PGM_RSRC2:USER_SGPR: 6
; COMPUTE_PGM_RSRC2:TRAP_HANDLER: 0
; COMPUTE_PGM_RSRC2:TGID_X_EN: 1
; COMPUTE_PGM_RSRC2:TGID_Y_EN: 0
; COMPUTE_PGM_RSRC2:TGID_Z_EN: 0
; COMPUTE_PGM_RSRC2:TIDIG_COMP_CNT: 0
; COMPUTE_PGM_RSRC3_GFX90A:ACCUM_OFFSET: 6
; COMPUTE_PGM_RSRC3_GFX90A:TG_SPLIT: 0
	.section	.text._ZN9rocsparseL21csrmvt_general_kernelILj256ELj32EllfdddEEvbbT2_NS_24const_host_device_scalarIT6_EEPKT1_S7_PKS1_PKT3_PKT4_PT5_21rocsparse_index_base_b,"axG",@progbits,_ZN9rocsparseL21csrmvt_general_kernelILj256ELj32EllfdddEEvbbT2_NS_24const_host_device_scalarIT6_EEPKT1_S7_PKS1_PKT3_PKT4_PT5_21rocsparse_index_base_b,comdat
	.globl	_ZN9rocsparseL21csrmvt_general_kernelILj256ELj32EllfdddEEvbbT2_NS_24const_host_device_scalarIT6_EEPKT1_S7_PKS1_PKT3_PKT4_PT5_21rocsparse_index_base_b ; -- Begin function _ZN9rocsparseL21csrmvt_general_kernelILj256ELj32EllfdddEEvbbT2_NS_24const_host_device_scalarIT6_EEPKT1_S7_PKS1_PKT3_PKT4_PT5_21rocsparse_index_base_b
	.p2align	8
	.type	_ZN9rocsparseL21csrmvt_general_kernelILj256ELj32EllfdddEEvbbT2_NS_24const_host_device_scalarIT6_EEPKT1_S7_PKS1_PKT3_PKT4_PT5_21rocsparse_index_base_b,@function
_ZN9rocsparseL21csrmvt_general_kernelILj256ELj32EllfdddEEvbbT2_NS_24const_host_device_scalarIT6_EEPKT1_S7_PKS1_PKT3_PKT4_PT5_21rocsparse_index_base_b: ; @_ZN9rocsparseL21csrmvt_general_kernelILj256ELj32EllfdddEEvbbT2_NS_24const_host_device_scalarIT6_EEPKT1_S7_PKS1_PKT3_PKT4_PT5_21rocsparse_index_base_b
; %bb.0:
	s_load_dwordx2 s[2:3], s[4:5], 0x48
	s_load_dwordx8 s[8:15], s[4:5], 0x8
	s_waitcnt lgkmcnt(0)
	s_bitcmp1_b32 s3, 0
	s_cselect_b64 s[0:1], -1, 0
	s_and_b64 vcc, exec, s[0:1]
	v_pk_mov_b32 v[4:5], s[10:11], s[10:11] op_sel:[0,1]
	s_cbranch_vccnz .LBB328_2
; %bb.1:
	v_pk_mov_b32 v[2:3], s[10:11], s[10:11] op_sel:[0,1]
	flat_load_dwordx2 v[4:5], v[2:3]
.LBB328_2:
	s_waitcnt vmcnt(0) lgkmcnt(0)
	v_cmp_neq_f64_e32 vcc, 0, v[4:5]
	s_and_saveexec_b64 s[0:1], vcc
	s_cbranch_execz .LBB328_23
; %bb.3:
	s_load_dword s0, s[4:5], 0x0
	s_load_dword s1, s[4:5], 0x50
	s_load_dwordx8 s[16:23], s[4:5], 0x28
	v_and_b32_e32 v20, 31, v0
	v_lshl_or_b32 v0, s6, 8, v0
	s_waitcnt lgkmcnt(0)
	s_and_b32 s0, s0, 1
	s_lshl_b32 s3, s1, 3
	v_lshrrev_b32_e32 v6, 5, v0
	v_mov_b32_e32 v7, 0
	s_cmp_eq_u32 s0, 0
	v_cmp_gt_i64_e64 s[0:1], s[8:9], v[6:7]
	s_mov_b64 s[4:5], -1
	s_cbranch_scc0 .LBB328_13
; %bb.4:
	s_and_saveexec_b64 s[4:5], s[0:1]
	s_cbranch_execz .LBB328_12
; %bb.5:
	v_subrev_co_u32_e32 v21, vcc, s2, v20
	s_mov_b32 s10, 0
	v_subb_co_u32_e64 v22, s[6:7], 0, 0, vcc
	s_mov_b64 s[6:7], 0
	v_mov_b32_e32 v23, s13
	v_mov_b32_e32 v24, s15
	;; [unrolled: 1-line block ×3, first 2 shown]
	v_pk_mov_b32 v[8:9], v[6:7], v[6:7] op_sel:[0,1]
	s_branch .LBB328_7
.LBB328_6:                              ;   in Loop: Header=BB328_7 Depth=1
	s_or_b64 exec, exec, s[10:11]
	v_add_co_u32_e32 v8, vcc, s3, v8
	v_addc_co_u32_e32 v9, vcc, 0, v9, vcc
	v_cmp_le_i64_e32 vcc, s[8:9], v[8:9]
	s_or_b64 s[6:7], vcc, s[6:7]
	s_andn2_b64 exec, exec, s[6:7]
	s_cbranch_execz .LBB328_12
.LBB328_7:                              ; =>This Loop Header: Depth=1
                                        ;     Child Loop BB328_9 Depth 2
                                        ;       Child Loop BB328_10 Depth 3
	v_lshlrev_b64 v[0:1], 3, v[8:9]
	v_add_co_u32_e32 v2, vcc, s14, v0
	v_addc_co_u32_e32 v3, vcc, v24, v1, vcc
	global_load_dwordx2 v[2:3], v[2:3], off
	v_add_co_u32_e32 v10, vcc, s12, v0
	v_addc_co_u32_e32 v11, vcc, v23, v1, vcc
	global_load_dwordx2 v[12:13], v[10:11], off
	s_waitcnt vmcnt(1)
	v_subrev_co_u32_e32 v10, vcc, s2, v2
	v_subb_co_u32_e32 v11, vcc, v3, v25, vcc
	s_waitcnt vmcnt(0)
	v_add_co_u32_e32 v12, vcc, v12, v21
	v_addc_co_u32_e32 v13, vcc, v13, v22, vcc
	v_cmp_lt_i64_e32 vcc, v[12:13], v[10:11]
	s_and_saveexec_b64 s[10:11], vcc
	s_cbranch_execz .LBB328_6
; %bb.8:                                ;   in Loop: Header=BB328_7 Depth=1
	v_mov_b32_e32 v2, s21
	v_add_co_u32_e32 v0, vcc, s20, v0
	v_addc_co_u32_e32 v1, vcc, v2, v1, vcc
	global_load_dwordx2 v[0:1], v[0:1], off
	s_mov_b64 s[24:25], 0
	s_waitcnt vmcnt(0)
	v_mul_f64 v[14:15], v[4:5], v[0:1]
.LBB328_9:                              ;   Parent Loop BB328_7 Depth=1
                                        ; =>  This Loop Header: Depth=2
                                        ;       Child Loop BB328_10 Depth 3
	v_lshlrev_b64 v[0:1], 3, v[12:13]
	v_mov_b32_e32 v2, s17
	v_add_co_u32_e32 v0, vcc, s16, v0
	v_addc_co_u32_e32 v1, vcc, v2, v1, vcc
	global_load_dwordx2 v[0:1], v[0:1], off
	v_lshlrev_b64 v[2:3], 2, v[12:13]
	v_mov_b32_e32 v16, s19
	v_add_co_u32_e32 v2, vcc, s18, v2
	v_addc_co_u32_e32 v3, vcc, v16, v3, vcc
	v_mov_b32_e32 v17, s23
	global_load_dword v18, v[2:3], off
	s_mov_b64 s[26:27], 0
	s_waitcnt vmcnt(1)
	v_subrev_co_u32_e32 v0, vcc, s2, v0
	v_subb_co_u32_e32 v1, vcc, v1, v25, vcc
	v_lshlrev_b64 v[0:1], 3, v[0:1]
	v_add_co_u32_e32 v16, vcc, s22, v0
	v_addc_co_u32_e32 v17, vcc, v17, v1, vcc
	global_load_dwordx2 v[2:3], v[16:17], off
	s_waitcnt vmcnt(1)
	v_cvt_f64_f32_e32 v[0:1], v18
	v_mul_f64 v[18:19], v[14:15], v[0:1]
.LBB328_10:                             ;   Parent Loop BB328_7 Depth=1
                                        ;     Parent Loop BB328_9 Depth=2
                                        ; =>    This Inner Loop Header: Depth=3
	s_waitcnt vmcnt(0)
	v_add_f64 v[0:1], v[2:3], v[18:19]
	global_atomic_cmpswap_x2 v[0:1], v[16:17], v[0:3], off glc
	s_waitcnt vmcnt(0)
	v_cmp_eq_u64_e32 vcc, v[0:1], v[2:3]
	s_or_b64 s[26:27], vcc, s[26:27]
	v_pk_mov_b32 v[2:3], v[0:1], v[0:1] op_sel:[0,1]
	s_andn2_b64 exec, exec, s[26:27]
	s_cbranch_execnz .LBB328_10
; %bb.11:                               ;   in Loop: Header=BB328_9 Depth=2
	s_or_b64 exec, exec, s[26:27]
	v_add_co_u32_e32 v12, vcc, 32, v12
	v_addc_co_u32_e32 v13, vcc, 0, v13, vcc
	v_cmp_ge_i64_e32 vcc, v[12:13], v[10:11]
	s_or_b64 s[24:25], vcc, s[24:25]
	s_andn2_b64 exec, exec, s[24:25]
	s_cbranch_execnz .LBB328_9
	s_branch .LBB328_6
.LBB328_12:
	s_or_b64 exec, exec, s[4:5]
	s_mov_b64 s[4:5], 0
.LBB328_13:
	s_andn2_b64 vcc, exec, s[4:5]
	s_cbranch_vccnz .LBB328_23
; %bb.14:
	s_and_b64 exec, exec, s[0:1]
	s_cbranch_execz .LBB328_23
; %bb.15:
	v_subrev_co_u32_e32 v18, vcc, s2, v20
	s_mov_b32 s4, 0
	v_subb_co_u32_e64 v19, s[0:1], 0, 0, vcc
	s_mov_b64 s[0:1], 0
	v_mov_b32_e32 v20, s13
	v_mov_b32_e32 v21, s15
	;; [unrolled: 1-line block ×3, first 2 shown]
	s_branch .LBB328_17
.LBB328_16:                             ;   in Loop: Header=BB328_17 Depth=1
	s_or_b64 exec, exec, s[4:5]
	v_add_co_u32_e32 v6, vcc, s3, v6
	v_addc_co_u32_e32 v7, vcc, 0, v7, vcc
	v_cmp_le_i64_e32 vcc, s[8:9], v[6:7]
	s_or_b64 s[0:1], vcc, s[0:1]
	s_andn2_b64 exec, exec, s[0:1]
	s_cbranch_execz .LBB328_23
.LBB328_17:                             ; =>This Loop Header: Depth=1
                                        ;     Child Loop BB328_20 Depth 2
                                        ;       Child Loop BB328_22 Depth 3
	v_lshlrev_b64 v[0:1], 3, v[6:7]
	v_add_co_u32_e32 v2, vcc, s14, v0
	v_addc_co_u32_e32 v3, vcc, v21, v1, vcc
	global_load_dwordx2 v[2:3], v[2:3], off
	v_add_co_u32_e32 v8, vcc, s12, v0
	v_addc_co_u32_e32 v9, vcc, v20, v1, vcc
	global_load_dwordx2 v[10:11], v[8:9], off
	s_waitcnt vmcnt(1)
	v_subrev_co_u32_e32 v8, vcc, s2, v2
	v_subb_co_u32_e32 v9, vcc, v3, v22, vcc
	s_waitcnt vmcnt(0)
	v_add_co_u32_e32 v10, vcc, v10, v18
	v_addc_co_u32_e32 v11, vcc, v11, v19, vcc
	v_cmp_lt_i64_e32 vcc, v[10:11], v[8:9]
	s_and_saveexec_b64 s[4:5], vcc
	s_cbranch_execz .LBB328_16
; %bb.18:                               ;   in Loop: Header=BB328_17 Depth=1
	v_mov_b32_e32 v2, s21
	v_add_co_u32_e32 v0, vcc, s20, v0
	v_addc_co_u32_e32 v1, vcc, v2, v1, vcc
	global_load_dwordx2 v[0:1], v[0:1], off
	s_mov_b64 s[6:7], 0
	s_waitcnt vmcnt(0)
	v_mul_f64 v[12:13], v[4:5], v[0:1]
	s_branch .LBB328_20
.LBB328_19:                             ;   in Loop: Header=BB328_20 Depth=2
	s_or_b64 exec, exec, s[10:11]
	v_add_co_u32_e32 v10, vcc, 32, v10
	v_addc_co_u32_e32 v11, vcc, 0, v11, vcc
	v_cmp_ge_i64_e32 vcc, v[10:11], v[8:9]
	s_or_b64 s[6:7], vcc, s[6:7]
	s_andn2_b64 exec, exec, s[6:7]
	s_cbranch_execz .LBB328_16
.LBB328_20:                             ;   Parent Loop BB328_17 Depth=1
                                        ; =>  This Loop Header: Depth=2
                                        ;       Child Loop BB328_22 Depth 3
	v_lshlrev_b64 v[0:1], 3, v[10:11]
	v_mov_b32_e32 v2, s17
	v_add_co_u32_e32 v0, vcc, s16, v0
	v_addc_co_u32_e32 v1, vcc, v2, v1, vcc
	global_load_dwordx2 v[0:1], v[0:1], off
	s_waitcnt vmcnt(0)
	v_subrev_co_u32_e32 v0, vcc, s2, v0
	v_subb_co_u32_e32 v1, vcc, v1, v22, vcc
	v_cmp_ne_u64_e32 vcc, v[0:1], v[6:7]
	s_and_saveexec_b64 s[10:11], vcc
	s_cbranch_execz .LBB328_19
; %bb.21:                               ;   in Loop: Header=BB328_20 Depth=2
	v_lshlrev_b64 v[2:3], 2, v[10:11]
	v_mov_b32_e32 v14, s19
	v_add_co_u32_e32 v2, vcc, s18, v2
	v_addc_co_u32_e32 v3, vcc, v14, v3, vcc
	v_lshlrev_b64 v[0:1], 3, v[0:1]
	v_mov_b32_e32 v15, s23
	global_load_dword v16, v[2:3], off
	v_add_co_u32_e32 v14, vcc, s22, v0
	v_addc_co_u32_e32 v15, vcc, v15, v1, vcc
	global_load_dwordx2 v[2:3], v[14:15], off
	s_mov_b64 s[24:25], 0
	s_waitcnt vmcnt(1)
	v_cvt_f64_f32_e32 v[0:1], v16
	v_mul_f64 v[16:17], v[12:13], v[0:1]
.LBB328_22:                             ;   Parent Loop BB328_17 Depth=1
                                        ;     Parent Loop BB328_20 Depth=2
                                        ; =>    This Inner Loop Header: Depth=3
	s_waitcnt vmcnt(0)
	v_add_f64 v[0:1], v[2:3], v[16:17]
	global_atomic_cmpswap_x2 v[0:1], v[14:15], v[0:3], off glc
	s_waitcnt vmcnt(0)
	v_cmp_eq_u64_e32 vcc, v[0:1], v[2:3]
	s_or_b64 s[24:25], vcc, s[24:25]
	v_pk_mov_b32 v[2:3], v[0:1], v[0:1] op_sel:[0,1]
	s_andn2_b64 exec, exec, s[24:25]
	s_cbranch_execnz .LBB328_22
	s_branch .LBB328_19
.LBB328_23:
	s_endpgm
	.section	.rodata,"a",@progbits
	.p2align	6, 0x0
	.amdhsa_kernel _ZN9rocsparseL21csrmvt_general_kernelILj256ELj32EllfdddEEvbbT2_NS_24const_host_device_scalarIT6_EEPKT1_S7_PKS1_PKT3_PKT4_PT5_21rocsparse_index_base_b
		.amdhsa_group_segment_fixed_size 0
		.amdhsa_private_segment_fixed_size 0
		.amdhsa_kernarg_size 336
		.amdhsa_user_sgpr_count 6
		.amdhsa_user_sgpr_private_segment_buffer 1
		.amdhsa_user_sgpr_dispatch_ptr 0
		.amdhsa_user_sgpr_queue_ptr 0
		.amdhsa_user_sgpr_kernarg_segment_ptr 1
		.amdhsa_user_sgpr_dispatch_id 0
		.amdhsa_user_sgpr_flat_scratch_init 0
		.amdhsa_user_sgpr_kernarg_preload_length 0
		.amdhsa_user_sgpr_kernarg_preload_offset 0
		.amdhsa_user_sgpr_private_segment_size 0
		.amdhsa_uses_dynamic_stack 0
		.amdhsa_system_sgpr_private_segment_wavefront_offset 0
		.amdhsa_system_sgpr_workgroup_id_x 1
		.amdhsa_system_sgpr_workgroup_id_y 0
		.amdhsa_system_sgpr_workgroup_id_z 0
		.amdhsa_system_sgpr_workgroup_info 0
		.amdhsa_system_vgpr_workitem_id 0
		.amdhsa_next_free_vgpr 26
		.amdhsa_next_free_sgpr 28
		.amdhsa_accum_offset 28
		.amdhsa_reserve_vcc 1
		.amdhsa_reserve_flat_scratch 0
		.amdhsa_float_round_mode_32 0
		.amdhsa_float_round_mode_16_64 0
		.amdhsa_float_denorm_mode_32 3
		.amdhsa_float_denorm_mode_16_64 3
		.amdhsa_dx10_clamp 1
		.amdhsa_ieee_mode 1
		.amdhsa_fp16_overflow 0
		.amdhsa_tg_split 0
		.amdhsa_exception_fp_ieee_invalid_op 0
		.amdhsa_exception_fp_denorm_src 0
		.amdhsa_exception_fp_ieee_div_zero 0
		.amdhsa_exception_fp_ieee_overflow 0
		.amdhsa_exception_fp_ieee_underflow 0
		.amdhsa_exception_fp_ieee_inexact 0
		.amdhsa_exception_int_div_zero 0
	.end_amdhsa_kernel
	.section	.text._ZN9rocsparseL21csrmvt_general_kernelILj256ELj32EllfdddEEvbbT2_NS_24const_host_device_scalarIT6_EEPKT1_S7_PKS1_PKT3_PKT4_PT5_21rocsparse_index_base_b,"axG",@progbits,_ZN9rocsparseL21csrmvt_general_kernelILj256ELj32EllfdddEEvbbT2_NS_24const_host_device_scalarIT6_EEPKT1_S7_PKS1_PKT3_PKT4_PT5_21rocsparse_index_base_b,comdat
.Lfunc_end328:
	.size	_ZN9rocsparseL21csrmvt_general_kernelILj256ELj32EllfdddEEvbbT2_NS_24const_host_device_scalarIT6_EEPKT1_S7_PKS1_PKT3_PKT4_PT5_21rocsparse_index_base_b, .Lfunc_end328-_ZN9rocsparseL21csrmvt_general_kernelILj256ELj32EllfdddEEvbbT2_NS_24const_host_device_scalarIT6_EEPKT1_S7_PKS1_PKT3_PKT4_PT5_21rocsparse_index_base_b
                                        ; -- End function
	.section	.AMDGPU.csdata,"",@progbits
; Kernel info:
; codeLenInByte = 956
; NumSgprs: 32
; NumVgprs: 26
; NumAgprs: 0
; TotalNumVgprs: 26
; ScratchSize: 0
; MemoryBound: 0
; FloatMode: 240
; IeeeMode: 1
; LDSByteSize: 0 bytes/workgroup (compile time only)
; SGPRBlocks: 3
; VGPRBlocks: 3
; NumSGPRsForWavesPerEU: 32
; NumVGPRsForWavesPerEU: 26
; AccumOffset: 28
; Occupancy: 8
; WaveLimiterHint : 1
; COMPUTE_PGM_RSRC2:SCRATCH_EN: 0
; COMPUTE_PGM_RSRC2:USER_SGPR: 6
; COMPUTE_PGM_RSRC2:TRAP_HANDLER: 0
; COMPUTE_PGM_RSRC2:TGID_X_EN: 1
; COMPUTE_PGM_RSRC2:TGID_Y_EN: 0
; COMPUTE_PGM_RSRC2:TGID_Z_EN: 0
; COMPUTE_PGM_RSRC2:TIDIG_COMP_CNT: 0
; COMPUTE_PGM_RSRC3_GFX90A:ACCUM_OFFSET: 6
; COMPUTE_PGM_RSRC3_GFX90A:TG_SPLIT: 0
	.section	.text._ZN9rocsparseL21csrmvt_general_kernelILj256ELj64EllfdddEEvbbT2_NS_24const_host_device_scalarIT6_EEPKT1_S7_PKS1_PKT3_PKT4_PT5_21rocsparse_index_base_b,"axG",@progbits,_ZN9rocsparseL21csrmvt_general_kernelILj256ELj64EllfdddEEvbbT2_NS_24const_host_device_scalarIT6_EEPKT1_S7_PKS1_PKT3_PKT4_PT5_21rocsparse_index_base_b,comdat
	.globl	_ZN9rocsparseL21csrmvt_general_kernelILj256ELj64EllfdddEEvbbT2_NS_24const_host_device_scalarIT6_EEPKT1_S7_PKS1_PKT3_PKT4_PT5_21rocsparse_index_base_b ; -- Begin function _ZN9rocsparseL21csrmvt_general_kernelILj256ELj64EllfdddEEvbbT2_NS_24const_host_device_scalarIT6_EEPKT1_S7_PKS1_PKT3_PKT4_PT5_21rocsparse_index_base_b
	.p2align	8
	.type	_ZN9rocsparseL21csrmvt_general_kernelILj256ELj64EllfdddEEvbbT2_NS_24const_host_device_scalarIT6_EEPKT1_S7_PKS1_PKT3_PKT4_PT5_21rocsparse_index_base_b,@function
_ZN9rocsparseL21csrmvt_general_kernelILj256ELj64EllfdddEEvbbT2_NS_24const_host_device_scalarIT6_EEPKT1_S7_PKS1_PKT3_PKT4_PT5_21rocsparse_index_base_b: ; @_ZN9rocsparseL21csrmvt_general_kernelILj256ELj64EllfdddEEvbbT2_NS_24const_host_device_scalarIT6_EEPKT1_S7_PKS1_PKT3_PKT4_PT5_21rocsparse_index_base_b
; %bb.0:
	s_load_dwordx2 s[2:3], s[4:5], 0x48
	s_load_dwordx8 s[8:15], s[4:5], 0x8
	s_waitcnt lgkmcnt(0)
	s_bitcmp1_b32 s3, 0
	s_cselect_b64 s[0:1], -1, 0
	s_and_b64 vcc, exec, s[0:1]
	v_pk_mov_b32 v[4:5], s[10:11], s[10:11] op_sel:[0,1]
	s_cbranch_vccnz .LBB329_2
; %bb.1:
	v_pk_mov_b32 v[2:3], s[10:11], s[10:11] op_sel:[0,1]
	flat_load_dwordx2 v[4:5], v[2:3]
.LBB329_2:
	s_waitcnt vmcnt(0) lgkmcnt(0)
	v_cmp_neq_f64_e32 vcc, 0, v[4:5]
	s_and_saveexec_b64 s[0:1], vcc
	s_cbranch_execz .LBB329_23
; %bb.3:
	s_load_dword s0, s[4:5], 0x0
	s_load_dword s1, s[4:5], 0x50
	s_load_dwordx8 s[16:23], s[4:5], 0x28
	v_and_b32_e32 v20, 63, v0
	v_lshl_or_b32 v0, s6, 8, v0
	s_waitcnt lgkmcnt(0)
	s_and_b32 s0, s0, 1
	s_lshl_b32 s3, s1, 2
	v_lshrrev_b32_e32 v6, 6, v0
	v_mov_b32_e32 v7, 0
	s_cmp_eq_u32 s0, 0
	v_cmp_gt_i64_e64 s[0:1], s[8:9], v[6:7]
	s_mov_b64 s[4:5], -1
	s_cbranch_scc0 .LBB329_13
; %bb.4:
	s_and_saveexec_b64 s[4:5], s[0:1]
	s_cbranch_execz .LBB329_12
; %bb.5:
	v_subrev_co_u32_e32 v21, vcc, s2, v20
	s_mov_b32 s10, 0
	v_subb_co_u32_e64 v22, s[6:7], 0, 0, vcc
	s_mov_b64 s[6:7], 0
	v_mov_b32_e32 v23, s13
	v_mov_b32_e32 v24, s15
	;; [unrolled: 1-line block ×3, first 2 shown]
	v_pk_mov_b32 v[8:9], v[6:7], v[6:7] op_sel:[0,1]
	s_branch .LBB329_7
.LBB329_6:                              ;   in Loop: Header=BB329_7 Depth=1
	s_or_b64 exec, exec, s[10:11]
	v_add_co_u32_e32 v8, vcc, s3, v8
	v_addc_co_u32_e32 v9, vcc, 0, v9, vcc
	v_cmp_le_i64_e32 vcc, s[8:9], v[8:9]
	s_or_b64 s[6:7], vcc, s[6:7]
	s_andn2_b64 exec, exec, s[6:7]
	s_cbranch_execz .LBB329_12
.LBB329_7:                              ; =>This Loop Header: Depth=1
                                        ;     Child Loop BB329_9 Depth 2
                                        ;       Child Loop BB329_10 Depth 3
	v_lshlrev_b64 v[0:1], 3, v[8:9]
	v_add_co_u32_e32 v2, vcc, s14, v0
	v_addc_co_u32_e32 v3, vcc, v24, v1, vcc
	global_load_dwordx2 v[2:3], v[2:3], off
	v_add_co_u32_e32 v10, vcc, s12, v0
	v_addc_co_u32_e32 v11, vcc, v23, v1, vcc
	global_load_dwordx2 v[12:13], v[10:11], off
	s_waitcnt vmcnt(1)
	v_subrev_co_u32_e32 v10, vcc, s2, v2
	v_subb_co_u32_e32 v11, vcc, v3, v25, vcc
	s_waitcnt vmcnt(0)
	v_add_co_u32_e32 v12, vcc, v12, v21
	v_addc_co_u32_e32 v13, vcc, v13, v22, vcc
	v_cmp_lt_i64_e32 vcc, v[12:13], v[10:11]
	s_and_saveexec_b64 s[10:11], vcc
	s_cbranch_execz .LBB329_6
; %bb.8:                                ;   in Loop: Header=BB329_7 Depth=1
	v_mov_b32_e32 v2, s21
	v_add_co_u32_e32 v0, vcc, s20, v0
	v_addc_co_u32_e32 v1, vcc, v2, v1, vcc
	global_load_dwordx2 v[0:1], v[0:1], off
	s_mov_b64 s[24:25], 0
	s_waitcnt vmcnt(0)
	v_mul_f64 v[14:15], v[4:5], v[0:1]
.LBB329_9:                              ;   Parent Loop BB329_7 Depth=1
                                        ; =>  This Loop Header: Depth=2
                                        ;       Child Loop BB329_10 Depth 3
	v_lshlrev_b64 v[0:1], 3, v[12:13]
	v_mov_b32_e32 v2, s17
	v_add_co_u32_e32 v0, vcc, s16, v0
	v_addc_co_u32_e32 v1, vcc, v2, v1, vcc
	global_load_dwordx2 v[0:1], v[0:1], off
	v_lshlrev_b64 v[2:3], 2, v[12:13]
	v_mov_b32_e32 v16, s19
	v_add_co_u32_e32 v2, vcc, s18, v2
	v_addc_co_u32_e32 v3, vcc, v16, v3, vcc
	v_mov_b32_e32 v17, s23
	global_load_dword v18, v[2:3], off
	s_mov_b64 s[26:27], 0
	s_waitcnt vmcnt(1)
	v_subrev_co_u32_e32 v0, vcc, s2, v0
	v_subb_co_u32_e32 v1, vcc, v1, v25, vcc
	v_lshlrev_b64 v[0:1], 3, v[0:1]
	v_add_co_u32_e32 v16, vcc, s22, v0
	v_addc_co_u32_e32 v17, vcc, v17, v1, vcc
	global_load_dwordx2 v[2:3], v[16:17], off
	s_waitcnt vmcnt(1)
	v_cvt_f64_f32_e32 v[0:1], v18
	v_mul_f64 v[18:19], v[14:15], v[0:1]
.LBB329_10:                             ;   Parent Loop BB329_7 Depth=1
                                        ;     Parent Loop BB329_9 Depth=2
                                        ; =>    This Inner Loop Header: Depth=3
	s_waitcnt vmcnt(0)
	v_add_f64 v[0:1], v[2:3], v[18:19]
	global_atomic_cmpswap_x2 v[0:1], v[16:17], v[0:3], off glc
	s_waitcnt vmcnt(0)
	v_cmp_eq_u64_e32 vcc, v[0:1], v[2:3]
	s_or_b64 s[26:27], vcc, s[26:27]
	v_pk_mov_b32 v[2:3], v[0:1], v[0:1] op_sel:[0,1]
	s_andn2_b64 exec, exec, s[26:27]
	s_cbranch_execnz .LBB329_10
; %bb.11:                               ;   in Loop: Header=BB329_9 Depth=2
	s_or_b64 exec, exec, s[26:27]
	v_add_co_u32_e32 v12, vcc, 64, v12
	v_addc_co_u32_e32 v13, vcc, 0, v13, vcc
	v_cmp_ge_i64_e32 vcc, v[12:13], v[10:11]
	s_or_b64 s[24:25], vcc, s[24:25]
	s_andn2_b64 exec, exec, s[24:25]
	s_cbranch_execnz .LBB329_9
	s_branch .LBB329_6
.LBB329_12:
	s_or_b64 exec, exec, s[4:5]
	s_mov_b64 s[4:5], 0
.LBB329_13:
	s_andn2_b64 vcc, exec, s[4:5]
	s_cbranch_vccnz .LBB329_23
; %bb.14:
	s_and_b64 exec, exec, s[0:1]
	s_cbranch_execz .LBB329_23
; %bb.15:
	v_subrev_co_u32_e32 v18, vcc, s2, v20
	s_mov_b32 s4, 0
	v_subb_co_u32_e64 v19, s[0:1], 0, 0, vcc
	s_mov_b64 s[0:1], 0
	v_mov_b32_e32 v20, s13
	v_mov_b32_e32 v21, s15
	;; [unrolled: 1-line block ×3, first 2 shown]
	s_branch .LBB329_17
.LBB329_16:                             ;   in Loop: Header=BB329_17 Depth=1
	s_or_b64 exec, exec, s[4:5]
	v_add_co_u32_e32 v6, vcc, s3, v6
	v_addc_co_u32_e32 v7, vcc, 0, v7, vcc
	v_cmp_le_i64_e32 vcc, s[8:9], v[6:7]
	s_or_b64 s[0:1], vcc, s[0:1]
	s_andn2_b64 exec, exec, s[0:1]
	s_cbranch_execz .LBB329_23
.LBB329_17:                             ; =>This Loop Header: Depth=1
                                        ;     Child Loop BB329_20 Depth 2
                                        ;       Child Loop BB329_22 Depth 3
	v_lshlrev_b64 v[0:1], 3, v[6:7]
	v_add_co_u32_e32 v2, vcc, s14, v0
	v_addc_co_u32_e32 v3, vcc, v21, v1, vcc
	global_load_dwordx2 v[2:3], v[2:3], off
	v_add_co_u32_e32 v8, vcc, s12, v0
	v_addc_co_u32_e32 v9, vcc, v20, v1, vcc
	global_load_dwordx2 v[10:11], v[8:9], off
	s_waitcnt vmcnt(1)
	v_subrev_co_u32_e32 v8, vcc, s2, v2
	v_subb_co_u32_e32 v9, vcc, v3, v22, vcc
	s_waitcnt vmcnt(0)
	v_add_co_u32_e32 v10, vcc, v10, v18
	v_addc_co_u32_e32 v11, vcc, v11, v19, vcc
	v_cmp_lt_i64_e32 vcc, v[10:11], v[8:9]
	s_and_saveexec_b64 s[4:5], vcc
	s_cbranch_execz .LBB329_16
; %bb.18:                               ;   in Loop: Header=BB329_17 Depth=1
	v_mov_b32_e32 v2, s21
	v_add_co_u32_e32 v0, vcc, s20, v0
	v_addc_co_u32_e32 v1, vcc, v2, v1, vcc
	global_load_dwordx2 v[0:1], v[0:1], off
	s_mov_b64 s[6:7], 0
	s_waitcnt vmcnt(0)
	v_mul_f64 v[12:13], v[4:5], v[0:1]
	s_branch .LBB329_20
.LBB329_19:                             ;   in Loop: Header=BB329_20 Depth=2
	s_or_b64 exec, exec, s[10:11]
	v_add_co_u32_e32 v10, vcc, 64, v10
	v_addc_co_u32_e32 v11, vcc, 0, v11, vcc
	v_cmp_ge_i64_e32 vcc, v[10:11], v[8:9]
	s_or_b64 s[6:7], vcc, s[6:7]
	s_andn2_b64 exec, exec, s[6:7]
	s_cbranch_execz .LBB329_16
.LBB329_20:                             ;   Parent Loop BB329_17 Depth=1
                                        ; =>  This Loop Header: Depth=2
                                        ;       Child Loop BB329_22 Depth 3
	v_lshlrev_b64 v[0:1], 3, v[10:11]
	v_mov_b32_e32 v2, s17
	v_add_co_u32_e32 v0, vcc, s16, v0
	v_addc_co_u32_e32 v1, vcc, v2, v1, vcc
	global_load_dwordx2 v[0:1], v[0:1], off
	s_waitcnt vmcnt(0)
	v_subrev_co_u32_e32 v0, vcc, s2, v0
	v_subb_co_u32_e32 v1, vcc, v1, v22, vcc
	v_cmp_ne_u64_e32 vcc, v[0:1], v[6:7]
	s_and_saveexec_b64 s[10:11], vcc
	s_cbranch_execz .LBB329_19
; %bb.21:                               ;   in Loop: Header=BB329_20 Depth=2
	v_lshlrev_b64 v[2:3], 2, v[10:11]
	v_mov_b32_e32 v14, s19
	v_add_co_u32_e32 v2, vcc, s18, v2
	v_addc_co_u32_e32 v3, vcc, v14, v3, vcc
	v_lshlrev_b64 v[0:1], 3, v[0:1]
	v_mov_b32_e32 v15, s23
	global_load_dword v16, v[2:3], off
	v_add_co_u32_e32 v14, vcc, s22, v0
	v_addc_co_u32_e32 v15, vcc, v15, v1, vcc
	global_load_dwordx2 v[2:3], v[14:15], off
	s_mov_b64 s[24:25], 0
	s_waitcnt vmcnt(1)
	v_cvt_f64_f32_e32 v[0:1], v16
	v_mul_f64 v[16:17], v[12:13], v[0:1]
.LBB329_22:                             ;   Parent Loop BB329_17 Depth=1
                                        ;     Parent Loop BB329_20 Depth=2
                                        ; =>    This Inner Loop Header: Depth=3
	s_waitcnt vmcnt(0)
	v_add_f64 v[0:1], v[2:3], v[16:17]
	global_atomic_cmpswap_x2 v[0:1], v[14:15], v[0:3], off glc
	s_waitcnt vmcnt(0)
	v_cmp_eq_u64_e32 vcc, v[0:1], v[2:3]
	s_or_b64 s[24:25], vcc, s[24:25]
	v_pk_mov_b32 v[2:3], v[0:1], v[0:1] op_sel:[0,1]
	s_andn2_b64 exec, exec, s[24:25]
	s_cbranch_execnz .LBB329_22
	s_branch .LBB329_19
.LBB329_23:
	s_endpgm
	.section	.rodata,"a",@progbits
	.p2align	6, 0x0
	.amdhsa_kernel _ZN9rocsparseL21csrmvt_general_kernelILj256ELj64EllfdddEEvbbT2_NS_24const_host_device_scalarIT6_EEPKT1_S7_PKS1_PKT3_PKT4_PT5_21rocsparse_index_base_b
		.amdhsa_group_segment_fixed_size 0
		.amdhsa_private_segment_fixed_size 0
		.amdhsa_kernarg_size 336
		.amdhsa_user_sgpr_count 6
		.amdhsa_user_sgpr_private_segment_buffer 1
		.amdhsa_user_sgpr_dispatch_ptr 0
		.amdhsa_user_sgpr_queue_ptr 0
		.amdhsa_user_sgpr_kernarg_segment_ptr 1
		.amdhsa_user_sgpr_dispatch_id 0
		.amdhsa_user_sgpr_flat_scratch_init 0
		.amdhsa_user_sgpr_kernarg_preload_length 0
		.amdhsa_user_sgpr_kernarg_preload_offset 0
		.amdhsa_user_sgpr_private_segment_size 0
		.amdhsa_uses_dynamic_stack 0
		.amdhsa_system_sgpr_private_segment_wavefront_offset 0
		.amdhsa_system_sgpr_workgroup_id_x 1
		.amdhsa_system_sgpr_workgroup_id_y 0
		.amdhsa_system_sgpr_workgroup_id_z 0
		.amdhsa_system_sgpr_workgroup_info 0
		.amdhsa_system_vgpr_workitem_id 0
		.amdhsa_next_free_vgpr 26
		.amdhsa_next_free_sgpr 28
		.amdhsa_accum_offset 28
		.amdhsa_reserve_vcc 1
		.amdhsa_reserve_flat_scratch 0
		.amdhsa_float_round_mode_32 0
		.amdhsa_float_round_mode_16_64 0
		.amdhsa_float_denorm_mode_32 3
		.amdhsa_float_denorm_mode_16_64 3
		.amdhsa_dx10_clamp 1
		.amdhsa_ieee_mode 1
		.amdhsa_fp16_overflow 0
		.amdhsa_tg_split 0
		.amdhsa_exception_fp_ieee_invalid_op 0
		.amdhsa_exception_fp_denorm_src 0
		.amdhsa_exception_fp_ieee_div_zero 0
		.amdhsa_exception_fp_ieee_overflow 0
		.amdhsa_exception_fp_ieee_underflow 0
		.amdhsa_exception_fp_ieee_inexact 0
		.amdhsa_exception_int_div_zero 0
	.end_amdhsa_kernel
	.section	.text._ZN9rocsparseL21csrmvt_general_kernelILj256ELj64EllfdddEEvbbT2_NS_24const_host_device_scalarIT6_EEPKT1_S7_PKS1_PKT3_PKT4_PT5_21rocsparse_index_base_b,"axG",@progbits,_ZN9rocsparseL21csrmvt_general_kernelILj256ELj64EllfdddEEvbbT2_NS_24const_host_device_scalarIT6_EEPKT1_S7_PKS1_PKT3_PKT4_PT5_21rocsparse_index_base_b,comdat
.Lfunc_end329:
	.size	_ZN9rocsparseL21csrmvt_general_kernelILj256ELj64EllfdddEEvbbT2_NS_24const_host_device_scalarIT6_EEPKT1_S7_PKS1_PKT3_PKT4_PT5_21rocsparse_index_base_b, .Lfunc_end329-_ZN9rocsparseL21csrmvt_general_kernelILj256ELj64EllfdddEEvbbT2_NS_24const_host_device_scalarIT6_EEPKT1_S7_PKS1_PKT3_PKT4_PT5_21rocsparse_index_base_b
                                        ; -- End function
	.section	.AMDGPU.csdata,"",@progbits
; Kernel info:
; codeLenInByte = 956
; NumSgprs: 32
; NumVgprs: 26
; NumAgprs: 0
; TotalNumVgprs: 26
; ScratchSize: 0
; MemoryBound: 0
; FloatMode: 240
; IeeeMode: 1
; LDSByteSize: 0 bytes/workgroup (compile time only)
; SGPRBlocks: 3
; VGPRBlocks: 3
; NumSGPRsForWavesPerEU: 32
; NumVGPRsForWavesPerEU: 26
; AccumOffset: 28
; Occupancy: 8
; WaveLimiterHint : 1
; COMPUTE_PGM_RSRC2:SCRATCH_EN: 0
; COMPUTE_PGM_RSRC2:USER_SGPR: 6
; COMPUTE_PGM_RSRC2:TRAP_HANDLER: 0
; COMPUTE_PGM_RSRC2:TGID_X_EN: 1
; COMPUTE_PGM_RSRC2:TGID_Y_EN: 0
; COMPUTE_PGM_RSRC2:TGID_Z_EN: 0
; COMPUTE_PGM_RSRC2:TIDIG_COMP_CNT: 0
; COMPUTE_PGM_RSRC3_GFX90A:ACCUM_OFFSET: 6
; COMPUTE_PGM_RSRC3_GFX90A:TG_SPLIT: 0
	.section	.text._ZN9rocsparseL21csrmvn_general_kernelILj256ELj2Eiid21rocsparse_complex_numIdES2_S2_EEvbT2_NS_24const_host_device_scalarIT6_EEPKT1_S9_PKS3_PKT3_PKT4_S6_PT5_21rocsparse_index_base_b,"axG",@progbits,_ZN9rocsparseL21csrmvn_general_kernelILj256ELj2Eiid21rocsparse_complex_numIdES2_S2_EEvbT2_NS_24const_host_device_scalarIT6_EEPKT1_S9_PKS3_PKT3_PKT4_S6_PT5_21rocsparse_index_base_b,comdat
	.globl	_ZN9rocsparseL21csrmvn_general_kernelILj256ELj2Eiid21rocsparse_complex_numIdES2_S2_EEvbT2_NS_24const_host_device_scalarIT6_EEPKT1_S9_PKS3_PKT3_PKT4_S6_PT5_21rocsparse_index_base_b ; -- Begin function _ZN9rocsparseL21csrmvn_general_kernelILj256ELj2Eiid21rocsparse_complex_numIdES2_S2_EEvbT2_NS_24const_host_device_scalarIT6_EEPKT1_S9_PKS3_PKT3_PKT4_S6_PT5_21rocsparse_index_base_b
	.p2align	8
	.type	_ZN9rocsparseL21csrmvn_general_kernelILj256ELj2Eiid21rocsparse_complex_numIdES2_S2_EEvbT2_NS_24const_host_device_scalarIT6_EEPKT1_S9_PKS3_PKT3_PKT4_S6_PT5_21rocsparse_index_base_b,@function
_ZN9rocsparseL21csrmvn_general_kernelILj256ELj2Eiid21rocsparse_complex_numIdES2_S2_EEvbT2_NS_24const_host_device_scalarIT6_EEPKT1_S9_PKS3_PKT3_PKT4_S6_PT5_21rocsparse_index_base_b: ; @_ZN9rocsparseL21csrmvn_general_kernelILj256ELj2Eiid21rocsparse_complex_numIdES2_S2_EEvbT2_NS_24const_host_device_scalarIT6_EEPKT1_S9_PKS3_PKT3_PKT4_S6_PT5_21rocsparse_index_base_b
; %bb.0:
	s_load_dwordx2 s[24:25], s[6:7], 0x58
	s_load_dwordx8 s[12:19], s[6:7], 0x8
	s_load_dwordx4 s[20:23], s[6:7], 0x40
	s_mov_b64 s[2:3], src_shared_base
	s_load_dwordx2 s[4:5], s[4:5], 0x4
	s_waitcnt lgkmcnt(0)
	s_bitcmp1_b32 s25, 0
	s_cselect_b64 s[0:1], -1, 0
	s_and_b64 vcc, s[0:1], exec
	s_cselect_b32 s2, s3, s13
	s_lshr_b32 s4, s4, 16
	v_and_b32_e32 v1, 0x3ff, v0
	s_mul_i32 s4, s4, s5
	v_mul_lo_u32 v2, s4, v1
	v_bfe_u32 v3, v0, 10, 10
	v_mad_u32_u24 v2, v3, s5, v2
	v_bfe_u32 v0, v0, 20, 10
	v_add_lshl_u32 v0, v2, v0, 3
	v_mov_b32_e32 v6, s12
	v_add_u32_e32 v7, 0x800, v0
	v_pk_mov_b32 v[2:3], s[12:13], s[12:13] op_sel:[0,1]
	v_pk_mov_b32 v[4:5], s[20:21], s[20:21] op_sel:[0,1]
	ds_write2st64_b64 v0, v[4:5], v[2:3] offset1:4
	v_cndmask_b32_e64 v2, v6, v7, s[0:1]
	v_mov_b32_e32 v3, s2
	flat_load_dwordx2 v[4:5], v[2:3]
	s_xor_b64 s[4:5], s[0:1], -1
	v_pk_mov_b32 v[6:7], s[14:15], s[14:15] op_sel:[0,1]
	s_cbranch_vccnz .LBB330_2
; %bb.1:
	v_pk_mov_b32 v[2:3], s[12:13], s[12:13] op_sel:[0,1]
	flat_load_dwordx2 v[6:7], v[2:3] offset:8
.LBB330_2:
	s_and_b64 s[10:11], s[0:1], exec
	s_cselect_b32 s2, s3, s21
	v_mov_b32_e32 v2, s20
	v_cndmask_b32_e64 v2, v2, v0, s[0:1]
	v_mov_b32_e32 v3, s2
	flat_load_dwordx2 v[8:9], v[2:3]
	s_andn2_b64 vcc, exec, s[4:5]
	v_pk_mov_b32 v[10:11], s[22:23], s[22:23] op_sel:[0,1]
	s_cbranch_vccnz .LBB330_4
; %bb.3:
	v_pk_mov_b32 v[2:3], s[20:21], s[20:21] op_sel:[0,1]
	flat_load_dwordx2 v[10:11], v[2:3] offset:8
.LBB330_4:
	s_waitcnt vmcnt(0) lgkmcnt(0)
	v_cmp_eq_f64_e32 vcc, 0, v[4:5]
	v_cmp_eq_f64_e64 s[0:1], 0, v[6:7]
	s_and_b64 s[4:5], vcc, s[0:1]
	s_mov_b64 s[0:1], -1
	s_and_saveexec_b64 s[2:3], s[4:5]
; %bb.5:
	v_cmp_neq_f64_e32 vcc, 1.0, v[8:9]
	v_cmp_neq_f64_e64 s[0:1], 0, v[10:11]
	s_or_b64 s[0:1], vcc, s[0:1]
	s_orn2_b64 s[0:1], s[0:1], exec
; %bb.6:
	s_or_b64 exec, exec, s[2:3]
	s_and_saveexec_b64 s[2:3], s[0:1]
	s_cbranch_execz .LBB330_18
; %bb.7:
	s_load_dword s20, s[6:7], 0x4
	v_lshl_or_b32 v0, s8, 8, v1
	v_lshrrev_b32_e32 v12, 1, v0
	s_waitcnt lgkmcnt(0)
	v_cmp_gt_i32_e32 vcc, s20, v12
	s_and_b64 exec, exec, vcc
	s_cbranch_execz .LBB330_18
; %bb.8:
	s_load_dword s2, s[6:7], 0x60
	s_load_dwordx2 s[4:5], s[6:7], 0x50
	s_load_dwordx4 s[8:11], s[6:7], 0x28
	s_load_dwordx2 s[0:1], s[6:7], 0x38
	s_ashr_i32 s25, s24, 31
	s_waitcnt lgkmcnt(0)
	s_lshl_b32 s21, s2, 7
	s_mov_b32 s2, 0
	s_brev_b32 s3, 1
	v_mul_f64 v[14:15], v[6:7], s[2:3]
	s_lshl_b64 s[2:3], s[24:25], 4
	s_sub_u32 s22, s0, s2
	v_and_b32_e32 v0, 1, v1
	s_subb_u32 s23, s1, s3
	v_cmp_neq_f64_e64 s[0:1], 0, v[8:9]
	v_cmp_neq_f64_e64 s[2:3], 0, v[10:11]
	v_subrev_u32_e32 v22, s24, v0
	s_mov_b64 s[6:7], 0
	v_mul_f64 v[16:17], v[4:5], 0
	v_cmp_eq_u32_e32 vcc, 1, v0
	s_or_b64 s[2:3], s[0:1], s[2:3]
	v_mov_b32_e32 v23, s17
	v_mov_b32_e32 v24, s19
	s_branch .LBB330_11
.LBB330_9:                              ;   in Loop: Header=BB330_11 Depth=1
	s_or_b64 exec, exec, s[0:1]
	global_store_dwordx4 v[18:19], v[0:3], off
.LBB330_10:                             ;   in Loop: Header=BB330_11 Depth=1
	s_or_b64 exec, exec, s[12:13]
	v_add_u32_e32 v12, s21, v12
	v_cmp_le_i32_e64 s[0:1], s20, v12
	s_or_b64 s[6:7], s[0:1], s[6:7]
	s_andn2_b64 exec, exec, s[6:7]
	s_cbranch_execz .LBB330_18
.LBB330_11:                             ; =>This Loop Header: Depth=1
                                        ;     Child Loop BB330_13 Depth 2
	v_ashrrev_i32_e32 v13, 31, v12
	v_lshlrev_b64 v[0:1], 2, v[12:13]
	v_add_co_u32_e64 v2, s[0:1], s16, v0
	v_addc_co_u32_e64 v3, s[0:1], v23, v1, s[0:1]
	v_add_co_u32_e64 v0, s[0:1], s18, v0
	v_addc_co_u32_e64 v1, s[0:1], v24, v1, s[0:1]
	global_load_dword v18, v[0:1], off
	global_load_dword v19, v[2:3], off
	v_pk_mov_b32 v[2:3], 0, 0
	v_pk_mov_b32 v[0:1], v[2:3], v[2:3] op_sel:[0,1]
	s_waitcnt vmcnt(1)
	v_subrev_u32_e32 v20, s24, v18
	s_waitcnt vmcnt(0)
	v_add_u32_e32 v18, v19, v22
	v_cmp_lt_i32_e64 s[0:1], v18, v20
	s_and_saveexec_b64 s[12:13], s[0:1]
	s_cbranch_execz .LBB330_15
; %bb.12:                               ;   in Loop: Header=BB330_11 Depth=1
	v_pk_mov_b32 v[2:3], 0, 0
	s_mov_b64 s[14:15], 0
	v_pk_mov_b32 v[0:1], v[2:3], v[2:3] op_sel:[0,1]
.LBB330_13:                             ;   Parent Loop BB330_11 Depth=1
                                        ; =>  This Inner Loop Header: Depth=2
	v_ashrrev_i32_e32 v19, 31, v18
	v_lshlrev_b64 v[26:27], 2, v[18:19]
	v_mov_b32_e32 v21, s9
	v_add_co_u32_e64 v26, s[0:1], s8, v26
	v_addc_co_u32_e64 v27, s[0:1], v21, v27, s[0:1]
	global_load_dword v26, v[26:27], off
	v_lshlrev_b64 v[28:29], 3, v[18:19]
	v_mov_b32_e32 v21, s11
	v_add_co_u32_e64 v28, s[0:1], s10, v28
	v_addc_co_u32_e64 v29, s[0:1], v21, v29, s[0:1]
	v_mov_b32_e32 v25, s23
	global_load_dwordx2 v[30:31], v[28:29], off
	v_add_u32_e32 v18, 2, v18
	s_waitcnt vmcnt(1)
	v_ashrrev_i32_e32 v27, 31, v26
	v_lshlrev_b64 v[26:27], 4, v[26:27]
	v_add_co_u32_e64 v26, s[0:1], s22, v26
	v_addc_co_u32_e64 v27, s[0:1], v25, v27, s[0:1]
	global_load_dwordx4 v[26:29], v[26:27], off
	v_cmp_ge_i32_e64 s[0:1], v18, v20
	s_waitcnt vmcnt(1)
	v_fma_f64 v[32:33], v[4:5], v[30:31], v[14:15]
	v_fma_f64 v[30:31], v[6:7], v[30:31], v[16:17]
	s_or_b64 s[14:15], s[0:1], s[14:15]
	s_waitcnt vmcnt(0)
	v_fmac_f64_e32 v[0:1], v[32:33], v[26:27]
	v_fmac_f64_e32 v[2:3], v[30:31], v[26:27]
	v_fma_f64 v[0:1], -v[30:31], v[28:29], v[0:1]
	v_fmac_f64_e32 v[2:3], v[32:33], v[28:29]
	s_andn2_b64 exec, exec, s[14:15]
	s_cbranch_execnz .LBB330_13
; %bb.14:                               ;   in Loop: Header=BB330_11 Depth=1
	s_or_b64 exec, exec, s[14:15]
.LBB330_15:                             ;   in Loop: Header=BB330_11 Depth=1
	s_or_b64 exec, exec, s[12:13]
	v_mov_b32_dpp v20, v0 row_shr:1 row_mask:0xf bank_mask:0xf
	v_mov_b32_dpp v21, v1 row_shr:1 row_mask:0xf bank_mask:0xf
	;; [unrolled: 1-line block ×4, first 2 shown]
	s_and_saveexec_b64 s[12:13], vcc
	s_cbranch_execz .LBB330_10
; %bb.16:                               ;   in Loop: Header=BB330_11 Depth=1
	v_add_f64 v[2:3], v[2:3], v[18:19]
	v_lshlrev_b64 v[18:19], 4, v[12:13]
	v_mov_b32_e32 v13, s5
	v_add_co_u32_e64 v18, s[0:1], s4, v18
	v_add_f64 v[0:1], v[0:1], v[20:21]
	v_addc_co_u32_e64 v19, s[0:1], v13, v19, s[0:1]
	s_and_saveexec_b64 s[0:1], s[2:3]
	s_cbranch_execz .LBB330_9
; %bb.17:                               ;   in Loop: Header=BB330_11 Depth=1
	global_load_dwordx4 v[26:29], v[18:19], off
	s_waitcnt vmcnt(0)
	v_fmac_f64_e32 v[0:1], v[8:9], v[26:27]
	v_fmac_f64_e32 v[2:3], v[10:11], v[26:27]
	v_fma_f64 v[0:1], -v[10:11], v[28:29], v[0:1]
	v_fmac_f64_e32 v[2:3], v[8:9], v[28:29]
	s_branch .LBB330_9
.LBB330_18:
	s_endpgm
	.section	.rodata,"a",@progbits
	.p2align	6, 0x0
	.amdhsa_kernel _ZN9rocsparseL21csrmvn_general_kernelILj256ELj2Eiid21rocsparse_complex_numIdES2_S2_EEvbT2_NS_24const_host_device_scalarIT6_EEPKT1_S9_PKS3_PKT3_PKT4_S6_PT5_21rocsparse_index_base_b
		.amdhsa_group_segment_fixed_size 4096
		.amdhsa_private_segment_fixed_size 0
		.amdhsa_kernarg_size 352
		.amdhsa_user_sgpr_count 8
		.amdhsa_user_sgpr_private_segment_buffer 1
		.amdhsa_user_sgpr_dispatch_ptr 1
		.amdhsa_user_sgpr_queue_ptr 0
		.amdhsa_user_sgpr_kernarg_segment_ptr 1
		.amdhsa_user_sgpr_dispatch_id 0
		.amdhsa_user_sgpr_flat_scratch_init 0
		.amdhsa_user_sgpr_kernarg_preload_length 0
		.amdhsa_user_sgpr_kernarg_preload_offset 0
		.amdhsa_user_sgpr_private_segment_size 0
		.amdhsa_uses_dynamic_stack 0
		.amdhsa_system_sgpr_private_segment_wavefront_offset 0
		.amdhsa_system_sgpr_workgroup_id_x 1
		.amdhsa_system_sgpr_workgroup_id_y 0
		.amdhsa_system_sgpr_workgroup_id_z 0
		.amdhsa_system_sgpr_workgroup_info 0
		.amdhsa_system_vgpr_workitem_id 2
		.amdhsa_next_free_vgpr 34
		.amdhsa_next_free_sgpr 26
		.amdhsa_accum_offset 36
		.amdhsa_reserve_vcc 1
		.amdhsa_reserve_flat_scratch 0
		.amdhsa_float_round_mode_32 0
		.amdhsa_float_round_mode_16_64 0
		.amdhsa_float_denorm_mode_32 3
		.amdhsa_float_denorm_mode_16_64 3
		.amdhsa_dx10_clamp 1
		.amdhsa_ieee_mode 1
		.amdhsa_fp16_overflow 0
		.amdhsa_tg_split 0
		.amdhsa_exception_fp_ieee_invalid_op 0
		.amdhsa_exception_fp_denorm_src 0
		.amdhsa_exception_fp_ieee_div_zero 0
		.amdhsa_exception_fp_ieee_overflow 0
		.amdhsa_exception_fp_ieee_underflow 0
		.amdhsa_exception_fp_ieee_inexact 0
		.amdhsa_exception_int_div_zero 0
	.end_amdhsa_kernel
	.section	.text._ZN9rocsparseL21csrmvn_general_kernelILj256ELj2Eiid21rocsparse_complex_numIdES2_S2_EEvbT2_NS_24const_host_device_scalarIT6_EEPKT1_S9_PKS3_PKT3_PKT4_S6_PT5_21rocsparse_index_base_b,"axG",@progbits,_ZN9rocsparseL21csrmvn_general_kernelILj256ELj2Eiid21rocsparse_complex_numIdES2_S2_EEvbT2_NS_24const_host_device_scalarIT6_EEPKT1_S9_PKS3_PKT3_PKT4_S6_PT5_21rocsparse_index_base_b,comdat
.Lfunc_end330:
	.size	_ZN9rocsparseL21csrmvn_general_kernelILj256ELj2Eiid21rocsparse_complex_numIdES2_S2_EEvbT2_NS_24const_host_device_scalarIT6_EEPKT1_S9_PKS3_PKT3_PKT4_S6_PT5_21rocsparse_index_base_b, .Lfunc_end330-_ZN9rocsparseL21csrmvn_general_kernelILj256ELj2Eiid21rocsparse_complex_numIdES2_S2_EEvbT2_NS_24const_host_device_scalarIT6_EEPKT1_S9_PKS3_PKT3_PKT4_S6_PT5_21rocsparse_index_base_b
                                        ; -- End function
	.section	.AMDGPU.csdata,"",@progbits
; Kernel info:
; codeLenInByte = 984
; NumSgprs: 30
; NumVgprs: 34
; NumAgprs: 0
; TotalNumVgprs: 34
; ScratchSize: 0
; MemoryBound: 0
; FloatMode: 240
; IeeeMode: 1
; LDSByteSize: 4096 bytes/workgroup (compile time only)
; SGPRBlocks: 3
; VGPRBlocks: 4
; NumSGPRsForWavesPerEU: 30
; NumVGPRsForWavesPerEU: 34
; AccumOffset: 36
; Occupancy: 8
; WaveLimiterHint : 1
; COMPUTE_PGM_RSRC2:SCRATCH_EN: 0
; COMPUTE_PGM_RSRC2:USER_SGPR: 8
; COMPUTE_PGM_RSRC2:TRAP_HANDLER: 0
; COMPUTE_PGM_RSRC2:TGID_X_EN: 1
; COMPUTE_PGM_RSRC2:TGID_Y_EN: 0
; COMPUTE_PGM_RSRC2:TGID_Z_EN: 0
; COMPUTE_PGM_RSRC2:TIDIG_COMP_CNT: 2
; COMPUTE_PGM_RSRC3_GFX90A:ACCUM_OFFSET: 8
; COMPUTE_PGM_RSRC3_GFX90A:TG_SPLIT: 0
	.section	.text._ZN9rocsparseL21csrmvn_general_kernelILj256ELj4Eiid21rocsparse_complex_numIdES2_S2_EEvbT2_NS_24const_host_device_scalarIT6_EEPKT1_S9_PKS3_PKT3_PKT4_S6_PT5_21rocsparse_index_base_b,"axG",@progbits,_ZN9rocsparseL21csrmvn_general_kernelILj256ELj4Eiid21rocsparse_complex_numIdES2_S2_EEvbT2_NS_24const_host_device_scalarIT6_EEPKT1_S9_PKS3_PKT3_PKT4_S6_PT5_21rocsparse_index_base_b,comdat
	.globl	_ZN9rocsparseL21csrmvn_general_kernelILj256ELj4Eiid21rocsparse_complex_numIdES2_S2_EEvbT2_NS_24const_host_device_scalarIT6_EEPKT1_S9_PKS3_PKT3_PKT4_S6_PT5_21rocsparse_index_base_b ; -- Begin function _ZN9rocsparseL21csrmvn_general_kernelILj256ELj4Eiid21rocsparse_complex_numIdES2_S2_EEvbT2_NS_24const_host_device_scalarIT6_EEPKT1_S9_PKS3_PKT3_PKT4_S6_PT5_21rocsparse_index_base_b
	.p2align	8
	.type	_ZN9rocsparseL21csrmvn_general_kernelILj256ELj4Eiid21rocsparse_complex_numIdES2_S2_EEvbT2_NS_24const_host_device_scalarIT6_EEPKT1_S9_PKS3_PKT3_PKT4_S6_PT5_21rocsparse_index_base_b,@function
_ZN9rocsparseL21csrmvn_general_kernelILj256ELj4Eiid21rocsparse_complex_numIdES2_S2_EEvbT2_NS_24const_host_device_scalarIT6_EEPKT1_S9_PKS3_PKT3_PKT4_S6_PT5_21rocsparse_index_base_b: ; @_ZN9rocsparseL21csrmvn_general_kernelILj256ELj4Eiid21rocsparse_complex_numIdES2_S2_EEvbT2_NS_24const_host_device_scalarIT6_EEPKT1_S9_PKS3_PKT3_PKT4_S6_PT5_21rocsparse_index_base_b
; %bb.0:
	s_load_dwordx2 s[24:25], s[6:7], 0x58
	s_load_dwordx8 s[12:19], s[6:7], 0x8
	s_load_dwordx4 s[20:23], s[6:7], 0x40
	s_mov_b64 s[2:3], src_shared_base
	s_load_dwordx2 s[4:5], s[4:5], 0x4
	s_waitcnt lgkmcnt(0)
	s_bitcmp1_b32 s25, 0
	s_cselect_b64 s[0:1], -1, 0
	s_and_b64 vcc, s[0:1], exec
	s_cselect_b32 s2, s3, s13
	s_lshr_b32 s4, s4, 16
	v_and_b32_e32 v1, 0x3ff, v0
	s_mul_i32 s4, s4, s5
	v_mul_lo_u32 v2, s4, v1
	v_bfe_u32 v3, v0, 10, 10
	v_mad_u32_u24 v2, v3, s5, v2
	v_bfe_u32 v0, v0, 20, 10
	v_add_lshl_u32 v0, v2, v0, 3
	v_mov_b32_e32 v6, s12
	v_add_u32_e32 v7, 0x800, v0
	v_pk_mov_b32 v[2:3], s[12:13], s[12:13] op_sel:[0,1]
	v_pk_mov_b32 v[4:5], s[20:21], s[20:21] op_sel:[0,1]
	ds_write2st64_b64 v0, v[4:5], v[2:3] offset1:4
	v_cndmask_b32_e64 v2, v6, v7, s[0:1]
	v_mov_b32_e32 v3, s2
	flat_load_dwordx2 v[4:5], v[2:3]
	s_xor_b64 s[4:5], s[0:1], -1
	v_pk_mov_b32 v[6:7], s[14:15], s[14:15] op_sel:[0,1]
	s_cbranch_vccnz .LBB331_2
; %bb.1:
	v_pk_mov_b32 v[2:3], s[12:13], s[12:13] op_sel:[0,1]
	flat_load_dwordx2 v[6:7], v[2:3] offset:8
.LBB331_2:
	s_and_b64 s[10:11], s[0:1], exec
	s_cselect_b32 s2, s3, s21
	v_mov_b32_e32 v2, s20
	v_cndmask_b32_e64 v2, v2, v0, s[0:1]
	v_mov_b32_e32 v3, s2
	flat_load_dwordx2 v[8:9], v[2:3]
	s_andn2_b64 vcc, exec, s[4:5]
	v_pk_mov_b32 v[10:11], s[22:23], s[22:23] op_sel:[0,1]
	s_cbranch_vccnz .LBB331_4
; %bb.3:
	v_pk_mov_b32 v[2:3], s[20:21], s[20:21] op_sel:[0,1]
	flat_load_dwordx2 v[10:11], v[2:3] offset:8
.LBB331_4:
	s_waitcnt vmcnt(0) lgkmcnt(0)
	v_cmp_eq_f64_e32 vcc, 0, v[4:5]
	v_cmp_eq_f64_e64 s[0:1], 0, v[6:7]
	s_and_b64 s[4:5], vcc, s[0:1]
	s_mov_b64 s[0:1], -1
	s_and_saveexec_b64 s[2:3], s[4:5]
; %bb.5:
	v_cmp_neq_f64_e32 vcc, 1.0, v[8:9]
	v_cmp_neq_f64_e64 s[0:1], 0, v[10:11]
	s_or_b64 s[0:1], vcc, s[0:1]
	s_orn2_b64 s[0:1], s[0:1], exec
; %bb.6:
	s_or_b64 exec, exec, s[2:3]
	s_and_saveexec_b64 s[2:3], s[0:1]
	s_cbranch_execz .LBB331_18
; %bb.7:
	s_load_dword s20, s[6:7], 0x4
	v_lshl_or_b32 v0, s8, 8, v1
	v_lshrrev_b32_e32 v12, 2, v0
	s_waitcnt lgkmcnt(0)
	v_cmp_gt_i32_e32 vcc, s20, v12
	s_and_b64 exec, exec, vcc
	s_cbranch_execz .LBB331_18
; %bb.8:
	s_load_dword s2, s[6:7], 0x60
	s_load_dwordx2 s[4:5], s[6:7], 0x50
	s_load_dwordx4 s[8:11], s[6:7], 0x28
	s_load_dwordx2 s[0:1], s[6:7], 0x38
	s_ashr_i32 s25, s24, 31
	s_waitcnt lgkmcnt(0)
	s_lshl_b32 s21, s2, 6
	s_mov_b32 s2, 0
	s_brev_b32 s3, 1
	v_mul_f64 v[14:15], v[6:7], s[2:3]
	s_lshl_b64 s[2:3], s[24:25], 4
	s_sub_u32 s22, s0, s2
	v_and_b32_e32 v0, 3, v1
	s_subb_u32 s23, s1, s3
	v_cmp_neq_f64_e64 s[0:1], 0, v[8:9]
	v_cmp_neq_f64_e64 s[2:3], 0, v[10:11]
	v_subrev_u32_e32 v24, s24, v0
	s_mov_b64 s[6:7], 0
	v_mul_f64 v[16:17], v[4:5], 0
	v_cmp_eq_u32_e32 vcc, 3, v0
	s_or_b64 s[2:3], s[0:1], s[2:3]
	v_mov_b32_e32 v25, s17
	v_mov_b32_e32 v26, s19
	s_branch .LBB331_11
.LBB331_9:                              ;   in Loop: Header=BB331_11 Depth=1
	s_or_b64 exec, exec, s[0:1]
	global_store_dwordx4 v[18:19], v[0:3], off
.LBB331_10:                             ;   in Loop: Header=BB331_11 Depth=1
	s_or_b64 exec, exec, s[12:13]
	v_add_u32_e32 v12, s21, v12
	v_cmp_le_i32_e64 s[0:1], s20, v12
	s_or_b64 s[6:7], s[0:1], s[6:7]
	s_andn2_b64 exec, exec, s[6:7]
	s_cbranch_execz .LBB331_18
.LBB331_11:                             ; =>This Loop Header: Depth=1
                                        ;     Child Loop BB331_13 Depth 2
	v_ashrrev_i32_e32 v13, 31, v12
	v_lshlrev_b64 v[0:1], 2, v[12:13]
	v_add_co_u32_e64 v2, s[0:1], s16, v0
	v_addc_co_u32_e64 v3, s[0:1], v25, v1, s[0:1]
	v_add_co_u32_e64 v0, s[0:1], s18, v0
	v_addc_co_u32_e64 v1, s[0:1], v26, v1, s[0:1]
	global_load_dword v18, v[0:1], off
	global_load_dword v19, v[2:3], off
	v_pk_mov_b32 v[0:1], 0, 0
	v_pk_mov_b32 v[2:3], v[0:1], v[0:1] op_sel:[0,1]
	s_waitcnt vmcnt(1)
	v_subrev_u32_e32 v20, s24, v18
	s_waitcnt vmcnt(0)
	v_add_u32_e32 v18, v19, v24
	v_cmp_lt_i32_e64 s[0:1], v18, v20
	s_and_saveexec_b64 s[12:13], s[0:1]
	s_cbranch_execz .LBB331_15
; %bb.12:                               ;   in Loop: Header=BB331_11 Depth=1
	v_pk_mov_b32 v[0:1], 0, 0
	s_mov_b64 s[14:15], 0
	v_pk_mov_b32 v[2:3], v[0:1], v[0:1] op_sel:[0,1]
.LBB331_13:                             ;   Parent Loop BB331_11 Depth=1
                                        ; =>  This Inner Loop Header: Depth=2
	v_ashrrev_i32_e32 v19, 31, v18
	v_lshlrev_b64 v[22:23], 2, v[18:19]
	v_mov_b32_e32 v21, s9
	v_add_co_u32_e64 v22, s[0:1], s8, v22
	v_addc_co_u32_e64 v23, s[0:1], v21, v23, s[0:1]
	global_load_dword v22, v[22:23], off
	v_lshlrev_b64 v[28:29], 3, v[18:19]
	v_mov_b32_e32 v21, s11
	v_add_co_u32_e64 v28, s[0:1], s10, v28
	v_addc_co_u32_e64 v29, s[0:1], v21, v29, s[0:1]
	v_mov_b32_e32 v27, s23
	global_load_dwordx2 v[32:33], v[28:29], off
	v_add_u32_e32 v18, 4, v18
	s_waitcnt vmcnt(1)
	v_ashrrev_i32_e32 v23, 31, v22
	v_lshlrev_b64 v[22:23], 4, v[22:23]
	v_add_co_u32_e64 v22, s[0:1], s22, v22
	v_addc_co_u32_e64 v23, s[0:1], v27, v23, s[0:1]
	global_load_dwordx4 v[28:31], v[22:23], off
	v_cmp_ge_i32_e64 s[0:1], v18, v20
	s_waitcnt vmcnt(1)
	v_fma_f64 v[22:23], v[4:5], v[32:33], v[14:15]
	v_fma_f64 v[32:33], v[6:7], v[32:33], v[16:17]
	s_or_b64 s[14:15], s[0:1], s[14:15]
	s_waitcnt vmcnt(0)
	v_fmac_f64_e32 v[2:3], v[22:23], v[28:29]
	v_fmac_f64_e32 v[0:1], v[32:33], v[28:29]
	v_fma_f64 v[2:3], -v[32:33], v[30:31], v[2:3]
	v_fmac_f64_e32 v[0:1], v[22:23], v[30:31]
	s_andn2_b64 exec, exec, s[14:15]
	s_cbranch_execnz .LBB331_13
; %bb.14:                               ;   in Loop: Header=BB331_11 Depth=1
	s_or_b64 exec, exec, s[14:15]
.LBB331_15:                             ;   in Loop: Header=BB331_11 Depth=1
	s_or_b64 exec, exec, s[12:13]
	v_mov_b32_dpp v18, v2 row_shr:1 row_mask:0xf bank_mask:0xf
	v_mov_b32_dpp v19, v3 row_shr:1 row_mask:0xf bank_mask:0xf
	;; [unrolled: 1-line block ×4, first 2 shown]
	v_add_f64 v[2:3], v[2:3], v[18:19]
	v_add_f64 v[20:21], v[0:1], v[20:21]
	s_nop 0
	v_mov_b32_dpp v18, v2 row_shr:2 row_mask:0xf bank_mask:0xf
	v_mov_b32_dpp v19, v3 row_shr:2 row_mask:0xf bank_mask:0xf
	v_mov_b32_dpp v22, v20 row_shr:2 row_mask:0xf bank_mask:0xf
	v_mov_b32_dpp v23, v21 row_shr:2 row_mask:0xf bank_mask:0xf
	s_and_saveexec_b64 s[12:13], vcc
	s_cbranch_execz .LBB331_10
; %bb.16:                               ;   in Loop: Header=BB331_11 Depth=1
	v_add_f64 v[0:1], v[2:3], v[18:19]
	v_lshlrev_b64 v[18:19], 4, v[12:13]
	v_mov_b32_e32 v13, s5
	v_add_co_u32_e64 v18, s[0:1], s4, v18
	v_add_f64 v[2:3], v[20:21], v[22:23]
	v_addc_co_u32_e64 v19, s[0:1], v13, v19, s[0:1]
	s_and_saveexec_b64 s[0:1], s[2:3]
	s_cbranch_execz .LBB331_9
; %bb.17:                               ;   in Loop: Header=BB331_11 Depth=1
	global_load_dwordx4 v[20:23], v[18:19], off
	s_waitcnt vmcnt(0)
	v_fmac_f64_e32 v[0:1], v[8:9], v[20:21]
	v_fmac_f64_e32 v[2:3], v[10:11], v[20:21]
	v_fma_f64 v[0:1], -v[10:11], v[22:23], v[0:1]
	v_fmac_f64_e32 v[2:3], v[8:9], v[22:23]
	s_branch .LBB331_9
.LBB331_18:
	s_endpgm
	.section	.rodata,"a",@progbits
	.p2align	6, 0x0
	.amdhsa_kernel _ZN9rocsparseL21csrmvn_general_kernelILj256ELj4Eiid21rocsparse_complex_numIdES2_S2_EEvbT2_NS_24const_host_device_scalarIT6_EEPKT1_S9_PKS3_PKT3_PKT4_S6_PT5_21rocsparse_index_base_b
		.amdhsa_group_segment_fixed_size 4096
		.amdhsa_private_segment_fixed_size 0
		.amdhsa_kernarg_size 352
		.amdhsa_user_sgpr_count 8
		.amdhsa_user_sgpr_private_segment_buffer 1
		.amdhsa_user_sgpr_dispatch_ptr 1
		.amdhsa_user_sgpr_queue_ptr 0
		.amdhsa_user_sgpr_kernarg_segment_ptr 1
		.amdhsa_user_sgpr_dispatch_id 0
		.amdhsa_user_sgpr_flat_scratch_init 0
		.amdhsa_user_sgpr_kernarg_preload_length 0
		.amdhsa_user_sgpr_kernarg_preload_offset 0
		.amdhsa_user_sgpr_private_segment_size 0
		.amdhsa_uses_dynamic_stack 0
		.amdhsa_system_sgpr_private_segment_wavefront_offset 0
		.amdhsa_system_sgpr_workgroup_id_x 1
		.amdhsa_system_sgpr_workgroup_id_y 0
		.amdhsa_system_sgpr_workgroup_id_z 0
		.amdhsa_system_sgpr_workgroup_info 0
		.amdhsa_system_vgpr_workitem_id 2
		.amdhsa_next_free_vgpr 34
		.amdhsa_next_free_sgpr 26
		.amdhsa_accum_offset 36
		.amdhsa_reserve_vcc 1
		.amdhsa_reserve_flat_scratch 0
		.amdhsa_float_round_mode_32 0
		.amdhsa_float_round_mode_16_64 0
		.amdhsa_float_denorm_mode_32 3
		.amdhsa_float_denorm_mode_16_64 3
		.amdhsa_dx10_clamp 1
		.amdhsa_ieee_mode 1
		.amdhsa_fp16_overflow 0
		.amdhsa_tg_split 0
		.amdhsa_exception_fp_ieee_invalid_op 0
		.amdhsa_exception_fp_denorm_src 0
		.amdhsa_exception_fp_ieee_div_zero 0
		.amdhsa_exception_fp_ieee_overflow 0
		.amdhsa_exception_fp_ieee_underflow 0
		.amdhsa_exception_fp_ieee_inexact 0
		.amdhsa_exception_int_div_zero 0
	.end_amdhsa_kernel
	.section	.text._ZN9rocsparseL21csrmvn_general_kernelILj256ELj4Eiid21rocsparse_complex_numIdES2_S2_EEvbT2_NS_24const_host_device_scalarIT6_EEPKT1_S9_PKS3_PKT3_PKT4_S6_PT5_21rocsparse_index_base_b,"axG",@progbits,_ZN9rocsparseL21csrmvn_general_kernelILj256ELj4Eiid21rocsparse_complex_numIdES2_S2_EEvbT2_NS_24const_host_device_scalarIT6_EEPKT1_S9_PKS3_PKT3_PKT4_S6_PT5_21rocsparse_index_base_b,comdat
.Lfunc_end331:
	.size	_ZN9rocsparseL21csrmvn_general_kernelILj256ELj4Eiid21rocsparse_complex_numIdES2_S2_EEvbT2_NS_24const_host_device_scalarIT6_EEPKT1_S9_PKS3_PKT3_PKT4_S6_PT5_21rocsparse_index_base_b, .Lfunc_end331-_ZN9rocsparseL21csrmvn_general_kernelILj256ELj4Eiid21rocsparse_complex_numIdES2_S2_EEvbT2_NS_24const_host_device_scalarIT6_EEPKT1_S9_PKS3_PKT3_PKT4_S6_PT5_21rocsparse_index_base_b
                                        ; -- End function
	.section	.AMDGPU.csdata,"",@progbits
; Kernel info:
; codeLenInByte = 1036
; NumSgprs: 30
; NumVgprs: 34
; NumAgprs: 0
; TotalNumVgprs: 34
; ScratchSize: 0
; MemoryBound: 0
; FloatMode: 240
; IeeeMode: 1
; LDSByteSize: 4096 bytes/workgroup (compile time only)
; SGPRBlocks: 3
; VGPRBlocks: 4
; NumSGPRsForWavesPerEU: 30
; NumVGPRsForWavesPerEU: 34
; AccumOffset: 36
; Occupancy: 8
; WaveLimiterHint : 1
; COMPUTE_PGM_RSRC2:SCRATCH_EN: 0
; COMPUTE_PGM_RSRC2:USER_SGPR: 8
; COMPUTE_PGM_RSRC2:TRAP_HANDLER: 0
; COMPUTE_PGM_RSRC2:TGID_X_EN: 1
; COMPUTE_PGM_RSRC2:TGID_Y_EN: 0
; COMPUTE_PGM_RSRC2:TGID_Z_EN: 0
; COMPUTE_PGM_RSRC2:TIDIG_COMP_CNT: 2
; COMPUTE_PGM_RSRC3_GFX90A:ACCUM_OFFSET: 8
; COMPUTE_PGM_RSRC3_GFX90A:TG_SPLIT: 0
	.section	.text._ZN9rocsparseL21csrmvn_general_kernelILj256ELj8Eiid21rocsparse_complex_numIdES2_S2_EEvbT2_NS_24const_host_device_scalarIT6_EEPKT1_S9_PKS3_PKT3_PKT4_S6_PT5_21rocsparse_index_base_b,"axG",@progbits,_ZN9rocsparseL21csrmvn_general_kernelILj256ELj8Eiid21rocsparse_complex_numIdES2_S2_EEvbT2_NS_24const_host_device_scalarIT6_EEPKT1_S9_PKS3_PKT3_PKT4_S6_PT5_21rocsparse_index_base_b,comdat
	.globl	_ZN9rocsparseL21csrmvn_general_kernelILj256ELj8Eiid21rocsparse_complex_numIdES2_S2_EEvbT2_NS_24const_host_device_scalarIT6_EEPKT1_S9_PKS3_PKT3_PKT4_S6_PT5_21rocsparse_index_base_b ; -- Begin function _ZN9rocsparseL21csrmvn_general_kernelILj256ELj8Eiid21rocsparse_complex_numIdES2_S2_EEvbT2_NS_24const_host_device_scalarIT6_EEPKT1_S9_PKS3_PKT3_PKT4_S6_PT5_21rocsparse_index_base_b
	.p2align	8
	.type	_ZN9rocsparseL21csrmvn_general_kernelILj256ELj8Eiid21rocsparse_complex_numIdES2_S2_EEvbT2_NS_24const_host_device_scalarIT6_EEPKT1_S9_PKS3_PKT3_PKT4_S6_PT5_21rocsparse_index_base_b,@function
_ZN9rocsparseL21csrmvn_general_kernelILj256ELj8Eiid21rocsparse_complex_numIdES2_S2_EEvbT2_NS_24const_host_device_scalarIT6_EEPKT1_S9_PKS3_PKT3_PKT4_S6_PT5_21rocsparse_index_base_b: ; @_ZN9rocsparseL21csrmvn_general_kernelILj256ELj8Eiid21rocsparse_complex_numIdES2_S2_EEvbT2_NS_24const_host_device_scalarIT6_EEPKT1_S9_PKS3_PKT3_PKT4_S6_PT5_21rocsparse_index_base_b
; %bb.0:
	s_load_dwordx2 s[24:25], s[6:7], 0x58
	s_load_dwordx8 s[12:19], s[6:7], 0x8
	s_load_dwordx4 s[20:23], s[6:7], 0x40
	s_mov_b64 s[2:3], src_shared_base
	s_load_dwordx2 s[4:5], s[4:5], 0x4
	s_waitcnt lgkmcnt(0)
	s_bitcmp1_b32 s25, 0
	s_cselect_b64 s[0:1], -1, 0
	s_and_b64 vcc, s[0:1], exec
	s_cselect_b32 s2, s3, s13
	s_lshr_b32 s4, s4, 16
	v_and_b32_e32 v1, 0x3ff, v0
	s_mul_i32 s4, s4, s5
	v_mul_lo_u32 v2, s4, v1
	v_bfe_u32 v3, v0, 10, 10
	v_mad_u32_u24 v2, v3, s5, v2
	v_bfe_u32 v0, v0, 20, 10
	v_add_lshl_u32 v0, v2, v0, 3
	v_mov_b32_e32 v6, s12
	v_add_u32_e32 v7, 0x800, v0
	v_pk_mov_b32 v[2:3], s[12:13], s[12:13] op_sel:[0,1]
	v_pk_mov_b32 v[4:5], s[20:21], s[20:21] op_sel:[0,1]
	ds_write2st64_b64 v0, v[4:5], v[2:3] offset1:4
	v_cndmask_b32_e64 v2, v6, v7, s[0:1]
	v_mov_b32_e32 v3, s2
	flat_load_dwordx2 v[4:5], v[2:3]
	s_xor_b64 s[4:5], s[0:1], -1
	v_pk_mov_b32 v[6:7], s[14:15], s[14:15] op_sel:[0,1]
	s_cbranch_vccnz .LBB332_2
; %bb.1:
	v_pk_mov_b32 v[2:3], s[12:13], s[12:13] op_sel:[0,1]
	flat_load_dwordx2 v[6:7], v[2:3] offset:8
.LBB332_2:
	s_and_b64 s[10:11], s[0:1], exec
	s_cselect_b32 s2, s3, s21
	v_mov_b32_e32 v2, s20
	v_cndmask_b32_e64 v2, v2, v0, s[0:1]
	v_mov_b32_e32 v3, s2
	flat_load_dwordx2 v[8:9], v[2:3]
	s_andn2_b64 vcc, exec, s[4:5]
	v_pk_mov_b32 v[10:11], s[22:23], s[22:23] op_sel:[0,1]
	s_cbranch_vccnz .LBB332_4
; %bb.3:
	v_pk_mov_b32 v[2:3], s[20:21], s[20:21] op_sel:[0,1]
	flat_load_dwordx2 v[10:11], v[2:3] offset:8
.LBB332_4:
	s_waitcnt vmcnt(0) lgkmcnt(0)
	v_cmp_eq_f64_e32 vcc, 0, v[4:5]
	v_cmp_eq_f64_e64 s[0:1], 0, v[6:7]
	s_and_b64 s[4:5], vcc, s[0:1]
	s_mov_b64 s[0:1], -1
	s_and_saveexec_b64 s[2:3], s[4:5]
; %bb.5:
	v_cmp_neq_f64_e32 vcc, 1.0, v[8:9]
	v_cmp_neq_f64_e64 s[0:1], 0, v[10:11]
	s_or_b64 s[0:1], vcc, s[0:1]
	s_orn2_b64 s[0:1], s[0:1], exec
; %bb.6:
	s_or_b64 exec, exec, s[2:3]
	s_and_saveexec_b64 s[2:3], s[0:1]
	s_cbranch_execz .LBB332_18
; %bb.7:
	s_load_dword s20, s[6:7], 0x4
	v_lshl_or_b32 v0, s8, 8, v1
	v_lshrrev_b32_e32 v12, 3, v0
	s_waitcnt lgkmcnt(0)
	v_cmp_gt_i32_e32 vcc, s20, v12
	s_and_b64 exec, exec, vcc
	s_cbranch_execz .LBB332_18
; %bb.8:
	s_load_dword s2, s[6:7], 0x60
	s_load_dwordx2 s[4:5], s[6:7], 0x50
	s_load_dwordx4 s[8:11], s[6:7], 0x28
	s_load_dwordx2 s[0:1], s[6:7], 0x38
	s_ashr_i32 s25, s24, 31
	s_waitcnt lgkmcnt(0)
	s_lshl_b32 s21, s2, 5
	s_mov_b32 s2, 0
	s_brev_b32 s3, 1
	v_mul_f64 v[14:15], v[6:7], s[2:3]
	s_lshl_b64 s[2:3], s[24:25], 4
	s_sub_u32 s22, s0, s2
	v_and_b32_e32 v0, 7, v1
	s_subb_u32 s23, s1, s3
	v_cmp_neq_f64_e64 s[0:1], 0, v[8:9]
	v_cmp_neq_f64_e64 s[2:3], 0, v[10:11]
	v_subrev_u32_e32 v24, s24, v0
	s_mov_b64 s[6:7], 0
	v_mul_f64 v[16:17], v[4:5], 0
	v_cmp_eq_u32_e32 vcc, 7, v0
	s_or_b64 s[2:3], s[0:1], s[2:3]
	v_mov_b32_e32 v25, s17
	v_mov_b32_e32 v26, s19
	s_branch .LBB332_11
.LBB332_9:                              ;   in Loop: Header=BB332_11 Depth=1
	s_or_b64 exec, exec, s[0:1]
	global_store_dwordx4 v[18:19], v[0:3], off
.LBB332_10:                             ;   in Loop: Header=BB332_11 Depth=1
	s_or_b64 exec, exec, s[12:13]
	v_add_u32_e32 v12, s21, v12
	v_cmp_le_i32_e64 s[0:1], s20, v12
	s_or_b64 s[6:7], s[0:1], s[6:7]
	s_andn2_b64 exec, exec, s[6:7]
	s_cbranch_execz .LBB332_18
.LBB332_11:                             ; =>This Loop Header: Depth=1
                                        ;     Child Loop BB332_13 Depth 2
	v_ashrrev_i32_e32 v13, 31, v12
	v_lshlrev_b64 v[0:1], 2, v[12:13]
	v_add_co_u32_e64 v2, s[0:1], s16, v0
	v_addc_co_u32_e64 v3, s[0:1], v25, v1, s[0:1]
	v_add_co_u32_e64 v0, s[0:1], s18, v0
	v_addc_co_u32_e64 v1, s[0:1], v26, v1, s[0:1]
	global_load_dword v18, v[0:1], off
	global_load_dword v19, v[2:3], off
	v_pk_mov_b32 v[0:1], 0, 0
	v_pk_mov_b32 v[2:3], v[0:1], v[0:1] op_sel:[0,1]
	s_waitcnt vmcnt(1)
	v_subrev_u32_e32 v20, s24, v18
	s_waitcnt vmcnt(0)
	v_add_u32_e32 v18, v19, v24
	v_cmp_lt_i32_e64 s[0:1], v18, v20
	s_and_saveexec_b64 s[12:13], s[0:1]
	s_cbranch_execz .LBB332_15
; %bb.12:                               ;   in Loop: Header=BB332_11 Depth=1
	v_pk_mov_b32 v[0:1], 0, 0
	s_mov_b64 s[14:15], 0
	v_pk_mov_b32 v[2:3], v[0:1], v[0:1] op_sel:[0,1]
.LBB332_13:                             ;   Parent Loop BB332_11 Depth=1
                                        ; =>  This Inner Loop Header: Depth=2
	v_ashrrev_i32_e32 v19, 31, v18
	v_lshlrev_b64 v[22:23], 2, v[18:19]
	v_mov_b32_e32 v21, s9
	v_add_co_u32_e64 v22, s[0:1], s8, v22
	v_addc_co_u32_e64 v23, s[0:1], v21, v23, s[0:1]
	global_load_dword v22, v[22:23], off
	v_lshlrev_b64 v[28:29], 3, v[18:19]
	v_mov_b32_e32 v21, s11
	v_add_co_u32_e64 v28, s[0:1], s10, v28
	v_addc_co_u32_e64 v29, s[0:1], v21, v29, s[0:1]
	v_mov_b32_e32 v27, s23
	global_load_dwordx2 v[32:33], v[28:29], off
	v_add_u32_e32 v18, 8, v18
	s_waitcnt vmcnt(1)
	v_ashrrev_i32_e32 v23, 31, v22
	v_lshlrev_b64 v[22:23], 4, v[22:23]
	v_add_co_u32_e64 v22, s[0:1], s22, v22
	v_addc_co_u32_e64 v23, s[0:1], v27, v23, s[0:1]
	global_load_dwordx4 v[28:31], v[22:23], off
	v_cmp_ge_i32_e64 s[0:1], v18, v20
	s_waitcnt vmcnt(1)
	v_fma_f64 v[22:23], v[4:5], v[32:33], v[14:15]
	v_fma_f64 v[32:33], v[6:7], v[32:33], v[16:17]
	s_or_b64 s[14:15], s[0:1], s[14:15]
	s_waitcnt vmcnt(0)
	v_fmac_f64_e32 v[2:3], v[22:23], v[28:29]
	v_fmac_f64_e32 v[0:1], v[32:33], v[28:29]
	v_fma_f64 v[2:3], -v[32:33], v[30:31], v[2:3]
	v_fmac_f64_e32 v[0:1], v[22:23], v[30:31]
	s_andn2_b64 exec, exec, s[14:15]
	s_cbranch_execnz .LBB332_13
; %bb.14:                               ;   in Loop: Header=BB332_11 Depth=1
	s_or_b64 exec, exec, s[14:15]
.LBB332_15:                             ;   in Loop: Header=BB332_11 Depth=1
	s_or_b64 exec, exec, s[12:13]
	v_mov_b32_dpp v18, v2 row_shr:1 row_mask:0xf bank_mask:0xf
	v_mov_b32_dpp v19, v3 row_shr:1 row_mask:0xf bank_mask:0xf
	;; [unrolled: 1-line block ×4, first 2 shown]
	v_add_f64 v[2:3], v[2:3], v[18:19]
	v_add_f64 v[0:1], v[0:1], v[20:21]
	s_nop 0
	v_mov_b32_dpp v18, v2 row_shr:2 row_mask:0xf bank_mask:0xf
	v_mov_b32_dpp v19, v3 row_shr:2 row_mask:0xf bank_mask:0xf
	;; [unrolled: 1-line block ×4, first 2 shown]
	v_add_f64 v[2:3], v[2:3], v[18:19]
	v_add_f64 v[20:21], v[0:1], v[20:21]
	s_nop 0
	v_mov_b32_dpp v18, v2 row_shr:4 row_mask:0xf bank_mask:0xe
	v_mov_b32_dpp v19, v3 row_shr:4 row_mask:0xf bank_mask:0xe
	;; [unrolled: 1-line block ×4, first 2 shown]
	s_and_saveexec_b64 s[12:13], vcc
	s_cbranch_execz .LBB332_10
; %bb.16:                               ;   in Loop: Header=BB332_11 Depth=1
	v_add_f64 v[0:1], v[2:3], v[18:19]
	v_lshlrev_b64 v[18:19], 4, v[12:13]
	v_mov_b32_e32 v13, s5
	v_add_co_u32_e64 v18, s[0:1], s4, v18
	v_add_f64 v[2:3], v[20:21], v[22:23]
	v_addc_co_u32_e64 v19, s[0:1], v13, v19, s[0:1]
	s_and_saveexec_b64 s[0:1], s[2:3]
	s_cbranch_execz .LBB332_9
; %bb.17:                               ;   in Loop: Header=BB332_11 Depth=1
	global_load_dwordx4 v[20:23], v[18:19], off
	s_waitcnt vmcnt(0)
	v_fmac_f64_e32 v[0:1], v[8:9], v[20:21]
	v_fmac_f64_e32 v[2:3], v[10:11], v[20:21]
	v_fma_f64 v[0:1], -v[10:11], v[22:23], v[0:1]
	v_fmac_f64_e32 v[2:3], v[8:9], v[22:23]
	s_branch .LBB332_9
.LBB332_18:
	s_endpgm
	.section	.rodata,"a",@progbits
	.p2align	6, 0x0
	.amdhsa_kernel _ZN9rocsparseL21csrmvn_general_kernelILj256ELj8Eiid21rocsparse_complex_numIdES2_S2_EEvbT2_NS_24const_host_device_scalarIT6_EEPKT1_S9_PKS3_PKT3_PKT4_S6_PT5_21rocsparse_index_base_b
		.amdhsa_group_segment_fixed_size 4096
		.amdhsa_private_segment_fixed_size 0
		.amdhsa_kernarg_size 352
		.amdhsa_user_sgpr_count 8
		.amdhsa_user_sgpr_private_segment_buffer 1
		.amdhsa_user_sgpr_dispatch_ptr 1
		.amdhsa_user_sgpr_queue_ptr 0
		.amdhsa_user_sgpr_kernarg_segment_ptr 1
		.amdhsa_user_sgpr_dispatch_id 0
		.amdhsa_user_sgpr_flat_scratch_init 0
		.amdhsa_user_sgpr_kernarg_preload_length 0
		.amdhsa_user_sgpr_kernarg_preload_offset 0
		.amdhsa_user_sgpr_private_segment_size 0
		.amdhsa_uses_dynamic_stack 0
		.amdhsa_system_sgpr_private_segment_wavefront_offset 0
		.amdhsa_system_sgpr_workgroup_id_x 1
		.amdhsa_system_sgpr_workgroup_id_y 0
		.amdhsa_system_sgpr_workgroup_id_z 0
		.amdhsa_system_sgpr_workgroup_info 0
		.amdhsa_system_vgpr_workitem_id 2
		.amdhsa_next_free_vgpr 34
		.amdhsa_next_free_sgpr 26
		.amdhsa_accum_offset 36
		.amdhsa_reserve_vcc 1
		.amdhsa_reserve_flat_scratch 0
		.amdhsa_float_round_mode_32 0
		.amdhsa_float_round_mode_16_64 0
		.amdhsa_float_denorm_mode_32 3
		.amdhsa_float_denorm_mode_16_64 3
		.amdhsa_dx10_clamp 1
		.amdhsa_ieee_mode 1
		.amdhsa_fp16_overflow 0
		.amdhsa_tg_split 0
		.amdhsa_exception_fp_ieee_invalid_op 0
		.amdhsa_exception_fp_denorm_src 0
		.amdhsa_exception_fp_ieee_div_zero 0
		.amdhsa_exception_fp_ieee_overflow 0
		.amdhsa_exception_fp_ieee_underflow 0
		.amdhsa_exception_fp_ieee_inexact 0
		.amdhsa_exception_int_div_zero 0
	.end_amdhsa_kernel
	.section	.text._ZN9rocsparseL21csrmvn_general_kernelILj256ELj8Eiid21rocsparse_complex_numIdES2_S2_EEvbT2_NS_24const_host_device_scalarIT6_EEPKT1_S9_PKS3_PKT3_PKT4_S6_PT5_21rocsparse_index_base_b,"axG",@progbits,_ZN9rocsparseL21csrmvn_general_kernelILj256ELj8Eiid21rocsparse_complex_numIdES2_S2_EEvbT2_NS_24const_host_device_scalarIT6_EEPKT1_S9_PKS3_PKT3_PKT4_S6_PT5_21rocsparse_index_base_b,comdat
.Lfunc_end332:
	.size	_ZN9rocsparseL21csrmvn_general_kernelILj256ELj8Eiid21rocsparse_complex_numIdES2_S2_EEvbT2_NS_24const_host_device_scalarIT6_EEPKT1_S9_PKS3_PKT3_PKT4_S6_PT5_21rocsparse_index_base_b, .Lfunc_end332-_ZN9rocsparseL21csrmvn_general_kernelILj256ELj8Eiid21rocsparse_complex_numIdES2_S2_EEvbT2_NS_24const_host_device_scalarIT6_EEPKT1_S9_PKS3_PKT3_PKT4_S6_PT5_21rocsparse_index_base_b
                                        ; -- End function
	.section	.AMDGPU.csdata,"",@progbits
; Kernel info:
; codeLenInByte = 1088
; NumSgprs: 30
; NumVgprs: 34
; NumAgprs: 0
; TotalNumVgprs: 34
; ScratchSize: 0
; MemoryBound: 0
; FloatMode: 240
; IeeeMode: 1
; LDSByteSize: 4096 bytes/workgroup (compile time only)
; SGPRBlocks: 3
; VGPRBlocks: 4
; NumSGPRsForWavesPerEU: 30
; NumVGPRsForWavesPerEU: 34
; AccumOffset: 36
; Occupancy: 8
; WaveLimiterHint : 1
; COMPUTE_PGM_RSRC2:SCRATCH_EN: 0
; COMPUTE_PGM_RSRC2:USER_SGPR: 8
; COMPUTE_PGM_RSRC2:TRAP_HANDLER: 0
; COMPUTE_PGM_RSRC2:TGID_X_EN: 1
; COMPUTE_PGM_RSRC2:TGID_Y_EN: 0
; COMPUTE_PGM_RSRC2:TGID_Z_EN: 0
; COMPUTE_PGM_RSRC2:TIDIG_COMP_CNT: 2
; COMPUTE_PGM_RSRC3_GFX90A:ACCUM_OFFSET: 8
; COMPUTE_PGM_RSRC3_GFX90A:TG_SPLIT: 0
	.section	.text._ZN9rocsparseL21csrmvn_general_kernelILj256ELj16Eiid21rocsparse_complex_numIdES2_S2_EEvbT2_NS_24const_host_device_scalarIT6_EEPKT1_S9_PKS3_PKT3_PKT4_S6_PT5_21rocsparse_index_base_b,"axG",@progbits,_ZN9rocsparseL21csrmvn_general_kernelILj256ELj16Eiid21rocsparse_complex_numIdES2_S2_EEvbT2_NS_24const_host_device_scalarIT6_EEPKT1_S9_PKS3_PKT3_PKT4_S6_PT5_21rocsparse_index_base_b,comdat
	.globl	_ZN9rocsparseL21csrmvn_general_kernelILj256ELj16Eiid21rocsparse_complex_numIdES2_S2_EEvbT2_NS_24const_host_device_scalarIT6_EEPKT1_S9_PKS3_PKT3_PKT4_S6_PT5_21rocsparse_index_base_b ; -- Begin function _ZN9rocsparseL21csrmvn_general_kernelILj256ELj16Eiid21rocsparse_complex_numIdES2_S2_EEvbT2_NS_24const_host_device_scalarIT6_EEPKT1_S9_PKS3_PKT3_PKT4_S6_PT5_21rocsparse_index_base_b
	.p2align	8
	.type	_ZN9rocsparseL21csrmvn_general_kernelILj256ELj16Eiid21rocsparse_complex_numIdES2_S2_EEvbT2_NS_24const_host_device_scalarIT6_EEPKT1_S9_PKS3_PKT3_PKT4_S6_PT5_21rocsparse_index_base_b,@function
_ZN9rocsparseL21csrmvn_general_kernelILj256ELj16Eiid21rocsparse_complex_numIdES2_S2_EEvbT2_NS_24const_host_device_scalarIT6_EEPKT1_S9_PKS3_PKT3_PKT4_S6_PT5_21rocsparse_index_base_b: ; @_ZN9rocsparseL21csrmvn_general_kernelILj256ELj16Eiid21rocsparse_complex_numIdES2_S2_EEvbT2_NS_24const_host_device_scalarIT6_EEPKT1_S9_PKS3_PKT3_PKT4_S6_PT5_21rocsparse_index_base_b
; %bb.0:
	s_load_dwordx2 s[24:25], s[6:7], 0x58
	s_load_dwordx8 s[12:19], s[6:7], 0x8
	s_load_dwordx4 s[20:23], s[6:7], 0x40
	s_mov_b64 s[2:3], src_shared_base
	s_load_dwordx2 s[4:5], s[4:5], 0x4
	s_waitcnt lgkmcnt(0)
	s_bitcmp1_b32 s25, 0
	s_cselect_b64 s[0:1], -1, 0
	s_and_b64 vcc, s[0:1], exec
	s_cselect_b32 s2, s3, s13
	s_lshr_b32 s4, s4, 16
	v_and_b32_e32 v1, 0x3ff, v0
	s_mul_i32 s4, s4, s5
	v_mul_lo_u32 v2, s4, v1
	v_bfe_u32 v3, v0, 10, 10
	v_mad_u32_u24 v2, v3, s5, v2
	v_bfe_u32 v0, v0, 20, 10
	v_add_lshl_u32 v0, v2, v0, 3
	v_mov_b32_e32 v6, s12
	v_add_u32_e32 v7, 0x800, v0
	v_pk_mov_b32 v[2:3], s[12:13], s[12:13] op_sel:[0,1]
	v_pk_mov_b32 v[4:5], s[20:21], s[20:21] op_sel:[0,1]
	ds_write2st64_b64 v0, v[4:5], v[2:3] offset1:4
	v_cndmask_b32_e64 v2, v6, v7, s[0:1]
	v_mov_b32_e32 v3, s2
	flat_load_dwordx2 v[4:5], v[2:3]
	s_xor_b64 s[4:5], s[0:1], -1
	v_pk_mov_b32 v[6:7], s[14:15], s[14:15] op_sel:[0,1]
	s_cbranch_vccnz .LBB333_2
; %bb.1:
	v_pk_mov_b32 v[2:3], s[12:13], s[12:13] op_sel:[0,1]
	flat_load_dwordx2 v[6:7], v[2:3] offset:8
.LBB333_2:
	s_and_b64 s[10:11], s[0:1], exec
	s_cselect_b32 s2, s3, s21
	v_mov_b32_e32 v2, s20
	v_cndmask_b32_e64 v2, v2, v0, s[0:1]
	v_mov_b32_e32 v3, s2
	flat_load_dwordx2 v[8:9], v[2:3]
	s_andn2_b64 vcc, exec, s[4:5]
	v_pk_mov_b32 v[10:11], s[22:23], s[22:23] op_sel:[0,1]
	s_cbranch_vccnz .LBB333_4
; %bb.3:
	v_pk_mov_b32 v[2:3], s[20:21], s[20:21] op_sel:[0,1]
	flat_load_dwordx2 v[10:11], v[2:3] offset:8
.LBB333_4:
	s_waitcnt vmcnt(0) lgkmcnt(0)
	v_cmp_eq_f64_e32 vcc, 0, v[4:5]
	v_cmp_eq_f64_e64 s[0:1], 0, v[6:7]
	s_and_b64 s[4:5], vcc, s[0:1]
	s_mov_b64 s[0:1], -1
	s_and_saveexec_b64 s[2:3], s[4:5]
; %bb.5:
	v_cmp_neq_f64_e32 vcc, 1.0, v[8:9]
	v_cmp_neq_f64_e64 s[0:1], 0, v[10:11]
	s_or_b64 s[0:1], vcc, s[0:1]
	s_orn2_b64 s[0:1], s[0:1], exec
; %bb.6:
	s_or_b64 exec, exec, s[2:3]
	s_and_saveexec_b64 s[2:3], s[0:1]
	s_cbranch_execz .LBB333_18
; %bb.7:
	s_load_dword s20, s[6:7], 0x4
	v_lshl_or_b32 v0, s8, 8, v1
	v_lshrrev_b32_e32 v12, 4, v0
	s_waitcnt lgkmcnt(0)
	v_cmp_gt_i32_e32 vcc, s20, v12
	s_and_b64 exec, exec, vcc
	s_cbranch_execz .LBB333_18
; %bb.8:
	s_load_dword s2, s[6:7], 0x60
	s_load_dwordx2 s[4:5], s[6:7], 0x50
	s_load_dwordx4 s[8:11], s[6:7], 0x28
	s_load_dwordx2 s[0:1], s[6:7], 0x38
	s_ashr_i32 s25, s24, 31
	s_waitcnt lgkmcnt(0)
	s_lshl_b32 s21, s2, 4
	s_mov_b32 s2, 0
	s_brev_b32 s3, 1
	v_mul_f64 v[14:15], v[6:7], s[2:3]
	s_lshl_b64 s[2:3], s[24:25], 4
	s_sub_u32 s22, s0, s2
	v_and_b32_e32 v0, 15, v1
	s_subb_u32 s23, s1, s3
	v_cmp_neq_f64_e64 s[0:1], 0, v[8:9]
	v_cmp_neq_f64_e64 s[2:3], 0, v[10:11]
	v_subrev_u32_e32 v24, s24, v0
	s_mov_b64 s[6:7], 0
	v_mul_f64 v[16:17], v[4:5], 0
	v_cmp_eq_u32_e32 vcc, 15, v0
	s_or_b64 s[2:3], s[0:1], s[2:3]
	v_mov_b32_e32 v25, s17
	v_mov_b32_e32 v26, s19
	s_branch .LBB333_11
.LBB333_9:                              ;   in Loop: Header=BB333_11 Depth=1
	s_or_b64 exec, exec, s[0:1]
	global_store_dwordx4 v[18:19], v[0:3], off
.LBB333_10:                             ;   in Loop: Header=BB333_11 Depth=1
	s_or_b64 exec, exec, s[12:13]
	v_add_u32_e32 v12, s21, v12
	v_cmp_le_i32_e64 s[0:1], s20, v12
	s_or_b64 s[6:7], s[0:1], s[6:7]
	s_andn2_b64 exec, exec, s[6:7]
	s_cbranch_execz .LBB333_18
.LBB333_11:                             ; =>This Loop Header: Depth=1
                                        ;     Child Loop BB333_13 Depth 2
	v_ashrrev_i32_e32 v13, 31, v12
	v_lshlrev_b64 v[0:1], 2, v[12:13]
	v_add_co_u32_e64 v2, s[0:1], s16, v0
	v_addc_co_u32_e64 v3, s[0:1], v25, v1, s[0:1]
	v_add_co_u32_e64 v0, s[0:1], s18, v0
	v_addc_co_u32_e64 v1, s[0:1], v26, v1, s[0:1]
	global_load_dword v18, v[0:1], off
	global_load_dword v19, v[2:3], off
	v_pk_mov_b32 v[0:1], 0, 0
	v_pk_mov_b32 v[2:3], v[0:1], v[0:1] op_sel:[0,1]
	s_waitcnt vmcnt(1)
	v_subrev_u32_e32 v20, s24, v18
	s_waitcnt vmcnt(0)
	v_add_u32_e32 v18, v19, v24
	v_cmp_lt_i32_e64 s[0:1], v18, v20
	s_and_saveexec_b64 s[12:13], s[0:1]
	s_cbranch_execz .LBB333_15
; %bb.12:                               ;   in Loop: Header=BB333_11 Depth=1
	v_pk_mov_b32 v[0:1], 0, 0
	s_mov_b64 s[14:15], 0
	v_pk_mov_b32 v[2:3], v[0:1], v[0:1] op_sel:[0,1]
.LBB333_13:                             ;   Parent Loop BB333_11 Depth=1
                                        ; =>  This Inner Loop Header: Depth=2
	v_ashrrev_i32_e32 v19, 31, v18
	v_lshlrev_b64 v[22:23], 2, v[18:19]
	v_mov_b32_e32 v21, s9
	v_add_co_u32_e64 v22, s[0:1], s8, v22
	v_addc_co_u32_e64 v23, s[0:1], v21, v23, s[0:1]
	global_load_dword v22, v[22:23], off
	v_lshlrev_b64 v[28:29], 3, v[18:19]
	v_mov_b32_e32 v21, s11
	v_add_co_u32_e64 v28, s[0:1], s10, v28
	v_addc_co_u32_e64 v29, s[0:1], v21, v29, s[0:1]
	v_mov_b32_e32 v27, s23
	global_load_dwordx2 v[32:33], v[28:29], off
	v_add_u32_e32 v18, 16, v18
	s_waitcnt vmcnt(1)
	v_ashrrev_i32_e32 v23, 31, v22
	v_lshlrev_b64 v[22:23], 4, v[22:23]
	v_add_co_u32_e64 v22, s[0:1], s22, v22
	v_addc_co_u32_e64 v23, s[0:1], v27, v23, s[0:1]
	global_load_dwordx4 v[28:31], v[22:23], off
	v_cmp_ge_i32_e64 s[0:1], v18, v20
	s_waitcnt vmcnt(1)
	v_fma_f64 v[22:23], v[4:5], v[32:33], v[14:15]
	v_fma_f64 v[32:33], v[6:7], v[32:33], v[16:17]
	s_or_b64 s[14:15], s[0:1], s[14:15]
	s_waitcnt vmcnt(0)
	v_fmac_f64_e32 v[2:3], v[22:23], v[28:29]
	v_fmac_f64_e32 v[0:1], v[32:33], v[28:29]
	v_fma_f64 v[2:3], -v[32:33], v[30:31], v[2:3]
	v_fmac_f64_e32 v[0:1], v[22:23], v[30:31]
	s_andn2_b64 exec, exec, s[14:15]
	s_cbranch_execnz .LBB333_13
; %bb.14:                               ;   in Loop: Header=BB333_11 Depth=1
	s_or_b64 exec, exec, s[14:15]
.LBB333_15:                             ;   in Loop: Header=BB333_11 Depth=1
	s_or_b64 exec, exec, s[12:13]
	v_mov_b32_dpp v18, v2 row_shr:1 row_mask:0xf bank_mask:0xf
	v_mov_b32_dpp v19, v3 row_shr:1 row_mask:0xf bank_mask:0xf
	v_mov_b32_dpp v20, v0 row_shr:1 row_mask:0xf bank_mask:0xf
	v_mov_b32_dpp v21, v1 row_shr:1 row_mask:0xf bank_mask:0xf
	v_add_f64 v[2:3], v[2:3], v[18:19]
	v_add_f64 v[0:1], v[0:1], v[20:21]
	s_nop 0
	v_mov_b32_dpp v18, v2 row_shr:2 row_mask:0xf bank_mask:0xf
	v_mov_b32_dpp v19, v3 row_shr:2 row_mask:0xf bank_mask:0xf
	v_mov_b32_dpp v20, v0 row_shr:2 row_mask:0xf bank_mask:0xf
	v_mov_b32_dpp v21, v1 row_shr:2 row_mask:0xf bank_mask:0xf
	v_add_f64 v[2:3], v[2:3], v[18:19]
	v_add_f64 v[0:1], v[0:1], v[20:21]
	s_nop 0
	v_mov_b32_dpp v18, v2 row_shr:4 row_mask:0xf bank_mask:0xe
	v_mov_b32_dpp v19, v3 row_shr:4 row_mask:0xf bank_mask:0xe
	v_mov_b32_dpp v20, v0 row_shr:4 row_mask:0xf bank_mask:0xe
	v_mov_b32_dpp v21, v1 row_shr:4 row_mask:0xf bank_mask:0xe
	v_add_f64 v[2:3], v[2:3], v[18:19]
	v_add_f64 v[20:21], v[0:1], v[20:21]
	s_nop 0
	v_mov_b32_dpp v18, v2 row_shr:8 row_mask:0xf bank_mask:0xc
	v_mov_b32_dpp v19, v3 row_shr:8 row_mask:0xf bank_mask:0xc
	v_mov_b32_dpp v22, v20 row_shr:8 row_mask:0xf bank_mask:0xc
	v_mov_b32_dpp v23, v21 row_shr:8 row_mask:0xf bank_mask:0xc
	s_and_saveexec_b64 s[12:13], vcc
	s_cbranch_execz .LBB333_10
; %bb.16:                               ;   in Loop: Header=BB333_11 Depth=1
	v_add_f64 v[0:1], v[2:3], v[18:19]
	v_lshlrev_b64 v[18:19], 4, v[12:13]
	v_mov_b32_e32 v13, s5
	v_add_co_u32_e64 v18, s[0:1], s4, v18
	v_add_f64 v[2:3], v[20:21], v[22:23]
	v_addc_co_u32_e64 v19, s[0:1], v13, v19, s[0:1]
	s_and_saveexec_b64 s[0:1], s[2:3]
	s_cbranch_execz .LBB333_9
; %bb.17:                               ;   in Loop: Header=BB333_11 Depth=1
	global_load_dwordx4 v[20:23], v[18:19], off
	s_waitcnt vmcnt(0)
	v_fmac_f64_e32 v[0:1], v[8:9], v[20:21]
	v_fmac_f64_e32 v[2:3], v[10:11], v[20:21]
	v_fma_f64 v[0:1], -v[10:11], v[22:23], v[0:1]
	v_fmac_f64_e32 v[2:3], v[8:9], v[22:23]
	s_branch .LBB333_9
.LBB333_18:
	s_endpgm
	.section	.rodata,"a",@progbits
	.p2align	6, 0x0
	.amdhsa_kernel _ZN9rocsparseL21csrmvn_general_kernelILj256ELj16Eiid21rocsparse_complex_numIdES2_S2_EEvbT2_NS_24const_host_device_scalarIT6_EEPKT1_S9_PKS3_PKT3_PKT4_S6_PT5_21rocsparse_index_base_b
		.amdhsa_group_segment_fixed_size 4096
		.amdhsa_private_segment_fixed_size 0
		.amdhsa_kernarg_size 352
		.amdhsa_user_sgpr_count 8
		.amdhsa_user_sgpr_private_segment_buffer 1
		.amdhsa_user_sgpr_dispatch_ptr 1
		.amdhsa_user_sgpr_queue_ptr 0
		.amdhsa_user_sgpr_kernarg_segment_ptr 1
		.amdhsa_user_sgpr_dispatch_id 0
		.amdhsa_user_sgpr_flat_scratch_init 0
		.amdhsa_user_sgpr_kernarg_preload_length 0
		.amdhsa_user_sgpr_kernarg_preload_offset 0
		.amdhsa_user_sgpr_private_segment_size 0
		.amdhsa_uses_dynamic_stack 0
		.amdhsa_system_sgpr_private_segment_wavefront_offset 0
		.amdhsa_system_sgpr_workgroup_id_x 1
		.amdhsa_system_sgpr_workgroup_id_y 0
		.amdhsa_system_sgpr_workgroup_id_z 0
		.amdhsa_system_sgpr_workgroup_info 0
		.amdhsa_system_vgpr_workitem_id 2
		.amdhsa_next_free_vgpr 34
		.amdhsa_next_free_sgpr 26
		.amdhsa_accum_offset 36
		.amdhsa_reserve_vcc 1
		.amdhsa_reserve_flat_scratch 0
		.amdhsa_float_round_mode_32 0
		.amdhsa_float_round_mode_16_64 0
		.amdhsa_float_denorm_mode_32 3
		.amdhsa_float_denorm_mode_16_64 3
		.amdhsa_dx10_clamp 1
		.amdhsa_ieee_mode 1
		.amdhsa_fp16_overflow 0
		.amdhsa_tg_split 0
		.amdhsa_exception_fp_ieee_invalid_op 0
		.amdhsa_exception_fp_denorm_src 0
		.amdhsa_exception_fp_ieee_div_zero 0
		.amdhsa_exception_fp_ieee_overflow 0
		.amdhsa_exception_fp_ieee_underflow 0
		.amdhsa_exception_fp_ieee_inexact 0
		.amdhsa_exception_int_div_zero 0
	.end_amdhsa_kernel
	.section	.text._ZN9rocsparseL21csrmvn_general_kernelILj256ELj16Eiid21rocsparse_complex_numIdES2_S2_EEvbT2_NS_24const_host_device_scalarIT6_EEPKT1_S9_PKS3_PKT3_PKT4_S6_PT5_21rocsparse_index_base_b,"axG",@progbits,_ZN9rocsparseL21csrmvn_general_kernelILj256ELj16Eiid21rocsparse_complex_numIdES2_S2_EEvbT2_NS_24const_host_device_scalarIT6_EEPKT1_S9_PKS3_PKT3_PKT4_S6_PT5_21rocsparse_index_base_b,comdat
.Lfunc_end333:
	.size	_ZN9rocsparseL21csrmvn_general_kernelILj256ELj16Eiid21rocsparse_complex_numIdES2_S2_EEvbT2_NS_24const_host_device_scalarIT6_EEPKT1_S9_PKS3_PKT3_PKT4_S6_PT5_21rocsparse_index_base_b, .Lfunc_end333-_ZN9rocsparseL21csrmvn_general_kernelILj256ELj16Eiid21rocsparse_complex_numIdES2_S2_EEvbT2_NS_24const_host_device_scalarIT6_EEPKT1_S9_PKS3_PKT3_PKT4_S6_PT5_21rocsparse_index_base_b
                                        ; -- End function
	.section	.AMDGPU.csdata,"",@progbits
; Kernel info:
; codeLenInByte = 1140
; NumSgprs: 30
; NumVgprs: 34
; NumAgprs: 0
; TotalNumVgprs: 34
; ScratchSize: 0
; MemoryBound: 0
; FloatMode: 240
; IeeeMode: 1
; LDSByteSize: 4096 bytes/workgroup (compile time only)
; SGPRBlocks: 3
; VGPRBlocks: 4
; NumSGPRsForWavesPerEU: 30
; NumVGPRsForWavesPerEU: 34
; AccumOffset: 36
; Occupancy: 8
; WaveLimiterHint : 1
; COMPUTE_PGM_RSRC2:SCRATCH_EN: 0
; COMPUTE_PGM_RSRC2:USER_SGPR: 8
; COMPUTE_PGM_RSRC2:TRAP_HANDLER: 0
; COMPUTE_PGM_RSRC2:TGID_X_EN: 1
; COMPUTE_PGM_RSRC2:TGID_Y_EN: 0
; COMPUTE_PGM_RSRC2:TGID_Z_EN: 0
; COMPUTE_PGM_RSRC2:TIDIG_COMP_CNT: 2
; COMPUTE_PGM_RSRC3_GFX90A:ACCUM_OFFSET: 8
; COMPUTE_PGM_RSRC3_GFX90A:TG_SPLIT: 0
	.section	.text._ZN9rocsparseL21csrmvn_general_kernelILj256ELj32Eiid21rocsparse_complex_numIdES2_S2_EEvbT2_NS_24const_host_device_scalarIT6_EEPKT1_S9_PKS3_PKT3_PKT4_S6_PT5_21rocsparse_index_base_b,"axG",@progbits,_ZN9rocsparseL21csrmvn_general_kernelILj256ELj32Eiid21rocsparse_complex_numIdES2_S2_EEvbT2_NS_24const_host_device_scalarIT6_EEPKT1_S9_PKS3_PKT3_PKT4_S6_PT5_21rocsparse_index_base_b,comdat
	.globl	_ZN9rocsparseL21csrmvn_general_kernelILj256ELj32Eiid21rocsparse_complex_numIdES2_S2_EEvbT2_NS_24const_host_device_scalarIT6_EEPKT1_S9_PKS3_PKT3_PKT4_S6_PT5_21rocsparse_index_base_b ; -- Begin function _ZN9rocsparseL21csrmvn_general_kernelILj256ELj32Eiid21rocsparse_complex_numIdES2_S2_EEvbT2_NS_24const_host_device_scalarIT6_EEPKT1_S9_PKS3_PKT3_PKT4_S6_PT5_21rocsparse_index_base_b
	.p2align	8
	.type	_ZN9rocsparseL21csrmvn_general_kernelILj256ELj32Eiid21rocsparse_complex_numIdES2_S2_EEvbT2_NS_24const_host_device_scalarIT6_EEPKT1_S9_PKS3_PKT3_PKT4_S6_PT5_21rocsparse_index_base_b,@function
_ZN9rocsparseL21csrmvn_general_kernelILj256ELj32Eiid21rocsparse_complex_numIdES2_S2_EEvbT2_NS_24const_host_device_scalarIT6_EEPKT1_S9_PKS3_PKT3_PKT4_S6_PT5_21rocsparse_index_base_b: ; @_ZN9rocsparseL21csrmvn_general_kernelILj256ELj32Eiid21rocsparse_complex_numIdES2_S2_EEvbT2_NS_24const_host_device_scalarIT6_EEPKT1_S9_PKS3_PKT3_PKT4_S6_PT5_21rocsparse_index_base_b
; %bb.0:
	s_load_dwordx2 s[24:25], s[6:7], 0x58
	s_load_dwordx8 s[12:19], s[6:7], 0x8
	s_load_dwordx4 s[20:23], s[6:7], 0x40
	s_mov_b64 s[2:3], src_shared_base
	s_load_dwordx2 s[4:5], s[4:5], 0x4
	s_waitcnt lgkmcnt(0)
	s_bitcmp1_b32 s25, 0
	s_cselect_b64 s[0:1], -1, 0
	s_and_b64 vcc, s[0:1], exec
	s_cselect_b32 s2, s3, s13
	s_lshr_b32 s4, s4, 16
	v_and_b32_e32 v1, 0x3ff, v0
	s_mul_i32 s4, s4, s5
	v_mul_lo_u32 v2, s4, v1
	v_bfe_u32 v3, v0, 10, 10
	v_mad_u32_u24 v2, v3, s5, v2
	v_bfe_u32 v0, v0, 20, 10
	v_add_lshl_u32 v0, v2, v0, 3
	v_mov_b32_e32 v6, s12
	v_add_u32_e32 v7, 0x800, v0
	v_pk_mov_b32 v[2:3], s[12:13], s[12:13] op_sel:[0,1]
	v_pk_mov_b32 v[4:5], s[20:21], s[20:21] op_sel:[0,1]
	ds_write2st64_b64 v0, v[4:5], v[2:3] offset1:4
	v_cndmask_b32_e64 v2, v6, v7, s[0:1]
	v_mov_b32_e32 v3, s2
	flat_load_dwordx2 v[4:5], v[2:3]
	s_xor_b64 s[4:5], s[0:1], -1
	v_pk_mov_b32 v[6:7], s[14:15], s[14:15] op_sel:[0,1]
	s_cbranch_vccnz .LBB334_2
; %bb.1:
	v_pk_mov_b32 v[2:3], s[12:13], s[12:13] op_sel:[0,1]
	flat_load_dwordx2 v[6:7], v[2:3] offset:8
.LBB334_2:
	s_and_b64 s[10:11], s[0:1], exec
	s_cselect_b32 s2, s3, s21
	v_mov_b32_e32 v2, s20
	v_cndmask_b32_e64 v2, v2, v0, s[0:1]
	v_mov_b32_e32 v3, s2
	flat_load_dwordx2 v[8:9], v[2:3]
	s_andn2_b64 vcc, exec, s[4:5]
	v_pk_mov_b32 v[10:11], s[22:23], s[22:23] op_sel:[0,1]
	s_cbranch_vccnz .LBB334_4
; %bb.3:
	v_pk_mov_b32 v[2:3], s[20:21], s[20:21] op_sel:[0,1]
	flat_load_dwordx2 v[10:11], v[2:3] offset:8
.LBB334_4:
	s_waitcnt vmcnt(0) lgkmcnt(0)
	v_cmp_eq_f64_e32 vcc, 0, v[4:5]
	v_cmp_eq_f64_e64 s[0:1], 0, v[6:7]
	s_and_b64 s[4:5], vcc, s[0:1]
	s_mov_b64 s[0:1], -1
	s_and_saveexec_b64 s[2:3], s[4:5]
; %bb.5:
	v_cmp_neq_f64_e32 vcc, 1.0, v[8:9]
	v_cmp_neq_f64_e64 s[0:1], 0, v[10:11]
	s_or_b64 s[0:1], vcc, s[0:1]
	s_orn2_b64 s[0:1], s[0:1], exec
; %bb.6:
	s_or_b64 exec, exec, s[2:3]
	s_and_saveexec_b64 s[2:3], s[0:1]
	s_cbranch_execz .LBB334_18
; %bb.7:
	s_load_dword s20, s[6:7], 0x4
	v_lshl_or_b32 v0, s8, 8, v1
	v_lshrrev_b32_e32 v12, 5, v0
	s_waitcnt lgkmcnt(0)
	v_cmp_gt_i32_e32 vcc, s20, v12
	s_and_b64 exec, exec, vcc
	s_cbranch_execz .LBB334_18
; %bb.8:
	s_load_dword s2, s[6:7], 0x60
	s_load_dwordx2 s[4:5], s[6:7], 0x50
	s_load_dwordx4 s[8:11], s[6:7], 0x28
	s_load_dwordx2 s[0:1], s[6:7], 0x38
	s_ashr_i32 s25, s24, 31
	s_waitcnt lgkmcnt(0)
	s_lshl_b32 s21, s2, 3
	s_mov_b32 s2, 0
	s_brev_b32 s3, 1
	v_mul_f64 v[14:15], v[6:7], s[2:3]
	s_lshl_b64 s[2:3], s[24:25], 4
	s_sub_u32 s22, s0, s2
	v_and_b32_e32 v0, 31, v1
	s_subb_u32 s23, s1, s3
	v_cmp_neq_f64_e64 s[0:1], 0, v[8:9]
	v_cmp_neq_f64_e64 s[2:3], 0, v[10:11]
	v_subrev_u32_e32 v24, s24, v0
	s_mov_b64 s[6:7], 0
	v_mul_f64 v[16:17], v[4:5], 0
	v_cmp_eq_u32_e32 vcc, 31, v0
	s_or_b64 s[2:3], s[0:1], s[2:3]
	v_mov_b32_e32 v25, s17
	v_mov_b32_e32 v26, s19
	s_branch .LBB334_11
.LBB334_9:                              ;   in Loop: Header=BB334_11 Depth=1
	s_or_b64 exec, exec, s[0:1]
	global_store_dwordx4 v[18:19], v[0:3], off
.LBB334_10:                             ;   in Loop: Header=BB334_11 Depth=1
	s_or_b64 exec, exec, s[12:13]
	v_add_u32_e32 v12, s21, v12
	v_cmp_le_i32_e64 s[0:1], s20, v12
	s_or_b64 s[6:7], s[0:1], s[6:7]
	s_andn2_b64 exec, exec, s[6:7]
	s_cbranch_execz .LBB334_18
.LBB334_11:                             ; =>This Loop Header: Depth=1
                                        ;     Child Loop BB334_13 Depth 2
	v_ashrrev_i32_e32 v13, 31, v12
	v_lshlrev_b64 v[0:1], 2, v[12:13]
	v_add_co_u32_e64 v2, s[0:1], s16, v0
	v_addc_co_u32_e64 v3, s[0:1], v25, v1, s[0:1]
	v_add_co_u32_e64 v0, s[0:1], s18, v0
	v_addc_co_u32_e64 v1, s[0:1], v26, v1, s[0:1]
	global_load_dword v18, v[0:1], off
	global_load_dword v19, v[2:3], off
	v_pk_mov_b32 v[0:1], 0, 0
	v_pk_mov_b32 v[2:3], v[0:1], v[0:1] op_sel:[0,1]
	s_waitcnt vmcnt(1)
	v_subrev_u32_e32 v20, s24, v18
	s_waitcnt vmcnt(0)
	v_add_u32_e32 v18, v19, v24
	v_cmp_lt_i32_e64 s[0:1], v18, v20
	s_and_saveexec_b64 s[12:13], s[0:1]
	s_cbranch_execz .LBB334_15
; %bb.12:                               ;   in Loop: Header=BB334_11 Depth=1
	v_pk_mov_b32 v[0:1], 0, 0
	s_mov_b64 s[14:15], 0
	v_pk_mov_b32 v[2:3], v[0:1], v[0:1] op_sel:[0,1]
.LBB334_13:                             ;   Parent Loop BB334_11 Depth=1
                                        ; =>  This Inner Loop Header: Depth=2
	v_ashrrev_i32_e32 v19, 31, v18
	v_lshlrev_b64 v[22:23], 2, v[18:19]
	v_mov_b32_e32 v21, s9
	v_add_co_u32_e64 v22, s[0:1], s8, v22
	v_addc_co_u32_e64 v23, s[0:1], v21, v23, s[0:1]
	global_load_dword v22, v[22:23], off
	v_lshlrev_b64 v[28:29], 3, v[18:19]
	v_mov_b32_e32 v21, s11
	v_add_co_u32_e64 v28, s[0:1], s10, v28
	v_addc_co_u32_e64 v29, s[0:1], v21, v29, s[0:1]
	v_mov_b32_e32 v27, s23
	global_load_dwordx2 v[32:33], v[28:29], off
	v_add_u32_e32 v18, 32, v18
	s_waitcnt vmcnt(1)
	v_ashrrev_i32_e32 v23, 31, v22
	v_lshlrev_b64 v[22:23], 4, v[22:23]
	v_add_co_u32_e64 v22, s[0:1], s22, v22
	v_addc_co_u32_e64 v23, s[0:1], v27, v23, s[0:1]
	global_load_dwordx4 v[28:31], v[22:23], off
	v_cmp_ge_i32_e64 s[0:1], v18, v20
	s_waitcnt vmcnt(1)
	v_fma_f64 v[22:23], v[4:5], v[32:33], v[14:15]
	v_fma_f64 v[32:33], v[6:7], v[32:33], v[16:17]
	s_or_b64 s[14:15], s[0:1], s[14:15]
	s_waitcnt vmcnt(0)
	v_fmac_f64_e32 v[2:3], v[22:23], v[28:29]
	v_fmac_f64_e32 v[0:1], v[32:33], v[28:29]
	v_fma_f64 v[2:3], -v[32:33], v[30:31], v[2:3]
	v_fmac_f64_e32 v[0:1], v[22:23], v[30:31]
	s_andn2_b64 exec, exec, s[14:15]
	s_cbranch_execnz .LBB334_13
; %bb.14:                               ;   in Loop: Header=BB334_11 Depth=1
	s_or_b64 exec, exec, s[14:15]
.LBB334_15:                             ;   in Loop: Header=BB334_11 Depth=1
	s_or_b64 exec, exec, s[12:13]
	v_mov_b32_dpp v18, v2 row_shr:1 row_mask:0xf bank_mask:0xf
	v_mov_b32_dpp v19, v3 row_shr:1 row_mask:0xf bank_mask:0xf
	v_mov_b32_dpp v20, v0 row_shr:1 row_mask:0xf bank_mask:0xf
	v_mov_b32_dpp v21, v1 row_shr:1 row_mask:0xf bank_mask:0xf
	v_add_f64 v[2:3], v[2:3], v[18:19]
	v_add_f64 v[0:1], v[0:1], v[20:21]
	s_nop 0
	v_mov_b32_dpp v18, v2 row_shr:2 row_mask:0xf bank_mask:0xf
	v_mov_b32_dpp v19, v3 row_shr:2 row_mask:0xf bank_mask:0xf
	v_mov_b32_dpp v20, v0 row_shr:2 row_mask:0xf bank_mask:0xf
	v_mov_b32_dpp v21, v1 row_shr:2 row_mask:0xf bank_mask:0xf
	v_add_f64 v[2:3], v[2:3], v[18:19]
	v_add_f64 v[0:1], v[0:1], v[20:21]
	s_nop 0
	;; [unrolled: 7-line block ×4, first 2 shown]
	v_mov_b32_dpp v18, v2 row_bcast:15 row_mask:0xa bank_mask:0xf
	v_mov_b32_dpp v19, v3 row_bcast:15 row_mask:0xa bank_mask:0xf
	;; [unrolled: 1-line block ×4, first 2 shown]
	s_and_saveexec_b64 s[12:13], vcc
	s_cbranch_execz .LBB334_10
; %bb.16:                               ;   in Loop: Header=BB334_11 Depth=1
	v_add_f64 v[0:1], v[2:3], v[18:19]
	v_lshlrev_b64 v[18:19], 4, v[12:13]
	v_mov_b32_e32 v13, s5
	v_add_co_u32_e64 v18, s[0:1], s4, v18
	v_add_f64 v[2:3], v[20:21], v[22:23]
	v_addc_co_u32_e64 v19, s[0:1], v13, v19, s[0:1]
	s_and_saveexec_b64 s[0:1], s[2:3]
	s_cbranch_execz .LBB334_9
; %bb.17:                               ;   in Loop: Header=BB334_11 Depth=1
	global_load_dwordx4 v[20:23], v[18:19], off
	s_waitcnt vmcnt(0)
	v_fmac_f64_e32 v[0:1], v[8:9], v[20:21]
	v_fmac_f64_e32 v[2:3], v[10:11], v[20:21]
	v_fma_f64 v[0:1], -v[10:11], v[22:23], v[0:1]
	v_fmac_f64_e32 v[2:3], v[8:9], v[22:23]
	s_branch .LBB334_9
.LBB334_18:
	s_endpgm
	.section	.rodata,"a",@progbits
	.p2align	6, 0x0
	.amdhsa_kernel _ZN9rocsparseL21csrmvn_general_kernelILj256ELj32Eiid21rocsparse_complex_numIdES2_S2_EEvbT2_NS_24const_host_device_scalarIT6_EEPKT1_S9_PKS3_PKT3_PKT4_S6_PT5_21rocsparse_index_base_b
		.amdhsa_group_segment_fixed_size 4096
		.amdhsa_private_segment_fixed_size 0
		.amdhsa_kernarg_size 352
		.amdhsa_user_sgpr_count 8
		.amdhsa_user_sgpr_private_segment_buffer 1
		.amdhsa_user_sgpr_dispatch_ptr 1
		.amdhsa_user_sgpr_queue_ptr 0
		.amdhsa_user_sgpr_kernarg_segment_ptr 1
		.amdhsa_user_sgpr_dispatch_id 0
		.amdhsa_user_sgpr_flat_scratch_init 0
		.amdhsa_user_sgpr_kernarg_preload_length 0
		.amdhsa_user_sgpr_kernarg_preload_offset 0
		.amdhsa_user_sgpr_private_segment_size 0
		.amdhsa_uses_dynamic_stack 0
		.amdhsa_system_sgpr_private_segment_wavefront_offset 0
		.amdhsa_system_sgpr_workgroup_id_x 1
		.amdhsa_system_sgpr_workgroup_id_y 0
		.amdhsa_system_sgpr_workgroup_id_z 0
		.amdhsa_system_sgpr_workgroup_info 0
		.amdhsa_system_vgpr_workitem_id 2
		.amdhsa_next_free_vgpr 34
		.amdhsa_next_free_sgpr 26
		.amdhsa_accum_offset 36
		.amdhsa_reserve_vcc 1
		.amdhsa_reserve_flat_scratch 0
		.amdhsa_float_round_mode_32 0
		.amdhsa_float_round_mode_16_64 0
		.amdhsa_float_denorm_mode_32 3
		.amdhsa_float_denorm_mode_16_64 3
		.amdhsa_dx10_clamp 1
		.amdhsa_ieee_mode 1
		.amdhsa_fp16_overflow 0
		.amdhsa_tg_split 0
		.amdhsa_exception_fp_ieee_invalid_op 0
		.amdhsa_exception_fp_denorm_src 0
		.amdhsa_exception_fp_ieee_div_zero 0
		.amdhsa_exception_fp_ieee_overflow 0
		.amdhsa_exception_fp_ieee_underflow 0
		.amdhsa_exception_fp_ieee_inexact 0
		.amdhsa_exception_int_div_zero 0
	.end_amdhsa_kernel
	.section	.text._ZN9rocsparseL21csrmvn_general_kernelILj256ELj32Eiid21rocsparse_complex_numIdES2_S2_EEvbT2_NS_24const_host_device_scalarIT6_EEPKT1_S9_PKS3_PKT3_PKT4_S6_PT5_21rocsparse_index_base_b,"axG",@progbits,_ZN9rocsparseL21csrmvn_general_kernelILj256ELj32Eiid21rocsparse_complex_numIdES2_S2_EEvbT2_NS_24const_host_device_scalarIT6_EEPKT1_S9_PKS3_PKT3_PKT4_S6_PT5_21rocsparse_index_base_b,comdat
.Lfunc_end334:
	.size	_ZN9rocsparseL21csrmvn_general_kernelILj256ELj32Eiid21rocsparse_complex_numIdES2_S2_EEvbT2_NS_24const_host_device_scalarIT6_EEPKT1_S9_PKS3_PKT3_PKT4_S6_PT5_21rocsparse_index_base_b, .Lfunc_end334-_ZN9rocsparseL21csrmvn_general_kernelILj256ELj32Eiid21rocsparse_complex_numIdES2_S2_EEvbT2_NS_24const_host_device_scalarIT6_EEPKT1_S9_PKS3_PKT3_PKT4_S6_PT5_21rocsparse_index_base_b
                                        ; -- End function
	.section	.AMDGPU.csdata,"",@progbits
; Kernel info:
; codeLenInByte = 1192
; NumSgprs: 30
; NumVgprs: 34
; NumAgprs: 0
; TotalNumVgprs: 34
; ScratchSize: 0
; MemoryBound: 0
; FloatMode: 240
; IeeeMode: 1
; LDSByteSize: 4096 bytes/workgroup (compile time only)
; SGPRBlocks: 3
; VGPRBlocks: 4
; NumSGPRsForWavesPerEU: 30
; NumVGPRsForWavesPerEU: 34
; AccumOffset: 36
; Occupancy: 8
; WaveLimiterHint : 1
; COMPUTE_PGM_RSRC2:SCRATCH_EN: 0
; COMPUTE_PGM_RSRC2:USER_SGPR: 8
; COMPUTE_PGM_RSRC2:TRAP_HANDLER: 0
; COMPUTE_PGM_RSRC2:TGID_X_EN: 1
; COMPUTE_PGM_RSRC2:TGID_Y_EN: 0
; COMPUTE_PGM_RSRC2:TGID_Z_EN: 0
; COMPUTE_PGM_RSRC2:TIDIG_COMP_CNT: 2
; COMPUTE_PGM_RSRC3_GFX90A:ACCUM_OFFSET: 8
; COMPUTE_PGM_RSRC3_GFX90A:TG_SPLIT: 0
	.section	.text._ZN9rocsparseL21csrmvn_general_kernelILj256ELj64Eiid21rocsparse_complex_numIdES2_S2_EEvbT2_NS_24const_host_device_scalarIT6_EEPKT1_S9_PKS3_PKT3_PKT4_S6_PT5_21rocsparse_index_base_b,"axG",@progbits,_ZN9rocsparseL21csrmvn_general_kernelILj256ELj64Eiid21rocsparse_complex_numIdES2_S2_EEvbT2_NS_24const_host_device_scalarIT6_EEPKT1_S9_PKS3_PKT3_PKT4_S6_PT5_21rocsparse_index_base_b,comdat
	.globl	_ZN9rocsparseL21csrmvn_general_kernelILj256ELj64Eiid21rocsparse_complex_numIdES2_S2_EEvbT2_NS_24const_host_device_scalarIT6_EEPKT1_S9_PKS3_PKT3_PKT4_S6_PT5_21rocsparse_index_base_b ; -- Begin function _ZN9rocsparseL21csrmvn_general_kernelILj256ELj64Eiid21rocsparse_complex_numIdES2_S2_EEvbT2_NS_24const_host_device_scalarIT6_EEPKT1_S9_PKS3_PKT3_PKT4_S6_PT5_21rocsparse_index_base_b
	.p2align	8
	.type	_ZN9rocsparseL21csrmvn_general_kernelILj256ELj64Eiid21rocsparse_complex_numIdES2_S2_EEvbT2_NS_24const_host_device_scalarIT6_EEPKT1_S9_PKS3_PKT3_PKT4_S6_PT5_21rocsparse_index_base_b,@function
_ZN9rocsparseL21csrmvn_general_kernelILj256ELj64Eiid21rocsparse_complex_numIdES2_S2_EEvbT2_NS_24const_host_device_scalarIT6_EEPKT1_S9_PKS3_PKT3_PKT4_S6_PT5_21rocsparse_index_base_b: ; @_ZN9rocsparseL21csrmvn_general_kernelILj256ELj64Eiid21rocsparse_complex_numIdES2_S2_EEvbT2_NS_24const_host_device_scalarIT6_EEPKT1_S9_PKS3_PKT3_PKT4_S6_PT5_21rocsparse_index_base_b
; %bb.0:
	s_load_dwordx2 s[24:25], s[6:7], 0x58
	s_load_dwordx8 s[12:19], s[6:7], 0x8
	s_load_dwordx4 s[20:23], s[6:7], 0x40
	s_mov_b64 s[2:3], src_shared_base
	s_load_dwordx2 s[4:5], s[4:5], 0x4
	s_waitcnt lgkmcnt(0)
	s_bitcmp1_b32 s25, 0
	s_cselect_b64 s[0:1], -1, 0
	s_and_b64 vcc, s[0:1], exec
	s_cselect_b32 s2, s3, s13
	s_lshr_b32 s4, s4, 16
	v_and_b32_e32 v1, 0x3ff, v0
	s_mul_i32 s4, s4, s5
	v_mul_lo_u32 v2, s4, v1
	v_bfe_u32 v3, v0, 10, 10
	v_mad_u32_u24 v2, v3, s5, v2
	v_bfe_u32 v0, v0, 20, 10
	v_add_lshl_u32 v0, v2, v0, 3
	v_mov_b32_e32 v6, s12
	v_add_u32_e32 v7, 0x800, v0
	v_pk_mov_b32 v[2:3], s[12:13], s[12:13] op_sel:[0,1]
	v_pk_mov_b32 v[4:5], s[20:21], s[20:21] op_sel:[0,1]
	ds_write2st64_b64 v0, v[4:5], v[2:3] offset1:4
	v_cndmask_b32_e64 v2, v6, v7, s[0:1]
	v_mov_b32_e32 v3, s2
	flat_load_dwordx2 v[4:5], v[2:3]
	s_xor_b64 s[4:5], s[0:1], -1
	v_pk_mov_b32 v[6:7], s[14:15], s[14:15] op_sel:[0,1]
	s_cbranch_vccnz .LBB335_2
; %bb.1:
	v_pk_mov_b32 v[2:3], s[12:13], s[12:13] op_sel:[0,1]
	flat_load_dwordx2 v[6:7], v[2:3] offset:8
.LBB335_2:
	s_and_b64 s[10:11], s[0:1], exec
	s_cselect_b32 s2, s3, s21
	v_mov_b32_e32 v2, s20
	v_cndmask_b32_e64 v2, v2, v0, s[0:1]
	v_mov_b32_e32 v3, s2
	flat_load_dwordx2 v[8:9], v[2:3]
	s_andn2_b64 vcc, exec, s[4:5]
	v_pk_mov_b32 v[10:11], s[22:23], s[22:23] op_sel:[0,1]
	s_cbranch_vccnz .LBB335_4
; %bb.3:
	v_pk_mov_b32 v[2:3], s[20:21], s[20:21] op_sel:[0,1]
	flat_load_dwordx2 v[10:11], v[2:3] offset:8
.LBB335_4:
	s_waitcnt vmcnt(0) lgkmcnt(0)
	v_cmp_eq_f64_e32 vcc, 0, v[4:5]
	v_cmp_eq_f64_e64 s[0:1], 0, v[6:7]
	s_and_b64 s[4:5], vcc, s[0:1]
	s_mov_b64 s[0:1], -1
	s_and_saveexec_b64 s[2:3], s[4:5]
; %bb.5:
	v_cmp_neq_f64_e32 vcc, 1.0, v[8:9]
	v_cmp_neq_f64_e64 s[0:1], 0, v[10:11]
	s_or_b64 s[0:1], vcc, s[0:1]
	s_orn2_b64 s[0:1], s[0:1], exec
; %bb.6:
	s_or_b64 exec, exec, s[2:3]
	s_and_saveexec_b64 s[2:3], s[0:1]
	s_cbranch_execz .LBB335_18
; %bb.7:
	s_load_dword s20, s[6:7], 0x4
	v_lshl_or_b32 v0, s8, 8, v1
	v_lshrrev_b32_e32 v12, 6, v0
	s_waitcnt lgkmcnt(0)
	v_cmp_gt_i32_e32 vcc, s20, v12
	s_and_b64 exec, exec, vcc
	s_cbranch_execz .LBB335_18
; %bb.8:
	s_load_dword s2, s[6:7], 0x60
	s_load_dwordx2 s[4:5], s[6:7], 0x50
	s_load_dwordx4 s[8:11], s[6:7], 0x28
	s_load_dwordx2 s[0:1], s[6:7], 0x38
	s_ashr_i32 s25, s24, 31
	s_waitcnt lgkmcnt(0)
	s_lshl_b32 s21, s2, 2
	s_mov_b32 s2, 0
	s_brev_b32 s3, 1
	v_mul_f64 v[14:15], v[6:7], s[2:3]
	s_lshl_b64 s[2:3], s[24:25], 4
	s_sub_u32 s22, s0, s2
	v_and_b32_e32 v0, 63, v1
	s_subb_u32 s23, s1, s3
	v_cmp_neq_f64_e64 s[0:1], 0, v[8:9]
	v_cmp_neq_f64_e64 s[2:3], 0, v[10:11]
	v_subrev_u32_e32 v24, s24, v0
	s_mov_b64 s[6:7], 0
	v_mul_f64 v[16:17], v[4:5], 0
	v_cmp_eq_u32_e32 vcc, 63, v0
	s_or_b64 s[2:3], s[0:1], s[2:3]
	v_mov_b32_e32 v25, s17
	v_mov_b32_e32 v26, s19
	s_branch .LBB335_11
.LBB335_9:                              ;   in Loop: Header=BB335_11 Depth=1
	s_or_b64 exec, exec, s[0:1]
	global_store_dwordx4 v[18:19], v[0:3], off
.LBB335_10:                             ;   in Loop: Header=BB335_11 Depth=1
	s_or_b64 exec, exec, s[12:13]
	v_add_u32_e32 v12, s21, v12
	v_cmp_le_i32_e64 s[0:1], s20, v12
	s_or_b64 s[6:7], s[0:1], s[6:7]
	s_andn2_b64 exec, exec, s[6:7]
	s_cbranch_execz .LBB335_18
.LBB335_11:                             ; =>This Loop Header: Depth=1
                                        ;     Child Loop BB335_13 Depth 2
	v_ashrrev_i32_e32 v13, 31, v12
	v_lshlrev_b64 v[0:1], 2, v[12:13]
	v_add_co_u32_e64 v2, s[0:1], s16, v0
	v_addc_co_u32_e64 v3, s[0:1], v25, v1, s[0:1]
	v_add_co_u32_e64 v0, s[0:1], s18, v0
	v_addc_co_u32_e64 v1, s[0:1], v26, v1, s[0:1]
	global_load_dword v18, v[0:1], off
	global_load_dword v19, v[2:3], off
	v_pk_mov_b32 v[0:1], 0, 0
	v_pk_mov_b32 v[2:3], v[0:1], v[0:1] op_sel:[0,1]
	s_waitcnt vmcnt(1)
	v_subrev_u32_e32 v20, s24, v18
	s_waitcnt vmcnt(0)
	v_add_u32_e32 v18, v19, v24
	v_cmp_lt_i32_e64 s[0:1], v18, v20
	s_and_saveexec_b64 s[12:13], s[0:1]
	s_cbranch_execz .LBB335_15
; %bb.12:                               ;   in Loop: Header=BB335_11 Depth=1
	v_pk_mov_b32 v[0:1], 0, 0
	s_mov_b64 s[14:15], 0
	v_pk_mov_b32 v[2:3], v[0:1], v[0:1] op_sel:[0,1]
.LBB335_13:                             ;   Parent Loop BB335_11 Depth=1
                                        ; =>  This Inner Loop Header: Depth=2
	v_ashrrev_i32_e32 v19, 31, v18
	v_lshlrev_b64 v[22:23], 2, v[18:19]
	v_mov_b32_e32 v21, s9
	v_add_co_u32_e64 v22, s[0:1], s8, v22
	v_addc_co_u32_e64 v23, s[0:1], v21, v23, s[0:1]
	global_load_dword v22, v[22:23], off
	v_lshlrev_b64 v[28:29], 3, v[18:19]
	v_mov_b32_e32 v21, s11
	v_add_co_u32_e64 v28, s[0:1], s10, v28
	v_addc_co_u32_e64 v29, s[0:1], v21, v29, s[0:1]
	v_mov_b32_e32 v27, s23
	global_load_dwordx2 v[32:33], v[28:29], off
	v_add_u32_e32 v18, 64, v18
	s_waitcnt vmcnt(1)
	v_ashrrev_i32_e32 v23, 31, v22
	v_lshlrev_b64 v[22:23], 4, v[22:23]
	v_add_co_u32_e64 v22, s[0:1], s22, v22
	v_addc_co_u32_e64 v23, s[0:1], v27, v23, s[0:1]
	global_load_dwordx4 v[28:31], v[22:23], off
	v_cmp_ge_i32_e64 s[0:1], v18, v20
	s_waitcnt vmcnt(1)
	v_fma_f64 v[22:23], v[4:5], v[32:33], v[14:15]
	v_fma_f64 v[32:33], v[6:7], v[32:33], v[16:17]
	s_or_b64 s[14:15], s[0:1], s[14:15]
	s_waitcnt vmcnt(0)
	v_fmac_f64_e32 v[2:3], v[22:23], v[28:29]
	v_fmac_f64_e32 v[0:1], v[32:33], v[28:29]
	v_fma_f64 v[2:3], -v[32:33], v[30:31], v[2:3]
	v_fmac_f64_e32 v[0:1], v[22:23], v[30:31]
	s_andn2_b64 exec, exec, s[14:15]
	s_cbranch_execnz .LBB335_13
; %bb.14:                               ;   in Loop: Header=BB335_11 Depth=1
	s_or_b64 exec, exec, s[14:15]
.LBB335_15:                             ;   in Loop: Header=BB335_11 Depth=1
	s_or_b64 exec, exec, s[12:13]
	v_mov_b32_dpp v18, v2 row_shr:1 row_mask:0xf bank_mask:0xf
	v_mov_b32_dpp v19, v3 row_shr:1 row_mask:0xf bank_mask:0xf
	v_mov_b32_dpp v20, v0 row_shr:1 row_mask:0xf bank_mask:0xf
	v_mov_b32_dpp v21, v1 row_shr:1 row_mask:0xf bank_mask:0xf
	v_add_f64 v[2:3], v[2:3], v[18:19]
	v_add_f64 v[0:1], v[0:1], v[20:21]
	s_nop 0
	v_mov_b32_dpp v18, v2 row_shr:2 row_mask:0xf bank_mask:0xf
	v_mov_b32_dpp v19, v3 row_shr:2 row_mask:0xf bank_mask:0xf
	v_mov_b32_dpp v20, v0 row_shr:2 row_mask:0xf bank_mask:0xf
	v_mov_b32_dpp v21, v1 row_shr:2 row_mask:0xf bank_mask:0xf
	v_add_f64 v[2:3], v[2:3], v[18:19]
	v_add_f64 v[0:1], v[0:1], v[20:21]
	s_nop 0
	v_mov_b32_dpp v18, v2 row_shr:4 row_mask:0xf bank_mask:0xe
	v_mov_b32_dpp v19, v3 row_shr:4 row_mask:0xf bank_mask:0xe
	v_mov_b32_dpp v20, v0 row_shr:4 row_mask:0xf bank_mask:0xe
	v_mov_b32_dpp v21, v1 row_shr:4 row_mask:0xf bank_mask:0xe
	v_add_f64 v[2:3], v[2:3], v[18:19]
	v_add_f64 v[0:1], v[0:1], v[20:21]
	s_nop 0
	v_mov_b32_dpp v18, v2 row_shr:8 row_mask:0xf bank_mask:0xc
	v_mov_b32_dpp v19, v3 row_shr:8 row_mask:0xf bank_mask:0xc
	v_mov_b32_dpp v20, v0 row_shr:8 row_mask:0xf bank_mask:0xc
	v_mov_b32_dpp v21, v1 row_shr:8 row_mask:0xf bank_mask:0xc
	v_add_f64 v[2:3], v[2:3], v[18:19]
	v_add_f64 v[0:1], v[0:1], v[20:21]
	s_nop 0
	v_mov_b32_dpp v18, v2 row_bcast:15 row_mask:0xa bank_mask:0xf
	v_mov_b32_dpp v19, v3 row_bcast:15 row_mask:0xa bank_mask:0xf
	;; [unrolled: 1-line block ×4, first 2 shown]
	v_add_f64 v[2:3], v[2:3], v[18:19]
	v_add_f64 v[20:21], v[0:1], v[20:21]
	s_nop 0
	v_mov_b32_dpp v18, v2 row_bcast:31 row_mask:0xc bank_mask:0xf
	v_mov_b32_dpp v19, v3 row_bcast:31 row_mask:0xc bank_mask:0xf
	;; [unrolled: 1-line block ×4, first 2 shown]
	s_and_saveexec_b64 s[12:13], vcc
	s_cbranch_execz .LBB335_10
; %bb.16:                               ;   in Loop: Header=BB335_11 Depth=1
	v_add_f64 v[0:1], v[2:3], v[18:19]
	v_lshlrev_b64 v[18:19], 4, v[12:13]
	v_mov_b32_e32 v13, s5
	v_add_co_u32_e64 v18, s[0:1], s4, v18
	v_add_f64 v[2:3], v[20:21], v[22:23]
	v_addc_co_u32_e64 v19, s[0:1], v13, v19, s[0:1]
	s_and_saveexec_b64 s[0:1], s[2:3]
	s_cbranch_execz .LBB335_9
; %bb.17:                               ;   in Loop: Header=BB335_11 Depth=1
	global_load_dwordx4 v[20:23], v[18:19], off
	s_waitcnt vmcnt(0)
	v_fmac_f64_e32 v[0:1], v[8:9], v[20:21]
	v_fmac_f64_e32 v[2:3], v[10:11], v[20:21]
	v_fma_f64 v[0:1], -v[10:11], v[22:23], v[0:1]
	v_fmac_f64_e32 v[2:3], v[8:9], v[22:23]
	s_branch .LBB335_9
.LBB335_18:
	s_endpgm
	.section	.rodata,"a",@progbits
	.p2align	6, 0x0
	.amdhsa_kernel _ZN9rocsparseL21csrmvn_general_kernelILj256ELj64Eiid21rocsparse_complex_numIdES2_S2_EEvbT2_NS_24const_host_device_scalarIT6_EEPKT1_S9_PKS3_PKT3_PKT4_S6_PT5_21rocsparse_index_base_b
		.amdhsa_group_segment_fixed_size 4096
		.amdhsa_private_segment_fixed_size 0
		.amdhsa_kernarg_size 352
		.amdhsa_user_sgpr_count 8
		.amdhsa_user_sgpr_private_segment_buffer 1
		.amdhsa_user_sgpr_dispatch_ptr 1
		.amdhsa_user_sgpr_queue_ptr 0
		.amdhsa_user_sgpr_kernarg_segment_ptr 1
		.amdhsa_user_sgpr_dispatch_id 0
		.amdhsa_user_sgpr_flat_scratch_init 0
		.amdhsa_user_sgpr_kernarg_preload_length 0
		.amdhsa_user_sgpr_kernarg_preload_offset 0
		.amdhsa_user_sgpr_private_segment_size 0
		.amdhsa_uses_dynamic_stack 0
		.amdhsa_system_sgpr_private_segment_wavefront_offset 0
		.amdhsa_system_sgpr_workgroup_id_x 1
		.amdhsa_system_sgpr_workgroup_id_y 0
		.amdhsa_system_sgpr_workgroup_id_z 0
		.amdhsa_system_sgpr_workgroup_info 0
		.amdhsa_system_vgpr_workitem_id 2
		.amdhsa_next_free_vgpr 34
		.amdhsa_next_free_sgpr 26
		.amdhsa_accum_offset 36
		.amdhsa_reserve_vcc 1
		.amdhsa_reserve_flat_scratch 0
		.amdhsa_float_round_mode_32 0
		.amdhsa_float_round_mode_16_64 0
		.amdhsa_float_denorm_mode_32 3
		.amdhsa_float_denorm_mode_16_64 3
		.amdhsa_dx10_clamp 1
		.amdhsa_ieee_mode 1
		.amdhsa_fp16_overflow 0
		.amdhsa_tg_split 0
		.amdhsa_exception_fp_ieee_invalid_op 0
		.amdhsa_exception_fp_denorm_src 0
		.amdhsa_exception_fp_ieee_div_zero 0
		.amdhsa_exception_fp_ieee_overflow 0
		.amdhsa_exception_fp_ieee_underflow 0
		.amdhsa_exception_fp_ieee_inexact 0
		.amdhsa_exception_int_div_zero 0
	.end_amdhsa_kernel
	.section	.text._ZN9rocsparseL21csrmvn_general_kernelILj256ELj64Eiid21rocsparse_complex_numIdES2_S2_EEvbT2_NS_24const_host_device_scalarIT6_EEPKT1_S9_PKS3_PKT3_PKT4_S6_PT5_21rocsparse_index_base_b,"axG",@progbits,_ZN9rocsparseL21csrmvn_general_kernelILj256ELj64Eiid21rocsparse_complex_numIdES2_S2_EEvbT2_NS_24const_host_device_scalarIT6_EEPKT1_S9_PKS3_PKT3_PKT4_S6_PT5_21rocsparse_index_base_b,comdat
.Lfunc_end335:
	.size	_ZN9rocsparseL21csrmvn_general_kernelILj256ELj64Eiid21rocsparse_complex_numIdES2_S2_EEvbT2_NS_24const_host_device_scalarIT6_EEPKT1_S9_PKS3_PKT3_PKT4_S6_PT5_21rocsparse_index_base_b, .Lfunc_end335-_ZN9rocsparseL21csrmvn_general_kernelILj256ELj64Eiid21rocsparse_complex_numIdES2_S2_EEvbT2_NS_24const_host_device_scalarIT6_EEPKT1_S9_PKS3_PKT3_PKT4_S6_PT5_21rocsparse_index_base_b
                                        ; -- End function
	.section	.AMDGPU.csdata,"",@progbits
; Kernel info:
; codeLenInByte = 1244
; NumSgprs: 30
; NumVgprs: 34
; NumAgprs: 0
; TotalNumVgprs: 34
; ScratchSize: 0
; MemoryBound: 0
; FloatMode: 240
; IeeeMode: 1
; LDSByteSize: 4096 bytes/workgroup (compile time only)
; SGPRBlocks: 3
; VGPRBlocks: 4
; NumSGPRsForWavesPerEU: 30
; NumVGPRsForWavesPerEU: 34
; AccumOffset: 36
; Occupancy: 8
; WaveLimiterHint : 1
; COMPUTE_PGM_RSRC2:SCRATCH_EN: 0
; COMPUTE_PGM_RSRC2:USER_SGPR: 8
; COMPUTE_PGM_RSRC2:TRAP_HANDLER: 0
; COMPUTE_PGM_RSRC2:TGID_X_EN: 1
; COMPUTE_PGM_RSRC2:TGID_Y_EN: 0
; COMPUTE_PGM_RSRC2:TGID_Z_EN: 0
; COMPUTE_PGM_RSRC2:TIDIG_COMP_CNT: 2
; COMPUTE_PGM_RSRC3_GFX90A:ACCUM_OFFSET: 8
; COMPUTE_PGM_RSRC3_GFX90A:TG_SPLIT: 0
	.section	.text._ZN9rocsparseL21csrmvt_general_kernelILj256ELj4Eiid21rocsparse_complex_numIdES2_S2_EEvbbT2_NS_24const_host_device_scalarIT6_EEPKT1_S9_PKS3_PKT3_PKT4_PT5_21rocsparse_index_base_b,"axG",@progbits,_ZN9rocsparseL21csrmvt_general_kernelILj256ELj4Eiid21rocsparse_complex_numIdES2_S2_EEvbbT2_NS_24const_host_device_scalarIT6_EEPKT1_S9_PKS3_PKT3_PKT4_PT5_21rocsparse_index_base_b,comdat
	.globl	_ZN9rocsparseL21csrmvt_general_kernelILj256ELj4Eiid21rocsparse_complex_numIdES2_S2_EEvbbT2_NS_24const_host_device_scalarIT6_EEPKT1_S9_PKS3_PKT3_PKT4_PT5_21rocsparse_index_base_b ; -- Begin function _ZN9rocsparseL21csrmvt_general_kernelILj256ELj4Eiid21rocsparse_complex_numIdES2_S2_EEvbbT2_NS_24const_host_device_scalarIT6_EEPKT1_S9_PKS3_PKT3_PKT4_PT5_21rocsparse_index_base_b
	.p2align	8
	.type	_ZN9rocsparseL21csrmvt_general_kernelILj256ELj4Eiid21rocsparse_complex_numIdES2_S2_EEvbbT2_NS_24const_host_device_scalarIT6_EEPKT1_S9_PKS3_PKT3_PKT4_PT5_21rocsparse_index_base_b,@function
_ZN9rocsparseL21csrmvt_general_kernelILj256ELj4Eiid21rocsparse_complex_numIdES2_S2_EEvbbT2_NS_24const_host_device_scalarIT6_EEPKT1_S9_PKS3_PKT3_PKT4_PT5_21rocsparse_index_base_b: ; @_ZN9rocsparseL21csrmvt_general_kernelILj256ELj4Eiid21rocsparse_complex_numIdES2_S2_EEvbbT2_NS_24const_host_device_scalarIT6_EEPKT1_S9_PKS3_PKT3_PKT4_PT5_21rocsparse_index_base_b
; %bb.0:
	s_load_dwordx2 s[2:3], s[6:7], 0x48
	s_load_dwordx2 s[0:1], s[4:5], 0x4
	s_load_dwordx8 s[12:19], s[6:7], 0x8
	v_and_b32_e32 v1, 0x3ff, v0
	v_bfe_u32 v3, v0, 10, 10
	s_waitcnt lgkmcnt(0)
	s_and_b32 s3, 1, s3
	s_lshr_b32 s0, s0, 16
	s_mul_i32 s0, s0, s1
	v_mul_lo_u32 v2, s0, v1
	s_cmp_eq_u32 s3, 1
	v_mad_u32_u24 v2, v3, s1, v2
	v_bfe_u32 v0, v0, 20, 10
	v_add_lshl_u32 v0, v2, v0, 3
	v_pk_mov_b32 v[2:3], s[12:13], s[12:13] op_sel:[0,1]
	s_cselect_b64 vcc, -1, 0
	ds_write_b64 v0, v[2:3]
	s_mov_b64 s[0:1], src_shared_base
	v_cndmask_b32_e32 v2, v2, v0, vcc
	s_and_b64 vcc, vcc, exec
	s_cselect_b32 s0, s1, s13
	v_mov_b32_e32 v3, s0
	flat_load_dwordx2 v[4:5], v[2:3]
	v_pk_mov_b32 v[6:7], s[14:15], s[14:15] op_sel:[0,1]
	s_cbranch_vccnz .LBB336_2
; %bb.1:
	v_pk_mov_b32 v[2:3], s[12:13], s[12:13] op_sel:[0,1]
	flat_load_dwordx2 v[6:7], v[2:3] offset:8
.LBB336_2:
	s_waitcnt vmcnt(0) lgkmcnt(0)
	v_cmp_neq_f64_e32 vcc, 0, v[4:5]
	v_cmp_neq_f64_e64 s[0:1], 0, v[6:7]
	s_or_b64 s[0:1], vcc, s[0:1]
	s_and_saveexec_b64 s[4:5], s[0:1]
	s_cbranch_execz .LBB336_27
; %bb.3:
	s_load_dwordx2 s[4:5], s[6:7], 0x0
	s_load_dword s0, s[6:7], 0x50
	s_load_dwordx8 s[20:27], s[6:7], 0x28
	v_lshl_or_b32 v0, s8, 8, v1
	v_lshrrev_b32_e32 v8, 2, v0
	s_waitcnt lgkmcnt(0)
	s_and_b32 s1, s4, 1
	s_lshl_b32 s3, s0, 6
	v_and_b32_e32 v9, 3, v1
	s_cmp_eq_u32 s1, 0
	v_cmp_gt_i32_e64 s[0:1], s5, v8
	s_mov_b64 s[6:7], -1
	s_cbranch_scc0 .LBB336_15
; %bb.4:
	s_and_saveexec_b64 s[6:7], s[0:1]
	s_cbranch_execz .LBB336_14
; %bb.5:
	s_mov_b32 s10, 0
	v_subrev_u32_e32 v28, s2, v9
	s_mov_b64 s[8:9], 0
	v_mov_b32_e32 v29, s17
	v_mov_b32_e32 v30, s19
	s_brev_b32 s11, 1
	v_mov_b32_e32 v10, v8
	s_branch .LBB336_7
.LBB336_6:                              ;   in Loop: Header=BB336_7 Depth=1
	s_or_b64 exec, exec, s[12:13]
	v_add_u32_e32 v10, s3, v10
	v_cmp_le_i32_e32 vcc, s5, v10
	s_or_b64 s[8:9], vcc, s[8:9]
	s_andn2_b64 exec, exec, s[8:9]
	s_cbranch_execz .LBB336_14
.LBB336_7:                              ; =>This Loop Header: Depth=1
                                        ;     Child Loop BB336_9 Depth 2
                                        ;       Child Loop BB336_10 Depth 3
                                        ;       Child Loop BB336_12 Depth 3
	v_ashrrev_i32_e32 v11, 31, v10
	v_lshlrev_b64 v[0:1], 2, v[10:11]
	v_add_co_u32_e32 v2, vcc, s16, v0
	v_addc_co_u32_e32 v3, vcc, v29, v1, vcc
	v_add_co_u32_e32 v0, vcc, s18, v0
	v_addc_co_u32_e32 v1, vcc, v30, v1, vcc
	global_load_dword v12, v[0:1], off
	global_load_dword v13, v[2:3], off
	s_waitcnt vmcnt(1)
	v_subrev_u32_e32 v31, s2, v12
	s_waitcnt vmcnt(0)
	v_add_u32_e32 v12, v13, v28
	v_cmp_lt_i32_e32 vcc, v12, v31
	s_and_saveexec_b64 s[12:13], vcc
	s_cbranch_execz .LBB336_6
; %bb.8:                                ;   in Loop: Header=BB336_7 Depth=1
	v_lshlrev_b64 v[0:1], 4, v[10:11]
	v_mov_b32_e32 v2, s25
	v_add_co_u32_e32 v0, vcc, s24, v0
	v_addc_co_u32_e32 v1, vcc, v2, v1, vcc
	global_load_dwordx4 v[0:3], v[0:1], off
	s_mov_b64 s[14:15], 0
	s_waitcnt vmcnt(0)
	v_mul_f64 v[14:15], v[2:3], -v[6:7]
	v_mul_f64 v[16:17], v[4:5], v[2:3]
	v_fmac_f64_e32 v[14:15], v[4:5], v[0:1]
	v_fmac_f64_e32 v[16:17], v[6:7], v[0:1]
	v_mul_f64 v[18:19], v[16:17], s[10:11]
	v_mul_f64 v[20:21], v[14:15], 0
.LBB336_9:                              ;   Parent Loop BB336_7 Depth=1
                                        ; =>  This Loop Header: Depth=2
                                        ;       Child Loop BB336_10 Depth 3
                                        ;       Child Loop BB336_12 Depth 3
	v_ashrrev_i32_e32 v13, 31, v12
	v_lshlrev_b64 v[0:1], 2, v[12:13]
	v_mov_b32_e32 v2, s21
	v_add_co_u32_e32 v0, vcc, s20, v0
	v_addc_co_u32_e32 v1, vcc, v2, v1, vcc
	global_load_dword v2, v[0:1], off
	v_lshlrev_b64 v[0:1], 3, v[12:13]
	v_mov_b32_e32 v3, s23
	v_add_co_u32_e32 v0, vcc, s22, v0
	v_addc_co_u32_e32 v1, vcc, v3, v1, vcc
	global_load_dwordx2 v[24:25], v[0:1], off
	v_mov_b32_e32 v11, s27
	s_mov_b64 s[28:29], 0
	s_waitcnt vmcnt(1)
	v_subrev_u32_e32 v0, s2, v2
	v_ashrrev_i32_e32 v1, 31, v0
	v_lshlrev_b64 v[0:1], 4, v[0:1]
	v_add_co_u32_e32 v22, vcc, s26, v0
	v_addc_co_u32_e32 v23, vcc, v11, v1, vcc
	global_load_dwordx2 v[2:3], v[22:23], off
	s_waitcnt vmcnt(1)
	v_fma_f64 v[26:27], v[14:15], v[24:25], v[18:19]
.LBB336_10:                             ;   Parent Loop BB336_7 Depth=1
                                        ;     Parent Loop BB336_9 Depth=2
                                        ; =>    This Inner Loop Header: Depth=3
	s_waitcnt vmcnt(0)
	v_add_f64 v[0:1], v[2:3], v[26:27]
	global_atomic_cmpswap_x2 v[0:1], v[22:23], v[0:3], off glc
	s_waitcnt vmcnt(0)
	v_cmp_eq_u64_e32 vcc, v[0:1], v[2:3]
	s_or_b64 s[28:29], vcc, s[28:29]
	v_pk_mov_b32 v[2:3], v[0:1], v[0:1] op_sel:[0,1]
	s_andn2_b64 exec, exec, s[28:29]
	s_cbranch_execnz .LBB336_10
; %bb.11:                               ;   in Loop: Header=BB336_9 Depth=2
	s_or_b64 exec, exec, s[28:29]
	global_load_dwordx2 v[2:3], v[22:23], off offset:8
	v_fma_f64 v[24:25], v[16:17], v[24:25], v[20:21]
	s_mov_b64 s[28:29], 0
.LBB336_12:                             ;   Parent Loop BB336_7 Depth=1
                                        ;     Parent Loop BB336_9 Depth=2
                                        ; =>    This Inner Loop Header: Depth=3
	s_waitcnt vmcnt(0)
	v_add_f64 v[0:1], v[2:3], v[24:25]
	global_atomic_cmpswap_x2 v[0:1], v[22:23], v[0:3], off offset:8 glc
	s_waitcnt vmcnt(0)
	v_cmp_eq_u64_e32 vcc, v[0:1], v[2:3]
	s_or_b64 s[28:29], vcc, s[28:29]
	v_pk_mov_b32 v[2:3], v[0:1], v[0:1] op_sel:[0,1]
	s_andn2_b64 exec, exec, s[28:29]
	s_cbranch_execnz .LBB336_12
; %bb.13:                               ;   in Loop: Header=BB336_9 Depth=2
	s_or_b64 exec, exec, s[28:29]
	v_add_u32_e32 v12, 4, v12
	v_cmp_ge_i32_e32 vcc, v12, v31
	s_or_b64 s[14:15], vcc, s[14:15]
	s_andn2_b64 exec, exec, s[14:15]
	s_cbranch_execnz .LBB336_9
	s_branch .LBB336_6
.LBB336_14:
	s_or_b64 exec, exec, s[6:7]
	s_mov_b64 s[6:7], 0
.LBB336_15:
	s_andn2_b64 vcc, exec, s[6:7]
	s_cbranch_vccnz .LBB336_27
; %bb.16:
	s_and_b64 exec, exec, s[0:1]
	s_cbranch_execz .LBB336_27
; %bb.17:
	s_mov_b32 s6, 0
	v_subrev_u32_e32 v26, s2, v9
	s_mov_b64 s[0:1], 0
	v_mov_b32_e32 v27, s17
	v_mov_b32_e32 v28, s19
	s_brev_b32 s7, 1
	s_branch .LBB336_19
.LBB336_18:                             ;   in Loop: Header=BB336_19 Depth=1
	s_or_b64 exec, exec, s[8:9]
	v_add_u32_e32 v8, s3, v8
	v_cmp_le_i32_e32 vcc, s5, v8
	s_or_b64 s[0:1], vcc, s[0:1]
	s_andn2_b64 exec, exec, s[0:1]
	s_cbranch_execz .LBB336_27
.LBB336_19:                             ; =>This Loop Header: Depth=1
                                        ;     Child Loop BB336_22 Depth 2
                                        ;       Child Loop BB336_24 Depth 3
                                        ;       Child Loop BB336_26 Depth 3
	v_ashrrev_i32_e32 v9, 31, v8
	v_lshlrev_b64 v[0:1], 2, v[8:9]
	v_add_co_u32_e32 v2, vcc, s16, v0
	v_addc_co_u32_e32 v3, vcc, v27, v1, vcc
	v_add_co_u32_e32 v0, vcc, s18, v0
	v_addc_co_u32_e32 v1, vcc, v28, v1, vcc
	global_load_dword v10, v[0:1], off
	global_load_dword v11, v[2:3], off
	s_waitcnt vmcnt(1)
	v_subrev_u32_e32 v29, s2, v10
	s_waitcnt vmcnt(0)
	v_add_u32_e32 v10, v11, v26
	v_cmp_lt_i32_e32 vcc, v10, v29
	s_and_saveexec_b64 s[8:9], vcc
	s_cbranch_execz .LBB336_18
; %bb.20:                               ;   in Loop: Header=BB336_19 Depth=1
	v_lshlrev_b64 v[0:1], 4, v[8:9]
	v_mov_b32_e32 v2, s25
	v_add_co_u32_e32 v0, vcc, s24, v0
	v_addc_co_u32_e32 v1, vcc, v2, v1, vcc
	global_load_dwordx4 v[0:3], v[0:1], off
	s_mov_b64 s[10:11], 0
	s_waitcnt vmcnt(0)
	v_mul_f64 v[12:13], v[2:3], -v[6:7]
	v_mul_f64 v[14:15], v[4:5], v[2:3]
	v_fmac_f64_e32 v[12:13], v[4:5], v[0:1]
	v_fmac_f64_e32 v[14:15], v[6:7], v[0:1]
	v_mul_f64 v[16:17], v[14:15], s[6:7]
	v_mul_f64 v[18:19], v[12:13], 0
	s_branch .LBB336_22
.LBB336_21:                             ;   in Loop: Header=BB336_22 Depth=2
	s_or_b64 exec, exec, s[12:13]
	v_add_u32_e32 v10, 4, v10
	v_cmp_ge_i32_e32 vcc, v10, v29
	s_or_b64 s[10:11], vcc, s[10:11]
	s_andn2_b64 exec, exec, s[10:11]
	s_cbranch_execz .LBB336_18
.LBB336_22:                             ;   Parent Loop BB336_19 Depth=1
                                        ; =>  This Loop Header: Depth=2
                                        ;       Child Loop BB336_24 Depth 3
                                        ;       Child Loop BB336_26 Depth 3
	v_ashrrev_i32_e32 v11, 31, v10
	v_lshlrev_b64 v[0:1], 2, v[10:11]
	v_mov_b32_e32 v2, s21
	v_add_co_u32_e32 v0, vcc, s20, v0
	v_addc_co_u32_e32 v1, vcc, v2, v1, vcc
	global_load_dword v0, v[0:1], off
	s_waitcnt vmcnt(0)
	v_subrev_u32_e32 v0, s2, v0
	v_cmp_ne_u32_e32 vcc, v0, v8
	s_and_saveexec_b64 s[12:13], vcc
	s_cbranch_execz .LBB336_21
; %bb.23:                               ;   in Loop: Header=BB336_22 Depth=2
	v_lshlrev_b64 v[2:3], 3, v[10:11]
	v_mov_b32_e32 v1, s23
	v_add_co_u32_e32 v2, vcc, s22, v2
	v_addc_co_u32_e32 v3, vcc, v1, v3, vcc
	v_ashrrev_i32_e32 v1, 31, v0
	v_lshlrev_b64 v[0:1], 4, v[0:1]
	global_load_dwordx2 v[22:23], v[2:3], off
	v_mov_b32_e32 v2, s27
	v_add_co_u32_e32 v20, vcc, s26, v0
	v_addc_co_u32_e32 v21, vcc, v2, v1, vcc
	global_load_dwordx2 v[2:3], v[20:21], off
	s_mov_b64 s[14:15], 0
	s_waitcnt vmcnt(1)
	v_fma_f64 v[24:25], v[12:13], v[22:23], v[16:17]
.LBB336_24:                             ;   Parent Loop BB336_19 Depth=1
                                        ;     Parent Loop BB336_22 Depth=2
                                        ; =>    This Inner Loop Header: Depth=3
	s_waitcnt vmcnt(0)
	v_add_f64 v[0:1], v[2:3], v[24:25]
	global_atomic_cmpswap_x2 v[0:1], v[20:21], v[0:3], off glc
	s_waitcnt vmcnt(0)
	v_cmp_eq_u64_e32 vcc, v[0:1], v[2:3]
	s_or_b64 s[14:15], vcc, s[14:15]
	v_pk_mov_b32 v[2:3], v[0:1], v[0:1] op_sel:[0,1]
	s_andn2_b64 exec, exec, s[14:15]
	s_cbranch_execnz .LBB336_24
; %bb.25:                               ;   in Loop: Header=BB336_22 Depth=2
	s_or_b64 exec, exec, s[14:15]
	global_load_dwordx2 v[2:3], v[20:21], off offset:8
	v_fma_f64 v[22:23], v[14:15], v[22:23], v[18:19]
	s_mov_b64 s[14:15], 0
.LBB336_26:                             ;   Parent Loop BB336_19 Depth=1
                                        ;     Parent Loop BB336_22 Depth=2
                                        ; =>    This Inner Loop Header: Depth=3
	s_waitcnt vmcnt(0)
	v_add_f64 v[0:1], v[2:3], v[22:23]
	global_atomic_cmpswap_x2 v[0:1], v[20:21], v[0:3], off offset:8 glc
	s_waitcnt vmcnt(0)
	v_cmp_eq_u64_e32 vcc, v[0:1], v[2:3]
	s_or_b64 s[14:15], vcc, s[14:15]
	v_pk_mov_b32 v[2:3], v[0:1], v[0:1] op_sel:[0,1]
	s_andn2_b64 exec, exec, s[14:15]
	s_cbranch_execnz .LBB336_26
	s_branch .LBB336_21
.LBB336_27:
	s_endpgm
	.section	.rodata,"a",@progbits
	.p2align	6, 0x0
	.amdhsa_kernel _ZN9rocsparseL21csrmvt_general_kernelILj256ELj4Eiid21rocsparse_complex_numIdES2_S2_EEvbbT2_NS_24const_host_device_scalarIT6_EEPKT1_S9_PKS3_PKT3_PKT4_PT5_21rocsparse_index_base_b
		.amdhsa_group_segment_fixed_size 2048
		.amdhsa_private_segment_fixed_size 0
		.amdhsa_kernarg_size 336
		.amdhsa_user_sgpr_count 8
		.amdhsa_user_sgpr_private_segment_buffer 1
		.amdhsa_user_sgpr_dispatch_ptr 1
		.amdhsa_user_sgpr_queue_ptr 0
		.amdhsa_user_sgpr_kernarg_segment_ptr 1
		.amdhsa_user_sgpr_dispatch_id 0
		.amdhsa_user_sgpr_flat_scratch_init 0
		.amdhsa_user_sgpr_kernarg_preload_length 0
		.amdhsa_user_sgpr_kernarg_preload_offset 0
		.amdhsa_user_sgpr_private_segment_size 0
		.amdhsa_uses_dynamic_stack 0
		.amdhsa_system_sgpr_private_segment_wavefront_offset 0
		.amdhsa_system_sgpr_workgroup_id_x 1
		.amdhsa_system_sgpr_workgroup_id_y 0
		.amdhsa_system_sgpr_workgroup_id_z 0
		.amdhsa_system_sgpr_workgroup_info 0
		.amdhsa_system_vgpr_workitem_id 2
		.amdhsa_next_free_vgpr 32
		.amdhsa_next_free_sgpr 30
		.amdhsa_accum_offset 32
		.amdhsa_reserve_vcc 1
		.amdhsa_reserve_flat_scratch 0
		.amdhsa_float_round_mode_32 0
		.amdhsa_float_round_mode_16_64 0
		.amdhsa_float_denorm_mode_32 3
		.amdhsa_float_denorm_mode_16_64 3
		.amdhsa_dx10_clamp 1
		.amdhsa_ieee_mode 1
		.amdhsa_fp16_overflow 0
		.amdhsa_tg_split 0
		.amdhsa_exception_fp_ieee_invalid_op 0
		.amdhsa_exception_fp_denorm_src 0
		.amdhsa_exception_fp_ieee_div_zero 0
		.amdhsa_exception_fp_ieee_overflow 0
		.amdhsa_exception_fp_ieee_underflow 0
		.amdhsa_exception_fp_ieee_inexact 0
		.amdhsa_exception_int_div_zero 0
	.end_amdhsa_kernel
	.section	.text._ZN9rocsparseL21csrmvt_general_kernelILj256ELj4Eiid21rocsparse_complex_numIdES2_S2_EEvbbT2_NS_24const_host_device_scalarIT6_EEPKT1_S9_PKS3_PKT3_PKT4_PT5_21rocsparse_index_base_b,"axG",@progbits,_ZN9rocsparseL21csrmvt_general_kernelILj256ELj4Eiid21rocsparse_complex_numIdES2_S2_EEvbbT2_NS_24const_host_device_scalarIT6_EEPKT1_S9_PKS3_PKT3_PKT4_PT5_21rocsparse_index_base_b,comdat
.Lfunc_end336:
	.size	_ZN9rocsparseL21csrmvt_general_kernelILj256ELj4Eiid21rocsparse_complex_numIdES2_S2_EEvbbT2_NS_24const_host_device_scalarIT6_EEPKT1_S9_PKS3_PKT3_PKT4_PT5_21rocsparse_index_base_b, .Lfunc_end336-_ZN9rocsparseL21csrmvt_general_kernelILj256ELj4Eiid21rocsparse_complex_numIdES2_S2_EEvbbT2_NS_24const_host_device_scalarIT6_EEPKT1_S9_PKS3_PKT3_PKT4_PT5_21rocsparse_index_base_b
                                        ; -- End function
	.section	.AMDGPU.csdata,"",@progbits
; Kernel info:
; codeLenInByte = 1252
; NumSgprs: 34
; NumVgprs: 32
; NumAgprs: 0
; TotalNumVgprs: 32
; ScratchSize: 0
; MemoryBound: 0
; FloatMode: 240
; IeeeMode: 1
; LDSByteSize: 2048 bytes/workgroup (compile time only)
; SGPRBlocks: 4
; VGPRBlocks: 3
; NumSGPRsForWavesPerEU: 34
; NumVGPRsForWavesPerEU: 32
; AccumOffset: 32
; Occupancy: 8
; WaveLimiterHint : 1
; COMPUTE_PGM_RSRC2:SCRATCH_EN: 0
; COMPUTE_PGM_RSRC2:USER_SGPR: 8
; COMPUTE_PGM_RSRC2:TRAP_HANDLER: 0
; COMPUTE_PGM_RSRC2:TGID_X_EN: 1
; COMPUTE_PGM_RSRC2:TGID_Y_EN: 0
; COMPUTE_PGM_RSRC2:TGID_Z_EN: 0
; COMPUTE_PGM_RSRC2:TIDIG_COMP_CNT: 2
; COMPUTE_PGM_RSRC3_GFX90A:ACCUM_OFFSET: 7
; COMPUTE_PGM_RSRC3_GFX90A:TG_SPLIT: 0
	.section	.text._ZN9rocsparseL21csrmvt_general_kernelILj256ELj8Eiid21rocsparse_complex_numIdES2_S2_EEvbbT2_NS_24const_host_device_scalarIT6_EEPKT1_S9_PKS3_PKT3_PKT4_PT5_21rocsparse_index_base_b,"axG",@progbits,_ZN9rocsparseL21csrmvt_general_kernelILj256ELj8Eiid21rocsparse_complex_numIdES2_S2_EEvbbT2_NS_24const_host_device_scalarIT6_EEPKT1_S9_PKS3_PKT3_PKT4_PT5_21rocsparse_index_base_b,comdat
	.globl	_ZN9rocsparseL21csrmvt_general_kernelILj256ELj8Eiid21rocsparse_complex_numIdES2_S2_EEvbbT2_NS_24const_host_device_scalarIT6_EEPKT1_S9_PKS3_PKT3_PKT4_PT5_21rocsparse_index_base_b ; -- Begin function _ZN9rocsparseL21csrmvt_general_kernelILj256ELj8Eiid21rocsparse_complex_numIdES2_S2_EEvbbT2_NS_24const_host_device_scalarIT6_EEPKT1_S9_PKS3_PKT3_PKT4_PT5_21rocsparse_index_base_b
	.p2align	8
	.type	_ZN9rocsparseL21csrmvt_general_kernelILj256ELj8Eiid21rocsparse_complex_numIdES2_S2_EEvbbT2_NS_24const_host_device_scalarIT6_EEPKT1_S9_PKS3_PKT3_PKT4_PT5_21rocsparse_index_base_b,@function
_ZN9rocsparseL21csrmvt_general_kernelILj256ELj8Eiid21rocsparse_complex_numIdES2_S2_EEvbbT2_NS_24const_host_device_scalarIT6_EEPKT1_S9_PKS3_PKT3_PKT4_PT5_21rocsparse_index_base_b: ; @_ZN9rocsparseL21csrmvt_general_kernelILj256ELj8Eiid21rocsparse_complex_numIdES2_S2_EEvbbT2_NS_24const_host_device_scalarIT6_EEPKT1_S9_PKS3_PKT3_PKT4_PT5_21rocsparse_index_base_b
; %bb.0:
	s_load_dwordx2 s[2:3], s[6:7], 0x48
	s_load_dwordx2 s[0:1], s[4:5], 0x4
	s_load_dwordx8 s[12:19], s[6:7], 0x8
	v_and_b32_e32 v1, 0x3ff, v0
	v_bfe_u32 v3, v0, 10, 10
	s_waitcnt lgkmcnt(0)
	s_and_b32 s3, 1, s3
	s_lshr_b32 s0, s0, 16
	s_mul_i32 s0, s0, s1
	v_mul_lo_u32 v2, s0, v1
	s_cmp_eq_u32 s3, 1
	v_mad_u32_u24 v2, v3, s1, v2
	v_bfe_u32 v0, v0, 20, 10
	v_add_lshl_u32 v0, v2, v0, 3
	v_pk_mov_b32 v[2:3], s[12:13], s[12:13] op_sel:[0,1]
	s_cselect_b64 vcc, -1, 0
	ds_write_b64 v0, v[2:3]
	s_mov_b64 s[0:1], src_shared_base
	v_cndmask_b32_e32 v2, v2, v0, vcc
	s_and_b64 vcc, vcc, exec
	s_cselect_b32 s0, s1, s13
	v_mov_b32_e32 v3, s0
	flat_load_dwordx2 v[4:5], v[2:3]
	v_pk_mov_b32 v[6:7], s[14:15], s[14:15] op_sel:[0,1]
	s_cbranch_vccnz .LBB337_2
; %bb.1:
	v_pk_mov_b32 v[2:3], s[12:13], s[12:13] op_sel:[0,1]
	flat_load_dwordx2 v[6:7], v[2:3] offset:8
.LBB337_2:
	s_waitcnt vmcnt(0) lgkmcnt(0)
	v_cmp_neq_f64_e32 vcc, 0, v[4:5]
	v_cmp_neq_f64_e64 s[0:1], 0, v[6:7]
	s_or_b64 s[0:1], vcc, s[0:1]
	s_and_saveexec_b64 s[4:5], s[0:1]
	s_cbranch_execz .LBB337_27
; %bb.3:
	s_load_dwordx2 s[4:5], s[6:7], 0x0
	s_load_dword s0, s[6:7], 0x50
	s_load_dwordx8 s[20:27], s[6:7], 0x28
	v_lshl_or_b32 v0, s8, 8, v1
	v_lshrrev_b32_e32 v8, 3, v0
	s_waitcnt lgkmcnt(0)
	s_and_b32 s1, s4, 1
	s_lshl_b32 s3, s0, 5
	v_and_b32_e32 v9, 7, v1
	s_cmp_eq_u32 s1, 0
	v_cmp_gt_i32_e64 s[0:1], s5, v8
	s_mov_b64 s[6:7], -1
	s_cbranch_scc0 .LBB337_15
; %bb.4:
	s_and_saveexec_b64 s[6:7], s[0:1]
	s_cbranch_execz .LBB337_14
; %bb.5:
	s_mov_b32 s10, 0
	v_subrev_u32_e32 v28, s2, v9
	s_mov_b64 s[8:9], 0
	v_mov_b32_e32 v29, s17
	v_mov_b32_e32 v30, s19
	s_brev_b32 s11, 1
	v_mov_b32_e32 v10, v8
	s_branch .LBB337_7
.LBB337_6:                              ;   in Loop: Header=BB337_7 Depth=1
	s_or_b64 exec, exec, s[12:13]
	v_add_u32_e32 v10, s3, v10
	v_cmp_le_i32_e32 vcc, s5, v10
	s_or_b64 s[8:9], vcc, s[8:9]
	s_andn2_b64 exec, exec, s[8:9]
	s_cbranch_execz .LBB337_14
.LBB337_7:                              ; =>This Loop Header: Depth=1
                                        ;     Child Loop BB337_9 Depth 2
                                        ;       Child Loop BB337_10 Depth 3
                                        ;       Child Loop BB337_12 Depth 3
	v_ashrrev_i32_e32 v11, 31, v10
	v_lshlrev_b64 v[0:1], 2, v[10:11]
	v_add_co_u32_e32 v2, vcc, s16, v0
	v_addc_co_u32_e32 v3, vcc, v29, v1, vcc
	v_add_co_u32_e32 v0, vcc, s18, v0
	v_addc_co_u32_e32 v1, vcc, v30, v1, vcc
	global_load_dword v12, v[0:1], off
	global_load_dword v13, v[2:3], off
	s_waitcnt vmcnt(1)
	v_subrev_u32_e32 v31, s2, v12
	s_waitcnt vmcnt(0)
	v_add_u32_e32 v12, v13, v28
	v_cmp_lt_i32_e32 vcc, v12, v31
	s_and_saveexec_b64 s[12:13], vcc
	s_cbranch_execz .LBB337_6
; %bb.8:                                ;   in Loop: Header=BB337_7 Depth=1
	v_lshlrev_b64 v[0:1], 4, v[10:11]
	v_mov_b32_e32 v2, s25
	v_add_co_u32_e32 v0, vcc, s24, v0
	v_addc_co_u32_e32 v1, vcc, v2, v1, vcc
	global_load_dwordx4 v[0:3], v[0:1], off
	s_mov_b64 s[14:15], 0
	s_waitcnt vmcnt(0)
	v_mul_f64 v[14:15], v[2:3], -v[6:7]
	v_mul_f64 v[16:17], v[4:5], v[2:3]
	v_fmac_f64_e32 v[14:15], v[4:5], v[0:1]
	v_fmac_f64_e32 v[16:17], v[6:7], v[0:1]
	v_mul_f64 v[18:19], v[16:17], s[10:11]
	v_mul_f64 v[20:21], v[14:15], 0
.LBB337_9:                              ;   Parent Loop BB337_7 Depth=1
                                        ; =>  This Loop Header: Depth=2
                                        ;       Child Loop BB337_10 Depth 3
                                        ;       Child Loop BB337_12 Depth 3
	v_ashrrev_i32_e32 v13, 31, v12
	v_lshlrev_b64 v[0:1], 2, v[12:13]
	v_mov_b32_e32 v2, s21
	v_add_co_u32_e32 v0, vcc, s20, v0
	v_addc_co_u32_e32 v1, vcc, v2, v1, vcc
	global_load_dword v2, v[0:1], off
	v_lshlrev_b64 v[0:1], 3, v[12:13]
	v_mov_b32_e32 v3, s23
	v_add_co_u32_e32 v0, vcc, s22, v0
	v_addc_co_u32_e32 v1, vcc, v3, v1, vcc
	global_load_dwordx2 v[24:25], v[0:1], off
	v_mov_b32_e32 v11, s27
	s_mov_b64 s[28:29], 0
	s_waitcnt vmcnt(1)
	v_subrev_u32_e32 v0, s2, v2
	v_ashrrev_i32_e32 v1, 31, v0
	v_lshlrev_b64 v[0:1], 4, v[0:1]
	v_add_co_u32_e32 v22, vcc, s26, v0
	v_addc_co_u32_e32 v23, vcc, v11, v1, vcc
	global_load_dwordx2 v[2:3], v[22:23], off
	s_waitcnt vmcnt(1)
	v_fma_f64 v[26:27], v[14:15], v[24:25], v[18:19]
.LBB337_10:                             ;   Parent Loop BB337_7 Depth=1
                                        ;     Parent Loop BB337_9 Depth=2
                                        ; =>    This Inner Loop Header: Depth=3
	s_waitcnt vmcnt(0)
	v_add_f64 v[0:1], v[2:3], v[26:27]
	global_atomic_cmpswap_x2 v[0:1], v[22:23], v[0:3], off glc
	s_waitcnt vmcnt(0)
	v_cmp_eq_u64_e32 vcc, v[0:1], v[2:3]
	s_or_b64 s[28:29], vcc, s[28:29]
	v_pk_mov_b32 v[2:3], v[0:1], v[0:1] op_sel:[0,1]
	s_andn2_b64 exec, exec, s[28:29]
	s_cbranch_execnz .LBB337_10
; %bb.11:                               ;   in Loop: Header=BB337_9 Depth=2
	s_or_b64 exec, exec, s[28:29]
	global_load_dwordx2 v[2:3], v[22:23], off offset:8
	v_fma_f64 v[24:25], v[16:17], v[24:25], v[20:21]
	s_mov_b64 s[28:29], 0
.LBB337_12:                             ;   Parent Loop BB337_7 Depth=1
                                        ;     Parent Loop BB337_9 Depth=2
                                        ; =>    This Inner Loop Header: Depth=3
	s_waitcnt vmcnt(0)
	v_add_f64 v[0:1], v[2:3], v[24:25]
	global_atomic_cmpswap_x2 v[0:1], v[22:23], v[0:3], off offset:8 glc
	s_waitcnt vmcnt(0)
	v_cmp_eq_u64_e32 vcc, v[0:1], v[2:3]
	s_or_b64 s[28:29], vcc, s[28:29]
	v_pk_mov_b32 v[2:3], v[0:1], v[0:1] op_sel:[0,1]
	s_andn2_b64 exec, exec, s[28:29]
	s_cbranch_execnz .LBB337_12
; %bb.13:                               ;   in Loop: Header=BB337_9 Depth=2
	s_or_b64 exec, exec, s[28:29]
	v_add_u32_e32 v12, 8, v12
	v_cmp_ge_i32_e32 vcc, v12, v31
	s_or_b64 s[14:15], vcc, s[14:15]
	s_andn2_b64 exec, exec, s[14:15]
	s_cbranch_execnz .LBB337_9
	s_branch .LBB337_6
.LBB337_14:
	s_or_b64 exec, exec, s[6:7]
	s_mov_b64 s[6:7], 0
.LBB337_15:
	s_andn2_b64 vcc, exec, s[6:7]
	s_cbranch_vccnz .LBB337_27
; %bb.16:
	s_and_b64 exec, exec, s[0:1]
	s_cbranch_execz .LBB337_27
; %bb.17:
	s_mov_b32 s6, 0
	v_subrev_u32_e32 v26, s2, v9
	s_mov_b64 s[0:1], 0
	v_mov_b32_e32 v27, s17
	v_mov_b32_e32 v28, s19
	s_brev_b32 s7, 1
	s_branch .LBB337_19
.LBB337_18:                             ;   in Loop: Header=BB337_19 Depth=1
	s_or_b64 exec, exec, s[8:9]
	v_add_u32_e32 v8, s3, v8
	v_cmp_le_i32_e32 vcc, s5, v8
	s_or_b64 s[0:1], vcc, s[0:1]
	s_andn2_b64 exec, exec, s[0:1]
	s_cbranch_execz .LBB337_27
.LBB337_19:                             ; =>This Loop Header: Depth=1
                                        ;     Child Loop BB337_22 Depth 2
                                        ;       Child Loop BB337_24 Depth 3
                                        ;       Child Loop BB337_26 Depth 3
	v_ashrrev_i32_e32 v9, 31, v8
	v_lshlrev_b64 v[0:1], 2, v[8:9]
	v_add_co_u32_e32 v2, vcc, s16, v0
	v_addc_co_u32_e32 v3, vcc, v27, v1, vcc
	v_add_co_u32_e32 v0, vcc, s18, v0
	v_addc_co_u32_e32 v1, vcc, v28, v1, vcc
	global_load_dword v10, v[0:1], off
	global_load_dword v11, v[2:3], off
	s_waitcnt vmcnt(1)
	v_subrev_u32_e32 v29, s2, v10
	s_waitcnt vmcnt(0)
	v_add_u32_e32 v10, v11, v26
	v_cmp_lt_i32_e32 vcc, v10, v29
	s_and_saveexec_b64 s[8:9], vcc
	s_cbranch_execz .LBB337_18
; %bb.20:                               ;   in Loop: Header=BB337_19 Depth=1
	v_lshlrev_b64 v[0:1], 4, v[8:9]
	v_mov_b32_e32 v2, s25
	v_add_co_u32_e32 v0, vcc, s24, v0
	v_addc_co_u32_e32 v1, vcc, v2, v1, vcc
	global_load_dwordx4 v[0:3], v[0:1], off
	s_mov_b64 s[10:11], 0
	s_waitcnt vmcnt(0)
	v_mul_f64 v[12:13], v[2:3], -v[6:7]
	v_mul_f64 v[14:15], v[4:5], v[2:3]
	v_fmac_f64_e32 v[12:13], v[4:5], v[0:1]
	v_fmac_f64_e32 v[14:15], v[6:7], v[0:1]
	v_mul_f64 v[16:17], v[14:15], s[6:7]
	v_mul_f64 v[18:19], v[12:13], 0
	s_branch .LBB337_22
.LBB337_21:                             ;   in Loop: Header=BB337_22 Depth=2
	s_or_b64 exec, exec, s[12:13]
	v_add_u32_e32 v10, 8, v10
	v_cmp_ge_i32_e32 vcc, v10, v29
	s_or_b64 s[10:11], vcc, s[10:11]
	s_andn2_b64 exec, exec, s[10:11]
	s_cbranch_execz .LBB337_18
.LBB337_22:                             ;   Parent Loop BB337_19 Depth=1
                                        ; =>  This Loop Header: Depth=2
                                        ;       Child Loop BB337_24 Depth 3
                                        ;       Child Loop BB337_26 Depth 3
	v_ashrrev_i32_e32 v11, 31, v10
	v_lshlrev_b64 v[0:1], 2, v[10:11]
	v_mov_b32_e32 v2, s21
	v_add_co_u32_e32 v0, vcc, s20, v0
	v_addc_co_u32_e32 v1, vcc, v2, v1, vcc
	global_load_dword v0, v[0:1], off
	s_waitcnt vmcnt(0)
	v_subrev_u32_e32 v0, s2, v0
	v_cmp_ne_u32_e32 vcc, v0, v8
	s_and_saveexec_b64 s[12:13], vcc
	s_cbranch_execz .LBB337_21
; %bb.23:                               ;   in Loop: Header=BB337_22 Depth=2
	v_lshlrev_b64 v[2:3], 3, v[10:11]
	v_mov_b32_e32 v1, s23
	v_add_co_u32_e32 v2, vcc, s22, v2
	v_addc_co_u32_e32 v3, vcc, v1, v3, vcc
	v_ashrrev_i32_e32 v1, 31, v0
	v_lshlrev_b64 v[0:1], 4, v[0:1]
	global_load_dwordx2 v[22:23], v[2:3], off
	v_mov_b32_e32 v2, s27
	v_add_co_u32_e32 v20, vcc, s26, v0
	v_addc_co_u32_e32 v21, vcc, v2, v1, vcc
	global_load_dwordx2 v[2:3], v[20:21], off
	s_mov_b64 s[14:15], 0
	s_waitcnt vmcnt(1)
	v_fma_f64 v[24:25], v[12:13], v[22:23], v[16:17]
.LBB337_24:                             ;   Parent Loop BB337_19 Depth=1
                                        ;     Parent Loop BB337_22 Depth=2
                                        ; =>    This Inner Loop Header: Depth=3
	s_waitcnt vmcnt(0)
	v_add_f64 v[0:1], v[2:3], v[24:25]
	global_atomic_cmpswap_x2 v[0:1], v[20:21], v[0:3], off glc
	s_waitcnt vmcnt(0)
	v_cmp_eq_u64_e32 vcc, v[0:1], v[2:3]
	s_or_b64 s[14:15], vcc, s[14:15]
	v_pk_mov_b32 v[2:3], v[0:1], v[0:1] op_sel:[0,1]
	s_andn2_b64 exec, exec, s[14:15]
	s_cbranch_execnz .LBB337_24
; %bb.25:                               ;   in Loop: Header=BB337_22 Depth=2
	s_or_b64 exec, exec, s[14:15]
	global_load_dwordx2 v[2:3], v[20:21], off offset:8
	v_fma_f64 v[22:23], v[14:15], v[22:23], v[18:19]
	s_mov_b64 s[14:15], 0
.LBB337_26:                             ;   Parent Loop BB337_19 Depth=1
                                        ;     Parent Loop BB337_22 Depth=2
                                        ; =>    This Inner Loop Header: Depth=3
	s_waitcnt vmcnt(0)
	v_add_f64 v[0:1], v[2:3], v[22:23]
	global_atomic_cmpswap_x2 v[0:1], v[20:21], v[0:3], off offset:8 glc
	s_waitcnt vmcnt(0)
	v_cmp_eq_u64_e32 vcc, v[0:1], v[2:3]
	s_or_b64 s[14:15], vcc, s[14:15]
	v_pk_mov_b32 v[2:3], v[0:1], v[0:1] op_sel:[0,1]
	s_andn2_b64 exec, exec, s[14:15]
	s_cbranch_execnz .LBB337_26
	s_branch .LBB337_21
.LBB337_27:
	s_endpgm
	.section	.rodata,"a",@progbits
	.p2align	6, 0x0
	.amdhsa_kernel _ZN9rocsparseL21csrmvt_general_kernelILj256ELj8Eiid21rocsparse_complex_numIdES2_S2_EEvbbT2_NS_24const_host_device_scalarIT6_EEPKT1_S9_PKS3_PKT3_PKT4_PT5_21rocsparse_index_base_b
		.amdhsa_group_segment_fixed_size 2048
		.amdhsa_private_segment_fixed_size 0
		.amdhsa_kernarg_size 336
		.amdhsa_user_sgpr_count 8
		.amdhsa_user_sgpr_private_segment_buffer 1
		.amdhsa_user_sgpr_dispatch_ptr 1
		.amdhsa_user_sgpr_queue_ptr 0
		.amdhsa_user_sgpr_kernarg_segment_ptr 1
		.amdhsa_user_sgpr_dispatch_id 0
		.amdhsa_user_sgpr_flat_scratch_init 0
		.amdhsa_user_sgpr_kernarg_preload_length 0
		.amdhsa_user_sgpr_kernarg_preload_offset 0
		.amdhsa_user_sgpr_private_segment_size 0
		.amdhsa_uses_dynamic_stack 0
		.amdhsa_system_sgpr_private_segment_wavefront_offset 0
		.amdhsa_system_sgpr_workgroup_id_x 1
		.amdhsa_system_sgpr_workgroup_id_y 0
		.amdhsa_system_sgpr_workgroup_id_z 0
		.amdhsa_system_sgpr_workgroup_info 0
		.amdhsa_system_vgpr_workitem_id 2
		.amdhsa_next_free_vgpr 32
		.amdhsa_next_free_sgpr 30
		.amdhsa_accum_offset 32
		.amdhsa_reserve_vcc 1
		.amdhsa_reserve_flat_scratch 0
		.amdhsa_float_round_mode_32 0
		.amdhsa_float_round_mode_16_64 0
		.amdhsa_float_denorm_mode_32 3
		.amdhsa_float_denorm_mode_16_64 3
		.amdhsa_dx10_clamp 1
		.amdhsa_ieee_mode 1
		.amdhsa_fp16_overflow 0
		.amdhsa_tg_split 0
		.amdhsa_exception_fp_ieee_invalid_op 0
		.amdhsa_exception_fp_denorm_src 0
		.amdhsa_exception_fp_ieee_div_zero 0
		.amdhsa_exception_fp_ieee_overflow 0
		.amdhsa_exception_fp_ieee_underflow 0
		.amdhsa_exception_fp_ieee_inexact 0
		.amdhsa_exception_int_div_zero 0
	.end_amdhsa_kernel
	.section	.text._ZN9rocsparseL21csrmvt_general_kernelILj256ELj8Eiid21rocsparse_complex_numIdES2_S2_EEvbbT2_NS_24const_host_device_scalarIT6_EEPKT1_S9_PKS3_PKT3_PKT4_PT5_21rocsparse_index_base_b,"axG",@progbits,_ZN9rocsparseL21csrmvt_general_kernelILj256ELj8Eiid21rocsparse_complex_numIdES2_S2_EEvbbT2_NS_24const_host_device_scalarIT6_EEPKT1_S9_PKS3_PKT3_PKT4_PT5_21rocsparse_index_base_b,comdat
.Lfunc_end337:
	.size	_ZN9rocsparseL21csrmvt_general_kernelILj256ELj8Eiid21rocsparse_complex_numIdES2_S2_EEvbbT2_NS_24const_host_device_scalarIT6_EEPKT1_S9_PKS3_PKT3_PKT4_PT5_21rocsparse_index_base_b, .Lfunc_end337-_ZN9rocsparseL21csrmvt_general_kernelILj256ELj8Eiid21rocsparse_complex_numIdES2_S2_EEvbbT2_NS_24const_host_device_scalarIT6_EEPKT1_S9_PKS3_PKT3_PKT4_PT5_21rocsparse_index_base_b
                                        ; -- End function
	.section	.AMDGPU.csdata,"",@progbits
; Kernel info:
; codeLenInByte = 1252
; NumSgprs: 34
; NumVgprs: 32
; NumAgprs: 0
; TotalNumVgprs: 32
; ScratchSize: 0
; MemoryBound: 0
; FloatMode: 240
; IeeeMode: 1
; LDSByteSize: 2048 bytes/workgroup (compile time only)
; SGPRBlocks: 4
; VGPRBlocks: 3
; NumSGPRsForWavesPerEU: 34
; NumVGPRsForWavesPerEU: 32
; AccumOffset: 32
; Occupancy: 8
; WaveLimiterHint : 1
; COMPUTE_PGM_RSRC2:SCRATCH_EN: 0
; COMPUTE_PGM_RSRC2:USER_SGPR: 8
; COMPUTE_PGM_RSRC2:TRAP_HANDLER: 0
; COMPUTE_PGM_RSRC2:TGID_X_EN: 1
; COMPUTE_PGM_RSRC2:TGID_Y_EN: 0
; COMPUTE_PGM_RSRC2:TGID_Z_EN: 0
; COMPUTE_PGM_RSRC2:TIDIG_COMP_CNT: 2
; COMPUTE_PGM_RSRC3_GFX90A:ACCUM_OFFSET: 7
; COMPUTE_PGM_RSRC3_GFX90A:TG_SPLIT: 0
	.section	.text._ZN9rocsparseL21csrmvt_general_kernelILj256ELj16Eiid21rocsparse_complex_numIdES2_S2_EEvbbT2_NS_24const_host_device_scalarIT6_EEPKT1_S9_PKS3_PKT3_PKT4_PT5_21rocsparse_index_base_b,"axG",@progbits,_ZN9rocsparseL21csrmvt_general_kernelILj256ELj16Eiid21rocsparse_complex_numIdES2_S2_EEvbbT2_NS_24const_host_device_scalarIT6_EEPKT1_S9_PKS3_PKT3_PKT4_PT5_21rocsparse_index_base_b,comdat
	.globl	_ZN9rocsparseL21csrmvt_general_kernelILj256ELj16Eiid21rocsparse_complex_numIdES2_S2_EEvbbT2_NS_24const_host_device_scalarIT6_EEPKT1_S9_PKS3_PKT3_PKT4_PT5_21rocsparse_index_base_b ; -- Begin function _ZN9rocsparseL21csrmvt_general_kernelILj256ELj16Eiid21rocsparse_complex_numIdES2_S2_EEvbbT2_NS_24const_host_device_scalarIT6_EEPKT1_S9_PKS3_PKT3_PKT4_PT5_21rocsparse_index_base_b
	.p2align	8
	.type	_ZN9rocsparseL21csrmvt_general_kernelILj256ELj16Eiid21rocsparse_complex_numIdES2_S2_EEvbbT2_NS_24const_host_device_scalarIT6_EEPKT1_S9_PKS3_PKT3_PKT4_PT5_21rocsparse_index_base_b,@function
_ZN9rocsparseL21csrmvt_general_kernelILj256ELj16Eiid21rocsparse_complex_numIdES2_S2_EEvbbT2_NS_24const_host_device_scalarIT6_EEPKT1_S9_PKS3_PKT3_PKT4_PT5_21rocsparse_index_base_b: ; @_ZN9rocsparseL21csrmvt_general_kernelILj256ELj16Eiid21rocsparse_complex_numIdES2_S2_EEvbbT2_NS_24const_host_device_scalarIT6_EEPKT1_S9_PKS3_PKT3_PKT4_PT5_21rocsparse_index_base_b
; %bb.0:
	s_load_dwordx2 s[2:3], s[6:7], 0x48
	s_load_dwordx2 s[0:1], s[4:5], 0x4
	s_load_dwordx8 s[12:19], s[6:7], 0x8
	v_and_b32_e32 v1, 0x3ff, v0
	v_bfe_u32 v3, v0, 10, 10
	s_waitcnt lgkmcnt(0)
	s_and_b32 s3, 1, s3
	s_lshr_b32 s0, s0, 16
	s_mul_i32 s0, s0, s1
	v_mul_lo_u32 v2, s0, v1
	s_cmp_eq_u32 s3, 1
	v_mad_u32_u24 v2, v3, s1, v2
	v_bfe_u32 v0, v0, 20, 10
	v_add_lshl_u32 v0, v2, v0, 3
	v_pk_mov_b32 v[2:3], s[12:13], s[12:13] op_sel:[0,1]
	s_cselect_b64 vcc, -1, 0
	ds_write_b64 v0, v[2:3]
	s_mov_b64 s[0:1], src_shared_base
	v_cndmask_b32_e32 v2, v2, v0, vcc
	s_and_b64 vcc, vcc, exec
	s_cselect_b32 s0, s1, s13
	v_mov_b32_e32 v3, s0
	flat_load_dwordx2 v[4:5], v[2:3]
	v_pk_mov_b32 v[6:7], s[14:15], s[14:15] op_sel:[0,1]
	s_cbranch_vccnz .LBB338_2
; %bb.1:
	v_pk_mov_b32 v[2:3], s[12:13], s[12:13] op_sel:[0,1]
	flat_load_dwordx2 v[6:7], v[2:3] offset:8
.LBB338_2:
	s_waitcnt vmcnt(0) lgkmcnt(0)
	v_cmp_neq_f64_e32 vcc, 0, v[4:5]
	v_cmp_neq_f64_e64 s[0:1], 0, v[6:7]
	s_or_b64 s[0:1], vcc, s[0:1]
	s_and_saveexec_b64 s[4:5], s[0:1]
	s_cbranch_execz .LBB338_27
; %bb.3:
	s_load_dwordx2 s[4:5], s[6:7], 0x0
	s_load_dword s0, s[6:7], 0x50
	s_load_dwordx8 s[20:27], s[6:7], 0x28
	v_lshl_or_b32 v0, s8, 8, v1
	v_lshrrev_b32_e32 v8, 4, v0
	s_waitcnt lgkmcnt(0)
	s_and_b32 s1, s4, 1
	s_lshl_b32 s3, s0, 4
	v_and_b32_e32 v9, 15, v1
	s_cmp_eq_u32 s1, 0
	v_cmp_gt_i32_e64 s[0:1], s5, v8
	s_mov_b64 s[6:7], -1
	s_cbranch_scc0 .LBB338_15
; %bb.4:
	s_and_saveexec_b64 s[6:7], s[0:1]
	s_cbranch_execz .LBB338_14
; %bb.5:
	s_mov_b32 s10, 0
	v_subrev_u32_e32 v28, s2, v9
	s_mov_b64 s[8:9], 0
	v_mov_b32_e32 v29, s17
	v_mov_b32_e32 v30, s19
	s_brev_b32 s11, 1
	v_mov_b32_e32 v10, v8
	s_branch .LBB338_7
.LBB338_6:                              ;   in Loop: Header=BB338_7 Depth=1
	s_or_b64 exec, exec, s[12:13]
	v_add_u32_e32 v10, s3, v10
	v_cmp_le_i32_e32 vcc, s5, v10
	s_or_b64 s[8:9], vcc, s[8:9]
	s_andn2_b64 exec, exec, s[8:9]
	s_cbranch_execz .LBB338_14
.LBB338_7:                              ; =>This Loop Header: Depth=1
                                        ;     Child Loop BB338_9 Depth 2
                                        ;       Child Loop BB338_10 Depth 3
                                        ;       Child Loop BB338_12 Depth 3
	v_ashrrev_i32_e32 v11, 31, v10
	v_lshlrev_b64 v[0:1], 2, v[10:11]
	v_add_co_u32_e32 v2, vcc, s16, v0
	v_addc_co_u32_e32 v3, vcc, v29, v1, vcc
	v_add_co_u32_e32 v0, vcc, s18, v0
	v_addc_co_u32_e32 v1, vcc, v30, v1, vcc
	global_load_dword v12, v[0:1], off
	global_load_dword v13, v[2:3], off
	s_waitcnt vmcnt(1)
	v_subrev_u32_e32 v31, s2, v12
	s_waitcnt vmcnt(0)
	v_add_u32_e32 v12, v13, v28
	v_cmp_lt_i32_e32 vcc, v12, v31
	s_and_saveexec_b64 s[12:13], vcc
	s_cbranch_execz .LBB338_6
; %bb.8:                                ;   in Loop: Header=BB338_7 Depth=1
	v_lshlrev_b64 v[0:1], 4, v[10:11]
	v_mov_b32_e32 v2, s25
	v_add_co_u32_e32 v0, vcc, s24, v0
	v_addc_co_u32_e32 v1, vcc, v2, v1, vcc
	global_load_dwordx4 v[0:3], v[0:1], off
	s_mov_b64 s[14:15], 0
	s_waitcnt vmcnt(0)
	v_mul_f64 v[14:15], v[2:3], -v[6:7]
	v_mul_f64 v[16:17], v[4:5], v[2:3]
	v_fmac_f64_e32 v[14:15], v[4:5], v[0:1]
	v_fmac_f64_e32 v[16:17], v[6:7], v[0:1]
	v_mul_f64 v[18:19], v[16:17], s[10:11]
	v_mul_f64 v[20:21], v[14:15], 0
.LBB338_9:                              ;   Parent Loop BB338_7 Depth=1
                                        ; =>  This Loop Header: Depth=2
                                        ;       Child Loop BB338_10 Depth 3
                                        ;       Child Loop BB338_12 Depth 3
	v_ashrrev_i32_e32 v13, 31, v12
	v_lshlrev_b64 v[0:1], 2, v[12:13]
	v_mov_b32_e32 v2, s21
	v_add_co_u32_e32 v0, vcc, s20, v0
	v_addc_co_u32_e32 v1, vcc, v2, v1, vcc
	global_load_dword v2, v[0:1], off
	v_lshlrev_b64 v[0:1], 3, v[12:13]
	v_mov_b32_e32 v3, s23
	v_add_co_u32_e32 v0, vcc, s22, v0
	v_addc_co_u32_e32 v1, vcc, v3, v1, vcc
	global_load_dwordx2 v[24:25], v[0:1], off
	v_mov_b32_e32 v11, s27
	s_mov_b64 s[28:29], 0
	s_waitcnt vmcnt(1)
	v_subrev_u32_e32 v0, s2, v2
	v_ashrrev_i32_e32 v1, 31, v0
	v_lshlrev_b64 v[0:1], 4, v[0:1]
	v_add_co_u32_e32 v22, vcc, s26, v0
	v_addc_co_u32_e32 v23, vcc, v11, v1, vcc
	global_load_dwordx2 v[2:3], v[22:23], off
	s_waitcnt vmcnt(1)
	v_fma_f64 v[26:27], v[14:15], v[24:25], v[18:19]
.LBB338_10:                             ;   Parent Loop BB338_7 Depth=1
                                        ;     Parent Loop BB338_9 Depth=2
                                        ; =>    This Inner Loop Header: Depth=3
	s_waitcnt vmcnt(0)
	v_add_f64 v[0:1], v[2:3], v[26:27]
	global_atomic_cmpswap_x2 v[0:1], v[22:23], v[0:3], off glc
	s_waitcnt vmcnt(0)
	v_cmp_eq_u64_e32 vcc, v[0:1], v[2:3]
	s_or_b64 s[28:29], vcc, s[28:29]
	v_pk_mov_b32 v[2:3], v[0:1], v[0:1] op_sel:[0,1]
	s_andn2_b64 exec, exec, s[28:29]
	s_cbranch_execnz .LBB338_10
; %bb.11:                               ;   in Loop: Header=BB338_9 Depth=2
	s_or_b64 exec, exec, s[28:29]
	global_load_dwordx2 v[2:3], v[22:23], off offset:8
	v_fma_f64 v[24:25], v[16:17], v[24:25], v[20:21]
	s_mov_b64 s[28:29], 0
.LBB338_12:                             ;   Parent Loop BB338_7 Depth=1
                                        ;     Parent Loop BB338_9 Depth=2
                                        ; =>    This Inner Loop Header: Depth=3
	s_waitcnt vmcnt(0)
	v_add_f64 v[0:1], v[2:3], v[24:25]
	global_atomic_cmpswap_x2 v[0:1], v[22:23], v[0:3], off offset:8 glc
	s_waitcnt vmcnt(0)
	v_cmp_eq_u64_e32 vcc, v[0:1], v[2:3]
	s_or_b64 s[28:29], vcc, s[28:29]
	v_pk_mov_b32 v[2:3], v[0:1], v[0:1] op_sel:[0,1]
	s_andn2_b64 exec, exec, s[28:29]
	s_cbranch_execnz .LBB338_12
; %bb.13:                               ;   in Loop: Header=BB338_9 Depth=2
	s_or_b64 exec, exec, s[28:29]
	v_add_u32_e32 v12, 16, v12
	v_cmp_ge_i32_e32 vcc, v12, v31
	s_or_b64 s[14:15], vcc, s[14:15]
	s_andn2_b64 exec, exec, s[14:15]
	s_cbranch_execnz .LBB338_9
	s_branch .LBB338_6
.LBB338_14:
	s_or_b64 exec, exec, s[6:7]
	s_mov_b64 s[6:7], 0
.LBB338_15:
	s_andn2_b64 vcc, exec, s[6:7]
	s_cbranch_vccnz .LBB338_27
; %bb.16:
	s_and_b64 exec, exec, s[0:1]
	s_cbranch_execz .LBB338_27
; %bb.17:
	s_mov_b32 s6, 0
	v_subrev_u32_e32 v26, s2, v9
	s_mov_b64 s[0:1], 0
	v_mov_b32_e32 v27, s17
	v_mov_b32_e32 v28, s19
	s_brev_b32 s7, 1
	s_branch .LBB338_19
.LBB338_18:                             ;   in Loop: Header=BB338_19 Depth=1
	s_or_b64 exec, exec, s[8:9]
	v_add_u32_e32 v8, s3, v8
	v_cmp_le_i32_e32 vcc, s5, v8
	s_or_b64 s[0:1], vcc, s[0:1]
	s_andn2_b64 exec, exec, s[0:1]
	s_cbranch_execz .LBB338_27
.LBB338_19:                             ; =>This Loop Header: Depth=1
                                        ;     Child Loop BB338_22 Depth 2
                                        ;       Child Loop BB338_24 Depth 3
                                        ;       Child Loop BB338_26 Depth 3
	v_ashrrev_i32_e32 v9, 31, v8
	v_lshlrev_b64 v[0:1], 2, v[8:9]
	v_add_co_u32_e32 v2, vcc, s16, v0
	v_addc_co_u32_e32 v3, vcc, v27, v1, vcc
	v_add_co_u32_e32 v0, vcc, s18, v0
	v_addc_co_u32_e32 v1, vcc, v28, v1, vcc
	global_load_dword v10, v[0:1], off
	global_load_dword v11, v[2:3], off
	s_waitcnt vmcnt(1)
	v_subrev_u32_e32 v29, s2, v10
	s_waitcnt vmcnt(0)
	v_add_u32_e32 v10, v11, v26
	v_cmp_lt_i32_e32 vcc, v10, v29
	s_and_saveexec_b64 s[8:9], vcc
	s_cbranch_execz .LBB338_18
; %bb.20:                               ;   in Loop: Header=BB338_19 Depth=1
	v_lshlrev_b64 v[0:1], 4, v[8:9]
	v_mov_b32_e32 v2, s25
	v_add_co_u32_e32 v0, vcc, s24, v0
	v_addc_co_u32_e32 v1, vcc, v2, v1, vcc
	global_load_dwordx4 v[0:3], v[0:1], off
	s_mov_b64 s[10:11], 0
	s_waitcnt vmcnt(0)
	v_mul_f64 v[12:13], v[2:3], -v[6:7]
	v_mul_f64 v[14:15], v[4:5], v[2:3]
	v_fmac_f64_e32 v[12:13], v[4:5], v[0:1]
	v_fmac_f64_e32 v[14:15], v[6:7], v[0:1]
	v_mul_f64 v[16:17], v[14:15], s[6:7]
	v_mul_f64 v[18:19], v[12:13], 0
	s_branch .LBB338_22
.LBB338_21:                             ;   in Loop: Header=BB338_22 Depth=2
	s_or_b64 exec, exec, s[12:13]
	v_add_u32_e32 v10, 16, v10
	v_cmp_ge_i32_e32 vcc, v10, v29
	s_or_b64 s[10:11], vcc, s[10:11]
	s_andn2_b64 exec, exec, s[10:11]
	s_cbranch_execz .LBB338_18
.LBB338_22:                             ;   Parent Loop BB338_19 Depth=1
                                        ; =>  This Loop Header: Depth=2
                                        ;       Child Loop BB338_24 Depth 3
                                        ;       Child Loop BB338_26 Depth 3
	v_ashrrev_i32_e32 v11, 31, v10
	v_lshlrev_b64 v[0:1], 2, v[10:11]
	v_mov_b32_e32 v2, s21
	v_add_co_u32_e32 v0, vcc, s20, v0
	v_addc_co_u32_e32 v1, vcc, v2, v1, vcc
	global_load_dword v0, v[0:1], off
	s_waitcnt vmcnt(0)
	v_subrev_u32_e32 v0, s2, v0
	v_cmp_ne_u32_e32 vcc, v0, v8
	s_and_saveexec_b64 s[12:13], vcc
	s_cbranch_execz .LBB338_21
; %bb.23:                               ;   in Loop: Header=BB338_22 Depth=2
	v_lshlrev_b64 v[2:3], 3, v[10:11]
	v_mov_b32_e32 v1, s23
	v_add_co_u32_e32 v2, vcc, s22, v2
	v_addc_co_u32_e32 v3, vcc, v1, v3, vcc
	v_ashrrev_i32_e32 v1, 31, v0
	v_lshlrev_b64 v[0:1], 4, v[0:1]
	global_load_dwordx2 v[22:23], v[2:3], off
	v_mov_b32_e32 v2, s27
	v_add_co_u32_e32 v20, vcc, s26, v0
	v_addc_co_u32_e32 v21, vcc, v2, v1, vcc
	global_load_dwordx2 v[2:3], v[20:21], off
	s_mov_b64 s[14:15], 0
	s_waitcnt vmcnt(1)
	v_fma_f64 v[24:25], v[12:13], v[22:23], v[16:17]
.LBB338_24:                             ;   Parent Loop BB338_19 Depth=1
                                        ;     Parent Loop BB338_22 Depth=2
                                        ; =>    This Inner Loop Header: Depth=3
	s_waitcnt vmcnt(0)
	v_add_f64 v[0:1], v[2:3], v[24:25]
	global_atomic_cmpswap_x2 v[0:1], v[20:21], v[0:3], off glc
	s_waitcnt vmcnt(0)
	v_cmp_eq_u64_e32 vcc, v[0:1], v[2:3]
	s_or_b64 s[14:15], vcc, s[14:15]
	v_pk_mov_b32 v[2:3], v[0:1], v[0:1] op_sel:[0,1]
	s_andn2_b64 exec, exec, s[14:15]
	s_cbranch_execnz .LBB338_24
; %bb.25:                               ;   in Loop: Header=BB338_22 Depth=2
	s_or_b64 exec, exec, s[14:15]
	global_load_dwordx2 v[2:3], v[20:21], off offset:8
	v_fma_f64 v[22:23], v[14:15], v[22:23], v[18:19]
	s_mov_b64 s[14:15], 0
.LBB338_26:                             ;   Parent Loop BB338_19 Depth=1
                                        ;     Parent Loop BB338_22 Depth=2
                                        ; =>    This Inner Loop Header: Depth=3
	s_waitcnt vmcnt(0)
	v_add_f64 v[0:1], v[2:3], v[22:23]
	global_atomic_cmpswap_x2 v[0:1], v[20:21], v[0:3], off offset:8 glc
	s_waitcnt vmcnt(0)
	v_cmp_eq_u64_e32 vcc, v[0:1], v[2:3]
	s_or_b64 s[14:15], vcc, s[14:15]
	v_pk_mov_b32 v[2:3], v[0:1], v[0:1] op_sel:[0,1]
	s_andn2_b64 exec, exec, s[14:15]
	s_cbranch_execnz .LBB338_26
	s_branch .LBB338_21
.LBB338_27:
	s_endpgm
	.section	.rodata,"a",@progbits
	.p2align	6, 0x0
	.amdhsa_kernel _ZN9rocsparseL21csrmvt_general_kernelILj256ELj16Eiid21rocsparse_complex_numIdES2_S2_EEvbbT2_NS_24const_host_device_scalarIT6_EEPKT1_S9_PKS3_PKT3_PKT4_PT5_21rocsparse_index_base_b
		.amdhsa_group_segment_fixed_size 2048
		.amdhsa_private_segment_fixed_size 0
		.amdhsa_kernarg_size 336
		.amdhsa_user_sgpr_count 8
		.amdhsa_user_sgpr_private_segment_buffer 1
		.amdhsa_user_sgpr_dispatch_ptr 1
		.amdhsa_user_sgpr_queue_ptr 0
		.amdhsa_user_sgpr_kernarg_segment_ptr 1
		.amdhsa_user_sgpr_dispatch_id 0
		.amdhsa_user_sgpr_flat_scratch_init 0
		.amdhsa_user_sgpr_kernarg_preload_length 0
		.amdhsa_user_sgpr_kernarg_preload_offset 0
		.amdhsa_user_sgpr_private_segment_size 0
		.amdhsa_uses_dynamic_stack 0
		.amdhsa_system_sgpr_private_segment_wavefront_offset 0
		.amdhsa_system_sgpr_workgroup_id_x 1
		.amdhsa_system_sgpr_workgroup_id_y 0
		.amdhsa_system_sgpr_workgroup_id_z 0
		.amdhsa_system_sgpr_workgroup_info 0
		.amdhsa_system_vgpr_workitem_id 2
		.amdhsa_next_free_vgpr 32
		.amdhsa_next_free_sgpr 30
		.amdhsa_accum_offset 32
		.amdhsa_reserve_vcc 1
		.amdhsa_reserve_flat_scratch 0
		.amdhsa_float_round_mode_32 0
		.amdhsa_float_round_mode_16_64 0
		.amdhsa_float_denorm_mode_32 3
		.amdhsa_float_denorm_mode_16_64 3
		.amdhsa_dx10_clamp 1
		.amdhsa_ieee_mode 1
		.amdhsa_fp16_overflow 0
		.amdhsa_tg_split 0
		.amdhsa_exception_fp_ieee_invalid_op 0
		.amdhsa_exception_fp_denorm_src 0
		.amdhsa_exception_fp_ieee_div_zero 0
		.amdhsa_exception_fp_ieee_overflow 0
		.amdhsa_exception_fp_ieee_underflow 0
		.amdhsa_exception_fp_ieee_inexact 0
		.amdhsa_exception_int_div_zero 0
	.end_amdhsa_kernel
	.section	.text._ZN9rocsparseL21csrmvt_general_kernelILj256ELj16Eiid21rocsparse_complex_numIdES2_S2_EEvbbT2_NS_24const_host_device_scalarIT6_EEPKT1_S9_PKS3_PKT3_PKT4_PT5_21rocsparse_index_base_b,"axG",@progbits,_ZN9rocsparseL21csrmvt_general_kernelILj256ELj16Eiid21rocsparse_complex_numIdES2_S2_EEvbbT2_NS_24const_host_device_scalarIT6_EEPKT1_S9_PKS3_PKT3_PKT4_PT5_21rocsparse_index_base_b,comdat
.Lfunc_end338:
	.size	_ZN9rocsparseL21csrmvt_general_kernelILj256ELj16Eiid21rocsparse_complex_numIdES2_S2_EEvbbT2_NS_24const_host_device_scalarIT6_EEPKT1_S9_PKS3_PKT3_PKT4_PT5_21rocsparse_index_base_b, .Lfunc_end338-_ZN9rocsparseL21csrmvt_general_kernelILj256ELj16Eiid21rocsparse_complex_numIdES2_S2_EEvbbT2_NS_24const_host_device_scalarIT6_EEPKT1_S9_PKS3_PKT3_PKT4_PT5_21rocsparse_index_base_b
                                        ; -- End function
	.section	.AMDGPU.csdata,"",@progbits
; Kernel info:
; codeLenInByte = 1252
; NumSgprs: 34
; NumVgprs: 32
; NumAgprs: 0
; TotalNumVgprs: 32
; ScratchSize: 0
; MemoryBound: 0
; FloatMode: 240
; IeeeMode: 1
; LDSByteSize: 2048 bytes/workgroup (compile time only)
; SGPRBlocks: 4
; VGPRBlocks: 3
; NumSGPRsForWavesPerEU: 34
; NumVGPRsForWavesPerEU: 32
; AccumOffset: 32
; Occupancy: 8
; WaveLimiterHint : 1
; COMPUTE_PGM_RSRC2:SCRATCH_EN: 0
; COMPUTE_PGM_RSRC2:USER_SGPR: 8
; COMPUTE_PGM_RSRC2:TRAP_HANDLER: 0
; COMPUTE_PGM_RSRC2:TGID_X_EN: 1
; COMPUTE_PGM_RSRC2:TGID_Y_EN: 0
; COMPUTE_PGM_RSRC2:TGID_Z_EN: 0
; COMPUTE_PGM_RSRC2:TIDIG_COMP_CNT: 2
; COMPUTE_PGM_RSRC3_GFX90A:ACCUM_OFFSET: 7
; COMPUTE_PGM_RSRC3_GFX90A:TG_SPLIT: 0
	.section	.text._ZN9rocsparseL21csrmvt_general_kernelILj256ELj32Eiid21rocsparse_complex_numIdES2_S2_EEvbbT2_NS_24const_host_device_scalarIT6_EEPKT1_S9_PKS3_PKT3_PKT4_PT5_21rocsparse_index_base_b,"axG",@progbits,_ZN9rocsparseL21csrmvt_general_kernelILj256ELj32Eiid21rocsparse_complex_numIdES2_S2_EEvbbT2_NS_24const_host_device_scalarIT6_EEPKT1_S9_PKS3_PKT3_PKT4_PT5_21rocsparse_index_base_b,comdat
	.globl	_ZN9rocsparseL21csrmvt_general_kernelILj256ELj32Eiid21rocsparse_complex_numIdES2_S2_EEvbbT2_NS_24const_host_device_scalarIT6_EEPKT1_S9_PKS3_PKT3_PKT4_PT5_21rocsparse_index_base_b ; -- Begin function _ZN9rocsparseL21csrmvt_general_kernelILj256ELj32Eiid21rocsparse_complex_numIdES2_S2_EEvbbT2_NS_24const_host_device_scalarIT6_EEPKT1_S9_PKS3_PKT3_PKT4_PT5_21rocsparse_index_base_b
	.p2align	8
	.type	_ZN9rocsparseL21csrmvt_general_kernelILj256ELj32Eiid21rocsparse_complex_numIdES2_S2_EEvbbT2_NS_24const_host_device_scalarIT6_EEPKT1_S9_PKS3_PKT3_PKT4_PT5_21rocsparse_index_base_b,@function
_ZN9rocsparseL21csrmvt_general_kernelILj256ELj32Eiid21rocsparse_complex_numIdES2_S2_EEvbbT2_NS_24const_host_device_scalarIT6_EEPKT1_S9_PKS3_PKT3_PKT4_PT5_21rocsparse_index_base_b: ; @_ZN9rocsparseL21csrmvt_general_kernelILj256ELj32Eiid21rocsparse_complex_numIdES2_S2_EEvbbT2_NS_24const_host_device_scalarIT6_EEPKT1_S9_PKS3_PKT3_PKT4_PT5_21rocsparse_index_base_b
; %bb.0:
	s_load_dwordx2 s[2:3], s[6:7], 0x48
	s_load_dwordx2 s[0:1], s[4:5], 0x4
	s_load_dwordx8 s[12:19], s[6:7], 0x8
	v_and_b32_e32 v1, 0x3ff, v0
	v_bfe_u32 v3, v0, 10, 10
	s_waitcnt lgkmcnt(0)
	s_and_b32 s3, 1, s3
	s_lshr_b32 s0, s0, 16
	s_mul_i32 s0, s0, s1
	v_mul_lo_u32 v2, s0, v1
	s_cmp_eq_u32 s3, 1
	v_mad_u32_u24 v2, v3, s1, v2
	v_bfe_u32 v0, v0, 20, 10
	v_add_lshl_u32 v0, v2, v0, 3
	v_pk_mov_b32 v[2:3], s[12:13], s[12:13] op_sel:[0,1]
	s_cselect_b64 vcc, -1, 0
	ds_write_b64 v0, v[2:3]
	s_mov_b64 s[0:1], src_shared_base
	v_cndmask_b32_e32 v2, v2, v0, vcc
	s_and_b64 vcc, vcc, exec
	s_cselect_b32 s0, s1, s13
	v_mov_b32_e32 v3, s0
	flat_load_dwordx2 v[4:5], v[2:3]
	v_pk_mov_b32 v[6:7], s[14:15], s[14:15] op_sel:[0,1]
	s_cbranch_vccnz .LBB339_2
; %bb.1:
	v_pk_mov_b32 v[2:3], s[12:13], s[12:13] op_sel:[0,1]
	flat_load_dwordx2 v[6:7], v[2:3] offset:8
.LBB339_2:
	s_waitcnt vmcnt(0) lgkmcnt(0)
	v_cmp_neq_f64_e32 vcc, 0, v[4:5]
	v_cmp_neq_f64_e64 s[0:1], 0, v[6:7]
	s_or_b64 s[0:1], vcc, s[0:1]
	s_and_saveexec_b64 s[4:5], s[0:1]
	s_cbranch_execz .LBB339_27
; %bb.3:
	s_load_dwordx2 s[4:5], s[6:7], 0x0
	s_load_dword s0, s[6:7], 0x50
	s_load_dwordx8 s[20:27], s[6:7], 0x28
	v_lshl_or_b32 v0, s8, 8, v1
	v_lshrrev_b32_e32 v8, 5, v0
	s_waitcnt lgkmcnt(0)
	s_and_b32 s1, s4, 1
	s_lshl_b32 s3, s0, 3
	v_and_b32_e32 v9, 31, v1
	s_cmp_eq_u32 s1, 0
	v_cmp_gt_i32_e64 s[0:1], s5, v8
	s_mov_b64 s[6:7], -1
	s_cbranch_scc0 .LBB339_15
; %bb.4:
	s_and_saveexec_b64 s[6:7], s[0:1]
	s_cbranch_execz .LBB339_14
; %bb.5:
	s_mov_b32 s10, 0
	v_subrev_u32_e32 v28, s2, v9
	s_mov_b64 s[8:9], 0
	v_mov_b32_e32 v29, s17
	v_mov_b32_e32 v30, s19
	s_brev_b32 s11, 1
	v_mov_b32_e32 v10, v8
	s_branch .LBB339_7
.LBB339_6:                              ;   in Loop: Header=BB339_7 Depth=1
	s_or_b64 exec, exec, s[12:13]
	v_add_u32_e32 v10, s3, v10
	v_cmp_le_i32_e32 vcc, s5, v10
	s_or_b64 s[8:9], vcc, s[8:9]
	s_andn2_b64 exec, exec, s[8:9]
	s_cbranch_execz .LBB339_14
.LBB339_7:                              ; =>This Loop Header: Depth=1
                                        ;     Child Loop BB339_9 Depth 2
                                        ;       Child Loop BB339_10 Depth 3
                                        ;       Child Loop BB339_12 Depth 3
	v_ashrrev_i32_e32 v11, 31, v10
	v_lshlrev_b64 v[0:1], 2, v[10:11]
	v_add_co_u32_e32 v2, vcc, s16, v0
	v_addc_co_u32_e32 v3, vcc, v29, v1, vcc
	v_add_co_u32_e32 v0, vcc, s18, v0
	v_addc_co_u32_e32 v1, vcc, v30, v1, vcc
	global_load_dword v12, v[0:1], off
	global_load_dword v13, v[2:3], off
	s_waitcnt vmcnt(1)
	v_subrev_u32_e32 v31, s2, v12
	s_waitcnt vmcnt(0)
	v_add_u32_e32 v12, v13, v28
	v_cmp_lt_i32_e32 vcc, v12, v31
	s_and_saveexec_b64 s[12:13], vcc
	s_cbranch_execz .LBB339_6
; %bb.8:                                ;   in Loop: Header=BB339_7 Depth=1
	v_lshlrev_b64 v[0:1], 4, v[10:11]
	v_mov_b32_e32 v2, s25
	v_add_co_u32_e32 v0, vcc, s24, v0
	v_addc_co_u32_e32 v1, vcc, v2, v1, vcc
	global_load_dwordx4 v[0:3], v[0:1], off
	s_mov_b64 s[14:15], 0
	s_waitcnt vmcnt(0)
	v_mul_f64 v[14:15], v[2:3], -v[6:7]
	v_mul_f64 v[16:17], v[4:5], v[2:3]
	v_fmac_f64_e32 v[14:15], v[4:5], v[0:1]
	v_fmac_f64_e32 v[16:17], v[6:7], v[0:1]
	v_mul_f64 v[18:19], v[16:17], s[10:11]
	v_mul_f64 v[20:21], v[14:15], 0
.LBB339_9:                              ;   Parent Loop BB339_7 Depth=1
                                        ; =>  This Loop Header: Depth=2
                                        ;       Child Loop BB339_10 Depth 3
                                        ;       Child Loop BB339_12 Depth 3
	v_ashrrev_i32_e32 v13, 31, v12
	v_lshlrev_b64 v[0:1], 2, v[12:13]
	v_mov_b32_e32 v2, s21
	v_add_co_u32_e32 v0, vcc, s20, v0
	v_addc_co_u32_e32 v1, vcc, v2, v1, vcc
	global_load_dword v2, v[0:1], off
	v_lshlrev_b64 v[0:1], 3, v[12:13]
	v_mov_b32_e32 v3, s23
	v_add_co_u32_e32 v0, vcc, s22, v0
	v_addc_co_u32_e32 v1, vcc, v3, v1, vcc
	global_load_dwordx2 v[24:25], v[0:1], off
	v_mov_b32_e32 v11, s27
	s_mov_b64 s[28:29], 0
	s_waitcnt vmcnt(1)
	v_subrev_u32_e32 v0, s2, v2
	v_ashrrev_i32_e32 v1, 31, v0
	v_lshlrev_b64 v[0:1], 4, v[0:1]
	v_add_co_u32_e32 v22, vcc, s26, v0
	v_addc_co_u32_e32 v23, vcc, v11, v1, vcc
	global_load_dwordx2 v[2:3], v[22:23], off
	s_waitcnt vmcnt(1)
	v_fma_f64 v[26:27], v[14:15], v[24:25], v[18:19]
.LBB339_10:                             ;   Parent Loop BB339_7 Depth=1
                                        ;     Parent Loop BB339_9 Depth=2
                                        ; =>    This Inner Loop Header: Depth=3
	s_waitcnt vmcnt(0)
	v_add_f64 v[0:1], v[2:3], v[26:27]
	global_atomic_cmpswap_x2 v[0:1], v[22:23], v[0:3], off glc
	s_waitcnt vmcnt(0)
	v_cmp_eq_u64_e32 vcc, v[0:1], v[2:3]
	s_or_b64 s[28:29], vcc, s[28:29]
	v_pk_mov_b32 v[2:3], v[0:1], v[0:1] op_sel:[0,1]
	s_andn2_b64 exec, exec, s[28:29]
	s_cbranch_execnz .LBB339_10
; %bb.11:                               ;   in Loop: Header=BB339_9 Depth=2
	s_or_b64 exec, exec, s[28:29]
	global_load_dwordx2 v[2:3], v[22:23], off offset:8
	v_fma_f64 v[24:25], v[16:17], v[24:25], v[20:21]
	s_mov_b64 s[28:29], 0
.LBB339_12:                             ;   Parent Loop BB339_7 Depth=1
                                        ;     Parent Loop BB339_9 Depth=2
                                        ; =>    This Inner Loop Header: Depth=3
	s_waitcnt vmcnt(0)
	v_add_f64 v[0:1], v[2:3], v[24:25]
	global_atomic_cmpswap_x2 v[0:1], v[22:23], v[0:3], off offset:8 glc
	s_waitcnt vmcnt(0)
	v_cmp_eq_u64_e32 vcc, v[0:1], v[2:3]
	s_or_b64 s[28:29], vcc, s[28:29]
	v_pk_mov_b32 v[2:3], v[0:1], v[0:1] op_sel:[0,1]
	s_andn2_b64 exec, exec, s[28:29]
	s_cbranch_execnz .LBB339_12
; %bb.13:                               ;   in Loop: Header=BB339_9 Depth=2
	s_or_b64 exec, exec, s[28:29]
	v_add_u32_e32 v12, 32, v12
	v_cmp_ge_i32_e32 vcc, v12, v31
	s_or_b64 s[14:15], vcc, s[14:15]
	s_andn2_b64 exec, exec, s[14:15]
	s_cbranch_execnz .LBB339_9
	s_branch .LBB339_6
.LBB339_14:
	s_or_b64 exec, exec, s[6:7]
	s_mov_b64 s[6:7], 0
.LBB339_15:
	s_andn2_b64 vcc, exec, s[6:7]
	s_cbranch_vccnz .LBB339_27
; %bb.16:
	s_and_b64 exec, exec, s[0:1]
	s_cbranch_execz .LBB339_27
; %bb.17:
	s_mov_b32 s6, 0
	v_subrev_u32_e32 v26, s2, v9
	s_mov_b64 s[0:1], 0
	v_mov_b32_e32 v27, s17
	v_mov_b32_e32 v28, s19
	s_brev_b32 s7, 1
	s_branch .LBB339_19
.LBB339_18:                             ;   in Loop: Header=BB339_19 Depth=1
	s_or_b64 exec, exec, s[8:9]
	v_add_u32_e32 v8, s3, v8
	v_cmp_le_i32_e32 vcc, s5, v8
	s_or_b64 s[0:1], vcc, s[0:1]
	s_andn2_b64 exec, exec, s[0:1]
	s_cbranch_execz .LBB339_27
.LBB339_19:                             ; =>This Loop Header: Depth=1
                                        ;     Child Loop BB339_22 Depth 2
                                        ;       Child Loop BB339_24 Depth 3
                                        ;       Child Loop BB339_26 Depth 3
	v_ashrrev_i32_e32 v9, 31, v8
	v_lshlrev_b64 v[0:1], 2, v[8:9]
	v_add_co_u32_e32 v2, vcc, s16, v0
	v_addc_co_u32_e32 v3, vcc, v27, v1, vcc
	v_add_co_u32_e32 v0, vcc, s18, v0
	v_addc_co_u32_e32 v1, vcc, v28, v1, vcc
	global_load_dword v10, v[0:1], off
	global_load_dword v11, v[2:3], off
	s_waitcnt vmcnt(1)
	v_subrev_u32_e32 v29, s2, v10
	s_waitcnt vmcnt(0)
	v_add_u32_e32 v10, v11, v26
	v_cmp_lt_i32_e32 vcc, v10, v29
	s_and_saveexec_b64 s[8:9], vcc
	s_cbranch_execz .LBB339_18
; %bb.20:                               ;   in Loop: Header=BB339_19 Depth=1
	v_lshlrev_b64 v[0:1], 4, v[8:9]
	v_mov_b32_e32 v2, s25
	v_add_co_u32_e32 v0, vcc, s24, v0
	v_addc_co_u32_e32 v1, vcc, v2, v1, vcc
	global_load_dwordx4 v[0:3], v[0:1], off
	s_mov_b64 s[10:11], 0
	s_waitcnt vmcnt(0)
	v_mul_f64 v[12:13], v[2:3], -v[6:7]
	v_mul_f64 v[14:15], v[4:5], v[2:3]
	v_fmac_f64_e32 v[12:13], v[4:5], v[0:1]
	v_fmac_f64_e32 v[14:15], v[6:7], v[0:1]
	v_mul_f64 v[16:17], v[14:15], s[6:7]
	v_mul_f64 v[18:19], v[12:13], 0
	s_branch .LBB339_22
.LBB339_21:                             ;   in Loop: Header=BB339_22 Depth=2
	s_or_b64 exec, exec, s[12:13]
	v_add_u32_e32 v10, 32, v10
	v_cmp_ge_i32_e32 vcc, v10, v29
	s_or_b64 s[10:11], vcc, s[10:11]
	s_andn2_b64 exec, exec, s[10:11]
	s_cbranch_execz .LBB339_18
.LBB339_22:                             ;   Parent Loop BB339_19 Depth=1
                                        ; =>  This Loop Header: Depth=2
                                        ;       Child Loop BB339_24 Depth 3
                                        ;       Child Loop BB339_26 Depth 3
	v_ashrrev_i32_e32 v11, 31, v10
	v_lshlrev_b64 v[0:1], 2, v[10:11]
	v_mov_b32_e32 v2, s21
	v_add_co_u32_e32 v0, vcc, s20, v0
	v_addc_co_u32_e32 v1, vcc, v2, v1, vcc
	global_load_dword v0, v[0:1], off
	s_waitcnt vmcnt(0)
	v_subrev_u32_e32 v0, s2, v0
	v_cmp_ne_u32_e32 vcc, v0, v8
	s_and_saveexec_b64 s[12:13], vcc
	s_cbranch_execz .LBB339_21
; %bb.23:                               ;   in Loop: Header=BB339_22 Depth=2
	v_lshlrev_b64 v[2:3], 3, v[10:11]
	v_mov_b32_e32 v1, s23
	v_add_co_u32_e32 v2, vcc, s22, v2
	v_addc_co_u32_e32 v3, vcc, v1, v3, vcc
	v_ashrrev_i32_e32 v1, 31, v0
	v_lshlrev_b64 v[0:1], 4, v[0:1]
	global_load_dwordx2 v[22:23], v[2:3], off
	v_mov_b32_e32 v2, s27
	v_add_co_u32_e32 v20, vcc, s26, v0
	v_addc_co_u32_e32 v21, vcc, v2, v1, vcc
	global_load_dwordx2 v[2:3], v[20:21], off
	s_mov_b64 s[14:15], 0
	s_waitcnt vmcnt(1)
	v_fma_f64 v[24:25], v[12:13], v[22:23], v[16:17]
.LBB339_24:                             ;   Parent Loop BB339_19 Depth=1
                                        ;     Parent Loop BB339_22 Depth=2
                                        ; =>    This Inner Loop Header: Depth=3
	s_waitcnt vmcnt(0)
	v_add_f64 v[0:1], v[2:3], v[24:25]
	global_atomic_cmpswap_x2 v[0:1], v[20:21], v[0:3], off glc
	s_waitcnt vmcnt(0)
	v_cmp_eq_u64_e32 vcc, v[0:1], v[2:3]
	s_or_b64 s[14:15], vcc, s[14:15]
	v_pk_mov_b32 v[2:3], v[0:1], v[0:1] op_sel:[0,1]
	s_andn2_b64 exec, exec, s[14:15]
	s_cbranch_execnz .LBB339_24
; %bb.25:                               ;   in Loop: Header=BB339_22 Depth=2
	s_or_b64 exec, exec, s[14:15]
	global_load_dwordx2 v[2:3], v[20:21], off offset:8
	v_fma_f64 v[22:23], v[14:15], v[22:23], v[18:19]
	s_mov_b64 s[14:15], 0
.LBB339_26:                             ;   Parent Loop BB339_19 Depth=1
                                        ;     Parent Loop BB339_22 Depth=2
                                        ; =>    This Inner Loop Header: Depth=3
	s_waitcnt vmcnt(0)
	v_add_f64 v[0:1], v[2:3], v[22:23]
	global_atomic_cmpswap_x2 v[0:1], v[20:21], v[0:3], off offset:8 glc
	s_waitcnt vmcnt(0)
	v_cmp_eq_u64_e32 vcc, v[0:1], v[2:3]
	s_or_b64 s[14:15], vcc, s[14:15]
	v_pk_mov_b32 v[2:3], v[0:1], v[0:1] op_sel:[0,1]
	s_andn2_b64 exec, exec, s[14:15]
	s_cbranch_execnz .LBB339_26
	s_branch .LBB339_21
.LBB339_27:
	s_endpgm
	.section	.rodata,"a",@progbits
	.p2align	6, 0x0
	.amdhsa_kernel _ZN9rocsparseL21csrmvt_general_kernelILj256ELj32Eiid21rocsparse_complex_numIdES2_S2_EEvbbT2_NS_24const_host_device_scalarIT6_EEPKT1_S9_PKS3_PKT3_PKT4_PT5_21rocsparse_index_base_b
		.amdhsa_group_segment_fixed_size 2048
		.amdhsa_private_segment_fixed_size 0
		.amdhsa_kernarg_size 336
		.amdhsa_user_sgpr_count 8
		.amdhsa_user_sgpr_private_segment_buffer 1
		.amdhsa_user_sgpr_dispatch_ptr 1
		.amdhsa_user_sgpr_queue_ptr 0
		.amdhsa_user_sgpr_kernarg_segment_ptr 1
		.amdhsa_user_sgpr_dispatch_id 0
		.amdhsa_user_sgpr_flat_scratch_init 0
		.amdhsa_user_sgpr_kernarg_preload_length 0
		.amdhsa_user_sgpr_kernarg_preload_offset 0
		.amdhsa_user_sgpr_private_segment_size 0
		.amdhsa_uses_dynamic_stack 0
		.amdhsa_system_sgpr_private_segment_wavefront_offset 0
		.amdhsa_system_sgpr_workgroup_id_x 1
		.amdhsa_system_sgpr_workgroup_id_y 0
		.amdhsa_system_sgpr_workgroup_id_z 0
		.amdhsa_system_sgpr_workgroup_info 0
		.amdhsa_system_vgpr_workitem_id 2
		.amdhsa_next_free_vgpr 32
		.amdhsa_next_free_sgpr 30
		.amdhsa_accum_offset 32
		.amdhsa_reserve_vcc 1
		.amdhsa_reserve_flat_scratch 0
		.amdhsa_float_round_mode_32 0
		.amdhsa_float_round_mode_16_64 0
		.amdhsa_float_denorm_mode_32 3
		.amdhsa_float_denorm_mode_16_64 3
		.amdhsa_dx10_clamp 1
		.amdhsa_ieee_mode 1
		.amdhsa_fp16_overflow 0
		.amdhsa_tg_split 0
		.amdhsa_exception_fp_ieee_invalid_op 0
		.amdhsa_exception_fp_denorm_src 0
		.amdhsa_exception_fp_ieee_div_zero 0
		.amdhsa_exception_fp_ieee_overflow 0
		.amdhsa_exception_fp_ieee_underflow 0
		.amdhsa_exception_fp_ieee_inexact 0
		.amdhsa_exception_int_div_zero 0
	.end_amdhsa_kernel
	.section	.text._ZN9rocsparseL21csrmvt_general_kernelILj256ELj32Eiid21rocsparse_complex_numIdES2_S2_EEvbbT2_NS_24const_host_device_scalarIT6_EEPKT1_S9_PKS3_PKT3_PKT4_PT5_21rocsparse_index_base_b,"axG",@progbits,_ZN9rocsparseL21csrmvt_general_kernelILj256ELj32Eiid21rocsparse_complex_numIdES2_S2_EEvbbT2_NS_24const_host_device_scalarIT6_EEPKT1_S9_PKS3_PKT3_PKT4_PT5_21rocsparse_index_base_b,comdat
.Lfunc_end339:
	.size	_ZN9rocsparseL21csrmvt_general_kernelILj256ELj32Eiid21rocsparse_complex_numIdES2_S2_EEvbbT2_NS_24const_host_device_scalarIT6_EEPKT1_S9_PKS3_PKT3_PKT4_PT5_21rocsparse_index_base_b, .Lfunc_end339-_ZN9rocsparseL21csrmvt_general_kernelILj256ELj32Eiid21rocsparse_complex_numIdES2_S2_EEvbbT2_NS_24const_host_device_scalarIT6_EEPKT1_S9_PKS3_PKT3_PKT4_PT5_21rocsparse_index_base_b
                                        ; -- End function
	.section	.AMDGPU.csdata,"",@progbits
; Kernel info:
; codeLenInByte = 1252
; NumSgprs: 34
; NumVgprs: 32
; NumAgprs: 0
; TotalNumVgprs: 32
; ScratchSize: 0
; MemoryBound: 0
; FloatMode: 240
; IeeeMode: 1
; LDSByteSize: 2048 bytes/workgroup (compile time only)
; SGPRBlocks: 4
; VGPRBlocks: 3
; NumSGPRsForWavesPerEU: 34
; NumVGPRsForWavesPerEU: 32
; AccumOffset: 32
; Occupancy: 8
; WaveLimiterHint : 1
; COMPUTE_PGM_RSRC2:SCRATCH_EN: 0
; COMPUTE_PGM_RSRC2:USER_SGPR: 8
; COMPUTE_PGM_RSRC2:TRAP_HANDLER: 0
; COMPUTE_PGM_RSRC2:TGID_X_EN: 1
; COMPUTE_PGM_RSRC2:TGID_Y_EN: 0
; COMPUTE_PGM_RSRC2:TGID_Z_EN: 0
; COMPUTE_PGM_RSRC2:TIDIG_COMP_CNT: 2
; COMPUTE_PGM_RSRC3_GFX90A:ACCUM_OFFSET: 7
; COMPUTE_PGM_RSRC3_GFX90A:TG_SPLIT: 0
	.section	.text._ZN9rocsparseL21csrmvt_general_kernelILj256ELj64Eiid21rocsparse_complex_numIdES2_S2_EEvbbT2_NS_24const_host_device_scalarIT6_EEPKT1_S9_PKS3_PKT3_PKT4_PT5_21rocsparse_index_base_b,"axG",@progbits,_ZN9rocsparseL21csrmvt_general_kernelILj256ELj64Eiid21rocsparse_complex_numIdES2_S2_EEvbbT2_NS_24const_host_device_scalarIT6_EEPKT1_S9_PKS3_PKT3_PKT4_PT5_21rocsparse_index_base_b,comdat
	.globl	_ZN9rocsparseL21csrmvt_general_kernelILj256ELj64Eiid21rocsparse_complex_numIdES2_S2_EEvbbT2_NS_24const_host_device_scalarIT6_EEPKT1_S9_PKS3_PKT3_PKT4_PT5_21rocsparse_index_base_b ; -- Begin function _ZN9rocsparseL21csrmvt_general_kernelILj256ELj64Eiid21rocsparse_complex_numIdES2_S2_EEvbbT2_NS_24const_host_device_scalarIT6_EEPKT1_S9_PKS3_PKT3_PKT4_PT5_21rocsparse_index_base_b
	.p2align	8
	.type	_ZN9rocsparseL21csrmvt_general_kernelILj256ELj64Eiid21rocsparse_complex_numIdES2_S2_EEvbbT2_NS_24const_host_device_scalarIT6_EEPKT1_S9_PKS3_PKT3_PKT4_PT5_21rocsparse_index_base_b,@function
_ZN9rocsparseL21csrmvt_general_kernelILj256ELj64Eiid21rocsparse_complex_numIdES2_S2_EEvbbT2_NS_24const_host_device_scalarIT6_EEPKT1_S9_PKS3_PKT3_PKT4_PT5_21rocsparse_index_base_b: ; @_ZN9rocsparseL21csrmvt_general_kernelILj256ELj64Eiid21rocsparse_complex_numIdES2_S2_EEvbbT2_NS_24const_host_device_scalarIT6_EEPKT1_S9_PKS3_PKT3_PKT4_PT5_21rocsparse_index_base_b
; %bb.0:
	s_load_dwordx2 s[2:3], s[6:7], 0x48
	s_load_dwordx2 s[0:1], s[4:5], 0x4
	s_load_dwordx8 s[12:19], s[6:7], 0x8
	v_and_b32_e32 v1, 0x3ff, v0
	v_bfe_u32 v3, v0, 10, 10
	s_waitcnt lgkmcnt(0)
	s_and_b32 s3, 1, s3
	s_lshr_b32 s0, s0, 16
	s_mul_i32 s0, s0, s1
	v_mul_lo_u32 v2, s0, v1
	s_cmp_eq_u32 s3, 1
	v_mad_u32_u24 v2, v3, s1, v2
	v_bfe_u32 v0, v0, 20, 10
	v_add_lshl_u32 v0, v2, v0, 3
	v_pk_mov_b32 v[2:3], s[12:13], s[12:13] op_sel:[0,1]
	s_cselect_b64 vcc, -1, 0
	ds_write_b64 v0, v[2:3]
	s_mov_b64 s[0:1], src_shared_base
	v_cndmask_b32_e32 v2, v2, v0, vcc
	s_and_b64 vcc, vcc, exec
	s_cselect_b32 s0, s1, s13
	v_mov_b32_e32 v3, s0
	flat_load_dwordx2 v[4:5], v[2:3]
	v_pk_mov_b32 v[6:7], s[14:15], s[14:15] op_sel:[0,1]
	s_cbranch_vccnz .LBB340_2
; %bb.1:
	v_pk_mov_b32 v[2:3], s[12:13], s[12:13] op_sel:[0,1]
	flat_load_dwordx2 v[6:7], v[2:3] offset:8
.LBB340_2:
	s_waitcnt vmcnt(0) lgkmcnt(0)
	v_cmp_neq_f64_e32 vcc, 0, v[4:5]
	v_cmp_neq_f64_e64 s[0:1], 0, v[6:7]
	s_or_b64 s[0:1], vcc, s[0:1]
	s_and_saveexec_b64 s[4:5], s[0:1]
	s_cbranch_execz .LBB340_27
; %bb.3:
	s_load_dwordx2 s[4:5], s[6:7], 0x0
	s_load_dword s0, s[6:7], 0x50
	s_load_dwordx8 s[20:27], s[6:7], 0x28
	v_lshl_or_b32 v0, s8, 8, v1
	v_lshrrev_b32_e32 v8, 6, v0
	s_waitcnt lgkmcnt(0)
	s_and_b32 s1, s4, 1
	s_lshl_b32 s3, s0, 2
	v_and_b32_e32 v9, 63, v1
	s_cmp_eq_u32 s1, 0
	v_cmp_gt_i32_e64 s[0:1], s5, v8
	s_mov_b64 s[6:7], -1
	s_cbranch_scc0 .LBB340_15
; %bb.4:
	s_and_saveexec_b64 s[6:7], s[0:1]
	s_cbranch_execz .LBB340_14
; %bb.5:
	s_mov_b32 s10, 0
	v_subrev_u32_e32 v28, s2, v9
	s_mov_b64 s[8:9], 0
	v_mov_b32_e32 v29, s17
	v_mov_b32_e32 v30, s19
	s_brev_b32 s11, 1
	v_mov_b32_e32 v10, v8
	s_branch .LBB340_7
.LBB340_6:                              ;   in Loop: Header=BB340_7 Depth=1
	s_or_b64 exec, exec, s[12:13]
	v_add_u32_e32 v10, s3, v10
	v_cmp_le_i32_e32 vcc, s5, v10
	s_or_b64 s[8:9], vcc, s[8:9]
	s_andn2_b64 exec, exec, s[8:9]
	s_cbranch_execz .LBB340_14
.LBB340_7:                              ; =>This Loop Header: Depth=1
                                        ;     Child Loop BB340_9 Depth 2
                                        ;       Child Loop BB340_10 Depth 3
                                        ;       Child Loop BB340_12 Depth 3
	v_ashrrev_i32_e32 v11, 31, v10
	v_lshlrev_b64 v[0:1], 2, v[10:11]
	v_add_co_u32_e32 v2, vcc, s16, v0
	v_addc_co_u32_e32 v3, vcc, v29, v1, vcc
	v_add_co_u32_e32 v0, vcc, s18, v0
	v_addc_co_u32_e32 v1, vcc, v30, v1, vcc
	global_load_dword v12, v[0:1], off
	global_load_dword v13, v[2:3], off
	s_waitcnt vmcnt(1)
	v_subrev_u32_e32 v31, s2, v12
	s_waitcnt vmcnt(0)
	v_add_u32_e32 v12, v13, v28
	v_cmp_lt_i32_e32 vcc, v12, v31
	s_and_saveexec_b64 s[12:13], vcc
	s_cbranch_execz .LBB340_6
; %bb.8:                                ;   in Loop: Header=BB340_7 Depth=1
	v_lshlrev_b64 v[0:1], 4, v[10:11]
	v_mov_b32_e32 v2, s25
	v_add_co_u32_e32 v0, vcc, s24, v0
	v_addc_co_u32_e32 v1, vcc, v2, v1, vcc
	global_load_dwordx4 v[0:3], v[0:1], off
	s_mov_b64 s[14:15], 0
	s_waitcnt vmcnt(0)
	v_mul_f64 v[14:15], v[2:3], -v[6:7]
	v_mul_f64 v[16:17], v[4:5], v[2:3]
	v_fmac_f64_e32 v[14:15], v[4:5], v[0:1]
	v_fmac_f64_e32 v[16:17], v[6:7], v[0:1]
	v_mul_f64 v[18:19], v[16:17], s[10:11]
	v_mul_f64 v[20:21], v[14:15], 0
.LBB340_9:                              ;   Parent Loop BB340_7 Depth=1
                                        ; =>  This Loop Header: Depth=2
                                        ;       Child Loop BB340_10 Depth 3
                                        ;       Child Loop BB340_12 Depth 3
	v_ashrrev_i32_e32 v13, 31, v12
	v_lshlrev_b64 v[0:1], 2, v[12:13]
	v_mov_b32_e32 v2, s21
	v_add_co_u32_e32 v0, vcc, s20, v0
	v_addc_co_u32_e32 v1, vcc, v2, v1, vcc
	global_load_dword v2, v[0:1], off
	v_lshlrev_b64 v[0:1], 3, v[12:13]
	v_mov_b32_e32 v3, s23
	v_add_co_u32_e32 v0, vcc, s22, v0
	v_addc_co_u32_e32 v1, vcc, v3, v1, vcc
	global_load_dwordx2 v[24:25], v[0:1], off
	v_mov_b32_e32 v11, s27
	s_mov_b64 s[28:29], 0
	s_waitcnt vmcnt(1)
	v_subrev_u32_e32 v0, s2, v2
	v_ashrrev_i32_e32 v1, 31, v0
	v_lshlrev_b64 v[0:1], 4, v[0:1]
	v_add_co_u32_e32 v22, vcc, s26, v0
	v_addc_co_u32_e32 v23, vcc, v11, v1, vcc
	global_load_dwordx2 v[2:3], v[22:23], off
	s_waitcnt vmcnt(1)
	v_fma_f64 v[26:27], v[14:15], v[24:25], v[18:19]
.LBB340_10:                             ;   Parent Loop BB340_7 Depth=1
                                        ;     Parent Loop BB340_9 Depth=2
                                        ; =>    This Inner Loop Header: Depth=3
	s_waitcnt vmcnt(0)
	v_add_f64 v[0:1], v[2:3], v[26:27]
	global_atomic_cmpswap_x2 v[0:1], v[22:23], v[0:3], off glc
	s_waitcnt vmcnt(0)
	v_cmp_eq_u64_e32 vcc, v[0:1], v[2:3]
	s_or_b64 s[28:29], vcc, s[28:29]
	v_pk_mov_b32 v[2:3], v[0:1], v[0:1] op_sel:[0,1]
	s_andn2_b64 exec, exec, s[28:29]
	s_cbranch_execnz .LBB340_10
; %bb.11:                               ;   in Loop: Header=BB340_9 Depth=2
	s_or_b64 exec, exec, s[28:29]
	global_load_dwordx2 v[2:3], v[22:23], off offset:8
	v_fma_f64 v[24:25], v[16:17], v[24:25], v[20:21]
	s_mov_b64 s[28:29], 0
.LBB340_12:                             ;   Parent Loop BB340_7 Depth=1
                                        ;     Parent Loop BB340_9 Depth=2
                                        ; =>    This Inner Loop Header: Depth=3
	s_waitcnt vmcnt(0)
	v_add_f64 v[0:1], v[2:3], v[24:25]
	global_atomic_cmpswap_x2 v[0:1], v[22:23], v[0:3], off offset:8 glc
	s_waitcnt vmcnt(0)
	v_cmp_eq_u64_e32 vcc, v[0:1], v[2:3]
	s_or_b64 s[28:29], vcc, s[28:29]
	v_pk_mov_b32 v[2:3], v[0:1], v[0:1] op_sel:[0,1]
	s_andn2_b64 exec, exec, s[28:29]
	s_cbranch_execnz .LBB340_12
; %bb.13:                               ;   in Loop: Header=BB340_9 Depth=2
	s_or_b64 exec, exec, s[28:29]
	v_add_u32_e32 v12, 64, v12
	v_cmp_ge_i32_e32 vcc, v12, v31
	s_or_b64 s[14:15], vcc, s[14:15]
	s_andn2_b64 exec, exec, s[14:15]
	s_cbranch_execnz .LBB340_9
	s_branch .LBB340_6
.LBB340_14:
	s_or_b64 exec, exec, s[6:7]
	s_mov_b64 s[6:7], 0
.LBB340_15:
	s_andn2_b64 vcc, exec, s[6:7]
	s_cbranch_vccnz .LBB340_27
; %bb.16:
	s_and_b64 exec, exec, s[0:1]
	s_cbranch_execz .LBB340_27
; %bb.17:
	s_mov_b32 s6, 0
	v_subrev_u32_e32 v26, s2, v9
	s_mov_b64 s[0:1], 0
	v_mov_b32_e32 v27, s17
	v_mov_b32_e32 v28, s19
	s_brev_b32 s7, 1
	s_branch .LBB340_19
.LBB340_18:                             ;   in Loop: Header=BB340_19 Depth=1
	s_or_b64 exec, exec, s[8:9]
	v_add_u32_e32 v8, s3, v8
	v_cmp_le_i32_e32 vcc, s5, v8
	s_or_b64 s[0:1], vcc, s[0:1]
	s_andn2_b64 exec, exec, s[0:1]
	s_cbranch_execz .LBB340_27
.LBB340_19:                             ; =>This Loop Header: Depth=1
                                        ;     Child Loop BB340_22 Depth 2
                                        ;       Child Loop BB340_24 Depth 3
                                        ;       Child Loop BB340_26 Depth 3
	v_ashrrev_i32_e32 v9, 31, v8
	v_lshlrev_b64 v[0:1], 2, v[8:9]
	v_add_co_u32_e32 v2, vcc, s16, v0
	v_addc_co_u32_e32 v3, vcc, v27, v1, vcc
	v_add_co_u32_e32 v0, vcc, s18, v0
	v_addc_co_u32_e32 v1, vcc, v28, v1, vcc
	global_load_dword v10, v[0:1], off
	global_load_dword v11, v[2:3], off
	s_waitcnt vmcnt(1)
	v_subrev_u32_e32 v29, s2, v10
	s_waitcnt vmcnt(0)
	v_add_u32_e32 v10, v11, v26
	v_cmp_lt_i32_e32 vcc, v10, v29
	s_and_saveexec_b64 s[8:9], vcc
	s_cbranch_execz .LBB340_18
; %bb.20:                               ;   in Loop: Header=BB340_19 Depth=1
	v_lshlrev_b64 v[0:1], 4, v[8:9]
	v_mov_b32_e32 v2, s25
	v_add_co_u32_e32 v0, vcc, s24, v0
	v_addc_co_u32_e32 v1, vcc, v2, v1, vcc
	global_load_dwordx4 v[0:3], v[0:1], off
	s_mov_b64 s[10:11], 0
	s_waitcnt vmcnt(0)
	v_mul_f64 v[12:13], v[2:3], -v[6:7]
	v_mul_f64 v[14:15], v[4:5], v[2:3]
	v_fmac_f64_e32 v[12:13], v[4:5], v[0:1]
	v_fmac_f64_e32 v[14:15], v[6:7], v[0:1]
	v_mul_f64 v[16:17], v[14:15], s[6:7]
	v_mul_f64 v[18:19], v[12:13], 0
	s_branch .LBB340_22
.LBB340_21:                             ;   in Loop: Header=BB340_22 Depth=2
	s_or_b64 exec, exec, s[12:13]
	v_add_u32_e32 v10, 64, v10
	v_cmp_ge_i32_e32 vcc, v10, v29
	s_or_b64 s[10:11], vcc, s[10:11]
	s_andn2_b64 exec, exec, s[10:11]
	s_cbranch_execz .LBB340_18
.LBB340_22:                             ;   Parent Loop BB340_19 Depth=1
                                        ; =>  This Loop Header: Depth=2
                                        ;       Child Loop BB340_24 Depth 3
                                        ;       Child Loop BB340_26 Depth 3
	v_ashrrev_i32_e32 v11, 31, v10
	v_lshlrev_b64 v[0:1], 2, v[10:11]
	v_mov_b32_e32 v2, s21
	v_add_co_u32_e32 v0, vcc, s20, v0
	v_addc_co_u32_e32 v1, vcc, v2, v1, vcc
	global_load_dword v0, v[0:1], off
	s_waitcnt vmcnt(0)
	v_subrev_u32_e32 v0, s2, v0
	v_cmp_ne_u32_e32 vcc, v0, v8
	s_and_saveexec_b64 s[12:13], vcc
	s_cbranch_execz .LBB340_21
; %bb.23:                               ;   in Loop: Header=BB340_22 Depth=2
	v_lshlrev_b64 v[2:3], 3, v[10:11]
	v_mov_b32_e32 v1, s23
	v_add_co_u32_e32 v2, vcc, s22, v2
	v_addc_co_u32_e32 v3, vcc, v1, v3, vcc
	v_ashrrev_i32_e32 v1, 31, v0
	v_lshlrev_b64 v[0:1], 4, v[0:1]
	global_load_dwordx2 v[22:23], v[2:3], off
	v_mov_b32_e32 v2, s27
	v_add_co_u32_e32 v20, vcc, s26, v0
	v_addc_co_u32_e32 v21, vcc, v2, v1, vcc
	global_load_dwordx2 v[2:3], v[20:21], off
	s_mov_b64 s[14:15], 0
	s_waitcnt vmcnt(1)
	v_fma_f64 v[24:25], v[12:13], v[22:23], v[16:17]
.LBB340_24:                             ;   Parent Loop BB340_19 Depth=1
                                        ;     Parent Loop BB340_22 Depth=2
                                        ; =>    This Inner Loop Header: Depth=3
	s_waitcnt vmcnt(0)
	v_add_f64 v[0:1], v[2:3], v[24:25]
	global_atomic_cmpswap_x2 v[0:1], v[20:21], v[0:3], off glc
	s_waitcnt vmcnt(0)
	v_cmp_eq_u64_e32 vcc, v[0:1], v[2:3]
	s_or_b64 s[14:15], vcc, s[14:15]
	v_pk_mov_b32 v[2:3], v[0:1], v[0:1] op_sel:[0,1]
	s_andn2_b64 exec, exec, s[14:15]
	s_cbranch_execnz .LBB340_24
; %bb.25:                               ;   in Loop: Header=BB340_22 Depth=2
	s_or_b64 exec, exec, s[14:15]
	global_load_dwordx2 v[2:3], v[20:21], off offset:8
	v_fma_f64 v[22:23], v[14:15], v[22:23], v[18:19]
	s_mov_b64 s[14:15], 0
.LBB340_26:                             ;   Parent Loop BB340_19 Depth=1
                                        ;     Parent Loop BB340_22 Depth=2
                                        ; =>    This Inner Loop Header: Depth=3
	s_waitcnt vmcnt(0)
	v_add_f64 v[0:1], v[2:3], v[22:23]
	global_atomic_cmpswap_x2 v[0:1], v[20:21], v[0:3], off offset:8 glc
	s_waitcnt vmcnt(0)
	v_cmp_eq_u64_e32 vcc, v[0:1], v[2:3]
	s_or_b64 s[14:15], vcc, s[14:15]
	v_pk_mov_b32 v[2:3], v[0:1], v[0:1] op_sel:[0,1]
	s_andn2_b64 exec, exec, s[14:15]
	s_cbranch_execnz .LBB340_26
	s_branch .LBB340_21
.LBB340_27:
	s_endpgm
	.section	.rodata,"a",@progbits
	.p2align	6, 0x0
	.amdhsa_kernel _ZN9rocsparseL21csrmvt_general_kernelILj256ELj64Eiid21rocsparse_complex_numIdES2_S2_EEvbbT2_NS_24const_host_device_scalarIT6_EEPKT1_S9_PKS3_PKT3_PKT4_PT5_21rocsparse_index_base_b
		.amdhsa_group_segment_fixed_size 2048
		.amdhsa_private_segment_fixed_size 0
		.amdhsa_kernarg_size 336
		.amdhsa_user_sgpr_count 8
		.amdhsa_user_sgpr_private_segment_buffer 1
		.amdhsa_user_sgpr_dispatch_ptr 1
		.amdhsa_user_sgpr_queue_ptr 0
		.amdhsa_user_sgpr_kernarg_segment_ptr 1
		.amdhsa_user_sgpr_dispatch_id 0
		.amdhsa_user_sgpr_flat_scratch_init 0
		.amdhsa_user_sgpr_kernarg_preload_length 0
		.amdhsa_user_sgpr_kernarg_preload_offset 0
		.amdhsa_user_sgpr_private_segment_size 0
		.amdhsa_uses_dynamic_stack 0
		.amdhsa_system_sgpr_private_segment_wavefront_offset 0
		.amdhsa_system_sgpr_workgroup_id_x 1
		.amdhsa_system_sgpr_workgroup_id_y 0
		.amdhsa_system_sgpr_workgroup_id_z 0
		.amdhsa_system_sgpr_workgroup_info 0
		.amdhsa_system_vgpr_workitem_id 2
		.amdhsa_next_free_vgpr 32
		.amdhsa_next_free_sgpr 30
		.amdhsa_accum_offset 32
		.amdhsa_reserve_vcc 1
		.amdhsa_reserve_flat_scratch 0
		.amdhsa_float_round_mode_32 0
		.amdhsa_float_round_mode_16_64 0
		.amdhsa_float_denorm_mode_32 3
		.amdhsa_float_denorm_mode_16_64 3
		.amdhsa_dx10_clamp 1
		.amdhsa_ieee_mode 1
		.amdhsa_fp16_overflow 0
		.amdhsa_tg_split 0
		.amdhsa_exception_fp_ieee_invalid_op 0
		.amdhsa_exception_fp_denorm_src 0
		.amdhsa_exception_fp_ieee_div_zero 0
		.amdhsa_exception_fp_ieee_overflow 0
		.amdhsa_exception_fp_ieee_underflow 0
		.amdhsa_exception_fp_ieee_inexact 0
		.amdhsa_exception_int_div_zero 0
	.end_amdhsa_kernel
	.section	.text._ZN9rocsparseL21csrmvt_general_kernelILj256ELj64Eiid21rocsparse_complex_numIdES2_S2_EEvbbT2_NS_24const_host_device_scalarIT6_EEPKT1_S9_PKS3_PKT3_PKT4_PT5_21rocsparse_index_base_b,"axG",@progbits,_ZN9rocsparseL21csrmvt_general_kernelILj256ELj64Eiid21rocsparse_complex_numIdES2_S2_EEvbbT2_NS_24const_host_device_scalarIT6_EEPKT1_S9_PKS3_PKT3_PKT4_PT5_21rocsparse_index_base_b,comdat
.Lfunc_end340:
	.size	_ZN9rocsparseL21csrmvt_general_kernelILj256ELj64Eiid21rocsparse_complex_numIdES2_S2_EEvbbT2_NS_24const_host_device_scalarIT6_EEPKT1_S9_PKS3_PKT3_PKT4_PT5_21rocsparse_index_base_b, .Lfunc_end340-_ZN9rocsparseL21csrmvt_general_kernelILj256ELj64Eiid21rocsparse_complex_numIdES2_S2_EEvbbT2_NS_24const_host_device_scalarIT6_EEPKT1_S9_PKS3_PKT3_PKT4_PT5_21rocsparse_index_base_b
                                        ; -- End function
	.section	.AMDGPU.csdata,"",@progbits
; Kernel info:
; codeLenInByte = 1252
; NumSgprs: 34
; NumVgprs: 32
; NumAgprs: 0
; TotalNumVgprs: 32
; ScratchSize: 0
; MemoryBound: 0
; FloatMode: 240
; IeeeMode: 1
; LDSByteSize: 2048 bytes/workgroup (compile time only)
; SGPRBlocks: 4
; VGPRBlocks: 3
; NumSGPRsForWavesPerEU: 34
; NumVGPRsForWavesPerEU: 32
; AccumOffset: 32
; Occupancy: 8
; WaveLimiterHint : 1
; COMPUTE_PGM_RSRC2:SCRATCH_EN: 0
; COMPUTE_PGM_RSRC2:USER_SGPR: 8
; COMPUTE_PGM_RSRC2:TRAP_HANDLER: 0
; COMPUTE_PGM_RSRC2:TGID_X_EN: 1
; COMPUTE_PGM_RSRC2:TGID_Y_EN: 0
; COMPUTE_PGM_RSRC2:TGID_Z_EN: 0
; COMPUTE_PGM_RSRC2:TIDIG_COMP_CNT: 2
; COMPUTE_PGM_RSRC3_GFX90A:ACCUM_OFFSET: 7
; COMPUTE_PGM_RSRC3_GFX90A:TG_SPLIT: 0
	.section	.text._ZN9rocsparseL21csrmvn_general_kernelILj256ELj2Elid21rocsparse_complex_numIdES2_S2_EEvbT2_NS_24const_host_device_scalarIT6_EEPKT1_S9_PKS3_PKT3_PKT4_S6_PT5_21rocsparse_index_base_b,"axG",@progbits,_ZN9rocsparseL21csrmvn_general_kernelILj256ELj2Elid21rocsparse_complex_numIdES2_S2_EEvbT2_NS_24const_host_device_scalarIT6_EEPKT1_S9_PKS3_PKT3_PKT4_S6_PT5_21rocsparse_index_base_b,comdat
	.globl	_ZN9rocsparseL21csrmvn_general_kernelILj256ELj2Elid21rocsparse_complex_numIdES2_S2_EEvbT2_NS_24const_host_device_scalarIT6_EEPKT1_S9_PKS3_PKT3_PKT4_S6_PT5_21rocsparse_index_base_b ; -- Begin function _ZN9rocsparseL21csrmvn_general_kernelILj256ELj2Elid21rocsparse_complex_numIdES2_S2_EEvbT2_NS_24const_host_device_scalarIT6_EEPKT1_S9_PKS3_PKT3_PKT4_S6_PT5_21rocsparse_index_base_b
	.p2align	8
	.type	_ZN9rocsparseL21csrmvn_general_kernelILj256ELj2Elid21rocsparse_complex_numIdES2_S2_EEvbT2_NS_24const_host_device_scalarIT6_EEPKT1_S9_PKS3_PKT3_PKT4_S6_PT5_21rocsparse_index_base_b,@function
_ZN9rocsparseL21csrmvn_general_kernelILj256ELj2Elid21rocsparse_complex_numIdES2_S2_EEvbT2_NS_24const_host_device_scalarIT6_EEPKT1_S9_PKS3_PKT3_PKT4_S6_PT5_21rocsparse_index_base_b: ; @_ZN9rocsparseL21csrmvn_general_kernelILj256ELj2Elid21rocsparse_complex_numIdES2_S2_EEvbT2_NS_24const_host_device_scalarIT6_EEPKT1_S9_PKS3_PKT3_PKT4_S6_PT5_21rocsparse_index_base_b
; %bb.0:
	s_load_dwordx2 s[24:25], s[6:7], 0x58
	s_load_dwordx8 s[12:19], s[6:7], 0x8
	s_load_dwordx4 s[20:23], s[6:7], 0x40
	s_mov_b64 s[2:3], src_shared_base
	s_load_dwordx2 s[4:5], s[4:5], 0x4
	s_waitcnt lgkmcnt(0)
	s_bitcmp1_b32 s25, 0
	s_cselect_b64 s[0:1], -1, 0
	s_and_b64 vcc, s[0:1], exec
	s_cselect_b32 s2, s3, s13
	s_lshr_b32 s4, s4, 16
	v_and_b32_e32 v1, 0x3ff, v0
	s_mul_i32 s4, s4, s5
	v_mul_lo_u32 v2, s4, v1
	v_bfe_u32 v3, v0, 10, 10
	v_mad_u32_u24 v2, v3, s5, v2
	v_bfe_u32 v0, v0, 20, 10
	v_add_lshl_u32 v0, v2, v0, 3
	v_mov_b32_e32 v6, s12
	v_add_u32_e32 v7, 0x800, v0
	v_pk_mov_b32 v[2:3], s[12:13], s[12:13] op_sel:[0,1]
	v_pk_mov_b32 v[4:5], s[20:21], s[20:21] op_sel:[0,1]
	ds_write2st64_b64 v0, v[4:5], v[2:3] offset1:4
	v_cndmask_b32_e64 v2, v6, v7, s[0:1]
	v_mov_b32_e32 v3, s2
	flat_load_dwordx2 v[4:5], v[2:3]
	s_xor_b64 s[4:5], s[0:1], -1
	v_pk_mov_b32 v[6:7], s[14:15], s[14:15] op_sel:[0,1]
	s_cbranch_vccnz .LBB341_2
; %bb.1:
	v_pk_mov_b32 v[2:3], s[12:13], s[12:13] op_sel:[0,1]
	flat_load_dwordx2 v[6:7], v[2:3] offset:8
.LBB341_2:
	s_and_b64 s[10:11], s[0:1], exec
	s_cselect_b32 s2, s3, s21
	v_mov_b32_e32 v2, s20
	v_cndmask_b32_e64 v2, v2, v0, s[0:1]
	v_mov_b32_e32 v3, s2
	flat_load_dwordx2 v[8:9], v[2:3]
	s_andn2_b64 vcc, exec, s[4:5]
	v_pk_mov_b32 v[10:11], s[22:23], s[22:23] op_sel:[0,1]
	s_cbranch_vccnz .LBB341_4
; %bb.3:
	v_pk_mov_b32 v[2:3], s[20:21], s[20:21] op_sel:[0,1]
	flat_load_dwordx2 v[10:11], v[2:3] offset:8
.LBB341_4:
	s_waitcnt vmcnt(0) lgkmcnt(0)
	v_cmp_eq_f64_e32 vcc, 0, v[4:5]
	v_cmp_eq_f64_e64 s[0:1], 0, v[6:7]
	s_and_b64 s[4:5], vcc, s[0:1]
	s_mov_b64 s[0:1], -1
	s_and_saveexec_b64 s[2:3], s[4:5]
; %bb.5:
	v_cmp_neq_f64_e32 vcc, 1.0, v[8:9]
	v_cmp_neq_f64_e64 s[0:1], 0, v[10:11]
	s_or_b64 s[0:1], vcc, s[0:1]
	s_orn2_b64 s[0:1], s[0:1], exec
; %bb.6:
	s_or_b64 exec, exec, s[2:3]
	s_and_saveexec_b64 s[2:3], s[0:1]
	s_cbranch_execz .LBB341_18
; %bb.7:
	s_load_dword s20, s[6:7], 0x4
	v_lshl_or_b32 v0, s8, 8, v1
	v_lshrrev_b32_e32 v12, 1, v0
	s_waitcnt lgkmcnt(0)
	v_cmp_gt_i32_e32 vcc, s20, v12
	s_and_b64 exec, exec, vcc
	s_cbranch_execz .LBB341_18
; %bb.8:
	s_load_dword s2, s[6:7], 0x60
	s_load_dwordx2 s[4:5], s[6:7], 0x50
	s_load_dwordx4 s[8:11], s[6:7], 0x28
	s_load_dwordx2 s[0:1], s[6:7], 0x38
	v_and_b32_e32 v0, 1, v1
	v_subrev_co_u32_e32 v26, vcc, s24, v0
	s_waitcnt lgkmcnt(0)
	s_lshl_b32 s21, s2, 7
	v_subb_co_u32_e64 v27, s[2:3], 0, 0, vcc
	s_mov_b32 s2, 0
	s_brev_b32 s3, 1
	v_mul_f64 v[14:15], v[6:7], s[2:3]
	s_ashr_i32 s3, s24, 31
	s_mov_b32 s2, s24
	s_lshl_b64 s[2:3], s[2:3], 4
	s_sub_u32 s22, s0, s2
	s_mov_b32 s12, 0
	s_subb_u32 s13, s1, s3
	v_cmp_neq_f64_e64 s[0:1], 0, v[8:9]
	v_cmp_neq_f64_e64 s[2:3], 0, v[10:11]
	s_mov_b64 s[6:7], 0
	v_mul_f64 v[16:17], v[4:5], 0
	v_cmp_eq_u32_e32 vcc, 1, v0
	s_or_b64 s[2:3], s[0:1], s[2:3]
	v_mov_b32_e32 v28, s17
	v_mov_b32_e32 v29, s19
	;; [unrolled: 1-line block ×4, first 2 shown]
	s_branch .LBB341_11
.LBB341_9:                              ;   in Loop: Header=BB341_11 Depth=1
	s_or_b64 exec, exec, s[0:1]
	global_store_dwordx4 v[18:19], v[0:3], off
.LBB341_10:                             ;   in Loop: Header=BB341_11 Depth=1
	s_or_b64 exec, exec, s[12:13]
	v_add_u32_e32 v12, s21, v12
	v_cmp_le_i32_e64 s[0:1], s20, v12
	s_or_b64 s[6:7], s[0:1], s[6:7]
	s_andn2_b64 exec, exec, s[6:7]
	s_cbranch_execz .LBB341_18
.LBB341_11:                             ; =>This Loop Header: Depth=1
                                        ;     Child Loop BB341_13 Depth 2
	v_ashrrev_i32_e32 v13, 31, v12
	v_lshlrev_b64 v[0:1], 3, v[12:13]
	v_add_co_u32_e64 v2, s[0:1], s18, v0
	v_addc_co_u32_e64 v3, s[0:1], v29, v1, s[0:1]
	global_load_dwordx2 v[18:19], v[2:3], off
	v_add_co_u32_e64 v0, s[0:1], s16, v0
	v_addc_co_u32_e64 v1, s[0:1], v28, v1, s[0:1]
	global_load_dwordx2 v[20:21], v[0:1], off
	v_pk_mov_b32 v[2:3], 0, 0
	s_waitcnt vmcnt(1)
	v_subrev_co_u32_e64 v0, s[0:1], s24, v18
	v_subb_co_u32_e64 v1, s[0:1], v19, v30, s[0:1]
	s_waitcnt vmcnt(0)
	v_add_co_u32_e64 v18, s[0:1], v20, v26
	v_addc_co_u32_e64 v19, s[0:1], v21, v27, s[0:1]
	v_cmp_lt_i64_e64 s[0:1], v[18:19], v[0:1]
	v_pk_mov_b32 v[20:21], v[2:3], v[2:3] op_sel:[0,1]
	s_and_saveexec_b64 s[12:13], s[0:1]
	s_cbranch_execz .LBB341_15
; %bb.12:                               ;   in Loop: Header=BB341_11 Depth=1
	v_lshlrev_b64 v[2:3], 3, v[18:19]
	v_mov_b32_e32 v20, s11
	v_add_co_u32_e64 v22, s[0:1], s10, v2
	v_addc_co_u32_e64 v23, s[0:1], v20, v3, s[0:1]
	v_lshlrev_b64 v[2:3], 2, v[18:19]
	v_mov_b32_e32 v20, s9
	v_add_co_u32_e64 v24, s[0:1], s8, v2
	v_addc_co_u32_e64 v25, s[0:1], v20, v3, s[0:1]
	v_pk_mov_b32 v[2:3], 0, 0
	s_mov_b64 s[14:15], 0
	v_pk_mov_b32 v[20:21], v[2:3], v[2:3] op_sel:[0,1]
.LBB341_13:                             ;   Parent Loop BB341_11 Depth=1
                                        ; =>  This Inner Loop Header: Depth=2
	global_load_dword v32, v[24:25], off
	global_load_dwordx2 v[36:37], v[22:23], off
	s_waitcnt vmcnt(1)
	v_ashrrev_i32_e32 v33, 31, v32
	v_lshlrev_b64 v[32:33], 4, v[32:33]
	v_add_co_u32_e64 v32, s[0:1], s22, v32
	v_addc_co_u32_e64 v33, s[0:1], v31, v33, s[0:1]
	global_load_dwordx4 v[32:35], v[32:33], off
	v_add_co_u32_e64 v18, s[0:1], 2, v18
	v_addc_co_u32_e64 v19, s[0:1], 0, v19, s[0:1]
	v_add_co_u32_e64 v22, s[0:1], 16, v22
	v_addc_co_u32_e64 v23, s[0:1], 0, v23, s[0:1]
	;; [unrolled: 2-line block ×3, first 2 shown]
	s_waitcnt vmcnt(1)
	v_fma_f64 v[38:39], v[4:5], v[36:37], v[14:15]
	v_fma_f64 v[36:37], v[6:7], v[36:37], v[16:17]
	v_cmp_ge_i64_e64 s[0:1], v[18:19], v[0:1]
	s_or_b64 s[14:15], s[0:1], s[14:15]
	s_waitcnt vmcnt(0)
	v_fmac_f64_e32 v[20:21], v[38:39], v[32:33]
	v_fmac_f64_e32 v[2:3], v[36:37], v[32:33]
	v_fma_f64 v[20:21], -v[36:37], v[34:35], v[20:21]
	v_fmac_f64_e32 v[2:3], v[38:39], v[34:35]
	s_andn2_b64 exec, exec, s[14:15]
	s_cbranch_execnz .LBB341_13
; %bb.14:                               ;   in Loop: Header=BB341_11 Depth=1
	s_or_b64 exec, exec, s[14:15]
.LBB341_15:                             ;   in Loop: Header=BB341_11 Depth=1
	s_or_b64 exec, exec, s[12:13]
	v_mov_b32_dpp v0, v20 row_shr:1 row_mask:0xf bank_mask:0xf
	v_mov_b32_dpp v1, v21 row_shr:1 row_mask:0xf bank_mask:0xf
	;; [unrolled: 1-line block ×4, first 2 shown]
	s_and_saveexec_b64 s[12:13], vcc
	s_cbranch_execz .LBB341_10
; %bb.16:                               ;   in Loop: Header=BB341_11 Depth=1
	v_add_f64 v[2:3], v[2:3], v[18:19]
	v_lshlrev_b64 v[18:19], 4, v[12:13]
	v_mov_b32_e32 v13, s5
	v_add_co_u32_e64 v18, s[0:1], s4, v18
	v_add_f64 v[0:1], v[20:21], v[0:1]
	v_addc_co_u32_e64 v19, s[0:1], v13, v19, s[0:1]
	s_and_saveexec_b64 s[0:1], s[2:3]
	s_cbranch_execz .LBB341_9
; %bb.17:                               ;   in Loop: Header=BB341_11 Depth=1
	global_load_dwordx4 v[20:23], v[18:19], off
	s_waitcnt vmcnt(0)
	v_fmac_f64_e32 v[0:1], v[8:9], v[20:21]
	v_fmac_f64_e32 v[2:3], v[10:11], v[20:21]
	v_fma_f64 v[0:1], -v[10:11], v[22:23], v[0:1]
	v_fmac_f64_e32 v[2:3], v[8:9], v[22:23]
	s_branch .LBB341_9
.LBB341_18:
	s_endpgm
	.section	.rodata,"a",@progbits
	.p2align	6, 0x0
	.amdhsa_kernel _ZN9rocsparseL21csrmvn_general_kernelILj256ELj2Elid21rocsparse_complex_numIdES2_S2_EEvbT2_NS_24const_host_device_scalarIT6_EEPKT1_S9_PKS3_PKT3_PKT4_S6_PT5_21rocsparse_index_base_b
		.amdhsa_group_segment_fixed_size 4096
		.amdhsa_private_segment_fixed_size 0
		.amdhsa_kernarg_size 352
		.amdhsa_user_sgpr_count 8
		.amdhsa_user_sgpr_private_segment_buffer 1
		.amdhsa_user_sgpr_dispatch_ptr 1
		.amdhsa_user_sgpr_queue_ptr 0
		.amdhsa_user_sgpr_kernarg_segment_ptr 1
		.amdhsa_user_sgpr_dispatch_id 0
		.amdhsa_user_sgpr_flat_scratch_init 0
		.amdhsa_user_sgpr_kernarg_preload_length 0
		.amdhsa_user_sgpr_kernarg_preload_offset 0
		.amdhsa_user_sgpr_private_segment_size 0
		.amdhsa_uses_dynamic_stack 0
		.amdhsa_system_sgpr_private_segment_wavefront_offset 0
		.amdhsa_system_sgpr_workgroup_id_x 1
		.amdhsa_system_sgpr_workgroup_id_y 0
		.amdhsa_system_sgpr_workgroup_id_z 0
		.amdhsa_system_sgpr_workgroup_info 0
		.amdhsa_system_vgpr_workitem_id 2
		.amdhsa_next_free_vgpr 40
		.amdhsa_next_free_sgpr 26
		.amdhsa_accum_offset 40
		.amdhsa_reserve_vcc 1
		.amdhsa_reserve_flat_scratch 0
		.amdhsa_float_round_mode_32 0
		.amdhsa_float_round_mode_16_64 0
		.amdhsa_float_denorm_mode_32 3
		.amdhsa_float_denorm_mode_16_64 3
		.amdhsa_dx10_clamp 1
		.amdhsa_ieee_mode 1
		.amdhsa_fp16_overflow 0
		.amdhsa_tg_split 0
		.amdhsa_exception_fp_ieee_invalid_op 0
		.amdhsa_exception_fp_denorm_src 0
		.amdhsa_exception_fp_ieee_div_zero 0
		.amdhsa_exception_fp_ieee_overflow 0
		.amdhsa_exception_fp_ieee_underflow 0
		.amdhsa_exception_fp_ieee_inexact 0
		.amdhsa_exception_int_div_zero 0
	.end_amdhsa_kernel
	.section	.text._ZN9rocsparseL21csrmvn_general_kernelILj256ELj2Elid21rocsparse_complex_numIdES2_S2_EEvbT2_NS_24const_host_device_scalarIT6_EEPKT1_S9_PKS3_PKT3_PKT4_S6_PT5_21rocsparse_index_base_b,"axG",@progbits,_ZN9rocsparseL21csrmvn_general_kernelILj256ELj2Elid21rocsparse_complex_numIdES2_S2_EEvbT2_NS_24const_host_device_scalarIT6_EEPKT1_S9_PKS3_PKT3_PKT4_S6_PT5_21rocsparse_index_base_b,comdat
.Lfunc_end341:
	.size	_ZN9rocsparseL21csrmvn_general_kernelILj256ELj2Elid21rocsparse_complex_numIdES2_S2_EEvbT2_NS_24const_host_device_scalarIT6_EEPKT1_S9_PKS3_PKT3_PKT4_S6_PT5_21rocsparse_index_base_b, .Lfunc_end341-_ZN9rocsparseL21csrmvn_general_kernelILj256ELj2Elid21rocsparse_complex_numIdES2_S2_EEvbT2_NS_24const_host_device_scalarIT6_EEPKT1_S9_PKS3_PKT3_PKT4_S6_PT5_21rocsparse_index_base_b
                                        ; -- End function
	.section	.AMDGPU.csdata,"",@progbits
; Kernel info:
; codeLenInByte = 1068
; NumSgprs: 30
; NumVgprs: 40
; NumAgprs: 0
; TotalNumVgprs: 40
; ScratchSize: 0
; MemoryBound: 0
; FloatMode: 240
; IeeeMode: 1
; LDSByteSize: 4096 bytes/workgroup (compile time only)
; SGPRBlocks: 3
; VGPRBlocks: 4
; NumSGPRsForWavesPerEU: 30
; NumVGPRsForWavesPerEU: 40
; AccumOffset: 40
; Occupancy: 8
; WaveLimiterHint : 1
; COMPUTE_PGM_RSRC2:SCRATCH_EN: 0
; COMPUTE_PGM_RSRC2:USER_SGPR: 8
; COMPUTE_PGM_RSRC2:TRAP_HANDLER: 0
; COMPUTE_PGM_RSRC2:TGID_X_EN: 1
; COMPUTE_PGM_RSRC2:TGID_Y_EN: 0
; COMPUTE_PGM_RSRC2:TGID_Z_EN: 0
; COMPUTE_PGM_RSRC2:TIDIG_COMP_CNT: 2
; COMPUTE_PGM_RSRC3_GFX90A:ACCUM_OFFSET: 9
; COMPUTE_PGM_RSRC3_GFX90A:TG_SPLIT: 0
	.section	.text._ZN9rocsparseL21csrmvn_general_kernelILj256ELj4Elid21rocsparse_complex_numIdES2_S2_EEvbT2_NS_24const_host_device_scalarIT6_EEPKT1_S9_PKS3_PKT3_PKT4_S6_PT5_21rocsparse_index_base_b,"axG",@progbits,_ZN9rocsparseL21csrmvn_general_kernelILj256ELj4Elid21rocsparse_complex_numIdES2_S2_EEvbT2_NS_24const_host_device_scalarIT6_EEPKT1_S9_PKS3_PKT3_PKT4_S6_PT5_21rocsparse_index_base_b,comdat
	.globl	_ZN9rocsparseL21csrmvn_general_kernelILj256ELj4Elid21rocsparse_complex_numIdES2_S2_EEvbT2_NS_24const_host_device_scalarIT6_EEPKT1_S9_PKS3_PKT3_PKT4_S6_PT5_21rocsparse_index_base_b ; -- Begin function _ZN9rocsparseL21csrmvn_general_kernelILj256ELj4Elid21rocsparse_complex_numIdES2_S2_EEvbT2_NS_24const_host_device_scalarIT6_EEPKT1_S9_PKS3_PKT3_PKT4_S6_PT5_21rocsparse_index_base_b
	.p2align	8
	.type	_ZN9rocsparseL21csrmvn_general_kernelILj256ELj4Elid21rocsparse_complex_numIdES2_S2_EEvbT2_NS_24const_host_device_scalarIT6_EEPKT1_S9_PKS3_PKT3_PKT4_S6_PT5_21rocsparse_index_base_b,@function
_ZN9rocsparseL21csrmvn_general_kernelILj256ELj4Elid21rocsparse_complex_numIdES2_S2_EEvbT2_NS_24const_host_device_scalarIT6_EEPKT1_S9_PKS3_PKT3_PKT4_S6_PT5_21rocsparse_index_base_b: ; @_ZN9rocsparseL21csrmvn_general_kernelILj256ELj4Elid21rocsparse_complex_numIdES2_S2_EEvbT2_NS_24const_host_device_scalarIT6_EEPKT1_S9_PKS3_PKT3_PKT4_S6_PT5_21rocsparse_index_base_b
; %bb.0:
	s_load_dwordx2 s[24:25], s[6:7], 0x58
	s_load_dwordx8 s[12:19], s[6:7], 0x8
	s_load_dwordx4 s[20:23], s[6:7], 0x40
	s_mov_b64 s[2:3], src_shared_base
	s_load_dwordx2 s[4:5], s[4:5], 0x4
	s_waitcnt lgkmcnt(0)
	s_bitcmp1_b32 s25, 0
	s_cselect_b64 s[0:1], -1, 0
	s_and_b64 vcc, s[0:1], exec
	s_cselect_b32 s2, s3, s13
	s_lshr_b32 s4, s4, 16
	v_and_b32_e32 v1, 0x3ff, v0
	s_mul_i32 s4, s4, s5
	v_mul_lo_u32 v2, s4, v1
	v_bfe_u32 v3, v0, 10, 10
	v_mad_u32_u24 v2, v3, s5, v2
	v_bfe_u32 v0, v0, 20, 10
	v_add_lshl_u32 v0, v2, v0, 3
	v_mov_b32_e32 v6, s12
	v_add_u32_e32 v7, 0x800, v0
	v_pk_mov_b32 v[2:3], s[12:13], s[12:13] op_sel:[0,1]
	v_pk_mov_b32 v[4:5], s[20:21], s[20:21] op_sel:[0,1]
	ds_write2st64_b64 v0, v[4:5], v[2:3] offset1:4
	v_cndmask_b32_e64 v2, v6, v7, s[0:1]
	v_mov_b32_e32 v3, s2
	flat_load_dwordx2 v[4:5], v[2:3]
	s_xor_b64 s[4:5], s[0:1], -1
	v_pk_mov_b32 v[6:7], s[14:15], s[14:15] op_sel:[0,1]
	s_cbranch_vccnz .LBB342_2
; %bb.1:
	v_pk_mov_b32 v[2:3], s[12:13], s[12:13] op_sel:[0,1]
	flat_load_dwordx2 v[6:7], v[2:3] offset:8
.LBB342_2:
	s_and_b64 s[10:11], s[0:1], exec
	s_cselect_b32 s2, s3, s21
	v_mov_b32_e32 v2, s20
	v_cndmask_b32_e64 v2, v2, v0, s[0:1]
	v_mov_b32_e32 v3, s2
	flat_load_dwordx2 v[8:9], v[2:3]
	s_andn2_b64 vcc, exec, s[4:5]
	v_pk_mov_b32 v[10:11], s[22:23], s[22:23] op_sel:[0,1]
	s_cbranch_vccnz .LBB342_4
; %bb.3:
	v_pk_mov_b32 v[2:3], s[20:21], s[20:21] op_sel:[0,1]
	flat_load_dwordx2 v[10:11], v[2:3] offset:8
.LBB342_4:
	s_waitcnt vmcnt(0) lgkmcnt(0)
	v_cmp_eq_f64_e32 vcc, 0, v[4:5]
	v_cmp_eq_f64_e64 s[0:1], 0, v[6:7]
	s_and_b64 s[4:5], vcc, s[0:1]
	s_mov_b64 s[0:1], -1
	s_and_saveexec_b64 s[2:3], s[4:5]
; %bb.5:
	v_cmp_neq_f64_e32 vcc, 1.0, v[8:9]
	v_cmp_neq_f64_e64 s[0:1], 0, v[10:11]
	s_or_b64 s[0:1], vcc, s[0:1]
	s_orn2_b64 s[0:1], s[0:1], exec
; %bb.6:
	s_or_b64 exec, exec, s[2:3]
	s_and_saveexec_b64 s[2:3], s[0:1]
	s_cbranch_execz .LBB342_18
; %bb.7:
	s_load_dword s20, s[6:7], 0x4
	v_lshl_or_b32 v0, s8, 8, v1
	v_lshrrev_b32_e32 v12, 2, v0
	s_waitcnt lgkmcnt(0)
	v_cmp_gt_i32_e32 vcc, s20, v12
	s_and_b64 exec, exec, vcc
	s_cbranch_execz .LBB342_18
; %bb.8:
	s_load_dword s2, s[6:7], 0x60
	s_load_dwordx2 s[4:5], s[6:7], 0x50
	s_load_dwordx4 s[8:11], s[6:7], 0x28
	s_load_dwordx2 s[0:1], s[6:7], 0x38
	v_and_b32_e32 v0, 3, v1
	v_subrev_co_u32_e32 v26, vcc, s24, v0
	s_waitcnt lgkmcnt(0)
	s_lshl_b32 s21, s2, 6
	v_subb_co_u32_e64 v27, s[2:3], 0, 0, vcc
	s_mov_b32 s2, 0
	s_brev_b32 s3, 1
	v_mul_f64 v[14:15], v[6:7], s[2:3]
	s_ashr_i32 s3, s24, 31
	s_mov_b32 s2, s24
	s_lshl_b64 s[2:3], s[2:3], 4
	s_sub_u32 s22, s0, s2
	s_mov_b32 s12, 0
	s_subb_u32 s13, s1, s3
	v_cmp_neq_f64_e64 s[0:1], 0, v[8:9]
	v_cmp_neq_f64_e64 s[2:3], 0, v[10:11]
	s_mov_b64 s[6:7], 0
	v_mul_f64 v[16:17], v[4:5], 0
	v_cmp_eq_u32_e32 vcc, 3, v0
	s_or_b64 s[2:3], s[0:1], s[2:3]
	v_mov_b32_e32 v28, s17
	v_mov_b32_e32 v29, s19
	;; [unrolled: 1-line block ×4, first 2 shown]
	s_branch .LBB342_11
.LBB342_9:                              ;   in Loop: Header=BB342_11 Depth=1
	s_or_b64 exec, exec, s[0:1]
	global_store_dwordx4 v[18:19], v[0:3], off
.LBB342_10:                             ;   in Loop: Header=BB342_11 Depth=1
	s_or_b64 exec, exec, s[12:13]
	v_add_u32_e32 v12, s21, v12
	v_cmp_le_i32_e64 s[0:1], s20, v12
	s_or_b64 s[6:7], s[0:1], s[6:7]
	s_andn2_b64 exec, exec, s[6:7]
	s_cbranch_execz .LBB342_18
.LBB342_11:                             ; =>This Loop Header: Depth=1
                                        ;     Child Loop BB342_13 Depth 2
	v_ashrrev_i32_e32 v13, 31, v12
	v_lshlrev_b64 v[0:1], 3, v[12:13]
	v_add_co_u32_e64 v2, s[0:1], s18, v0
	v_addc_co_u32_e64 v3, s[0:1], v29, v1, s[0:1]
	global_load_dwordx2 v[2:3], v[2:3], off
	v_add_co_u32_e64 v0, s[0:1], s16, v0
	v_addc_co_u32_e64 v1, s[0:1], v28, v1, s[0:1]
	global_load_dwordx2 v[18:19], v[0:1], off
	v_pk_mov_b32 v[0:1], 0, 0
	v_pk_mov_b32 v[20:21], v[0:1], v[0:1] op_sel:[0,1]
	s_waitcnt vmcnt(1)
	v_subrev_co_u32_e64 v2, s[0:1], s24, v2
	v_subb_co_u32_e64 v3, s[0:1], v3, v30, s[0:1]
	s_waitcnt vmcnt(0)
	v_add_co_u32_e64 v18, s[0:1], v18, v26
	v_addc_co_u32_e64 v19, s[0:1], v19, v27, s[0:1]
	v_cmp_lt_i64_e64 s[0:1], v[18:19], v[2:3]
	s_and_saveexec_b64 s[12:13], s[0:1]
	s_cbranch_execz .LBB342_15
; %bb.12:                               ;   in Loop: Header=BB342_11 Depth=1
	v_lshlrev_b64 v[0:1], 3, v[18:19]
	v_mov_b32_e32 v20, s11
	v_add_co_u32_e64 v22, s[0:1], s10, v0
	v_addc_co_u32_e64 v23, s[0:1], v20, v1, s[0:1]
	v_lshlrev_b64 v[0:1], 2, v[18:19]
	v_mov_b32_e32 v20, s9
	v_add_co_u32_e64 v24, s[0:1], s8, v0
	v_addc_co_u32_e64 v25, s[0:1], v20, v1, s[0:1]
	v_pk_mov_b32 v[0:1], 0, 0
	s_mov_b64 s[14:15], 0
	v_pk_mov_b32 v[20:21], v[0:1], v[0:1] op_sel:[0,1]
.LBB342_13:                             ;   Parent Loop BB342_11 Depth=1
                                        ; =>  This Inner Loop Header: Depth=2
	global_load_dword v32, v[24:25], off
	global_load_dwordx2 v[36:37], v[22:23], off
	s_waitcnt vmcnt(1)
	v_ashrrev_i32_e32 v33, 31, v32
	v_lshlrev_b64 v[32:33], 4, v[32:33]
	v_add_co_u32_e64 v32, s[0:1], s22, v32
	v_addc_co_u32_e64 v33, s[0:1], v31, v33, s[0:1]
	global_load_dwordx4 v[32:35], v[32:33], off
	v_add_co_u32_e64 v18, s[0:1], 4, v18
	v_addc_co_u32_e64 v19, s[0:1], 0, v19, s[0:1]
	v_add_co_u32_e64 v22, s[0:1], 32, v22
	v_addc_co_u32_e64 v23, s[0:1], 0, v23, s[0:1]
	;; [unrolled: 2-line block ×3, first 2 shown]
	s_waitcnt vmcnt(1)
	v_fma_f64 v[38:39], v[4:5], v[36:37], v[14:15]
	v_fma_f64 v[36:37], v[6:7], v[36:37], v[16:17]
	v_cmp_ge_i64_e64 s[0:1], v[18:19], v[2:3]
	s_or_b64 s[14:15], s[0:1], s[14:15]
	s_waitcnt vmcnt(0)
	v_fmac_f64_e32 v[20:21], v[38:39], v[32:33]
	v_fmac_f64_e32 v[0:1], v[36:37], v[32:33]
	v_fma_f64 v[20:21], -v[36:37], v[34:35], v[20:21]
	v_fmac_f64_e32 v[0:1], v[38:39], v[34:35]
	s_andn2_b64 exec, exec, s[14:15]
	s_cbranch_execnz .LBB342_13
; %bb.14:                               ;   in Loop: Header=BB342_11 Depth=1
	s_or_b64 exec, exec, s[14:15]
.LBB342_15:                             ;   in Loop: Header=BB342_11 Depth=1
	s_or_b64 exec, exec, s[12:13]
	v_mov_b32_dpp v2, v20 row_shr:1 row_mask:0xf bank_mask:0xf
	v_mov_b32_dpp v3, v21 row_shr:1 row_mask:0xf bank_mask:0xf
	v_add_f64 v[2:3], v[20:21], v[2:3]
	v_mov_b32_dpp v20, v0 row_shr:1 row_mask:0xf bank_mask:0xf
	v_mov_b32_dpp v21, v1 row_shr:1 row_mask:0xf bank_mask:0xf
	v_add_f64 v[20:21], v[0:1], v[20:21]
	v_mov_b32_dpp v18, v2 row_shr:2 row_mask:0xf bank_mask:0xf
	v_mov_b32_dpp v19, v3 row_shr:2 row_mask:0xf bank_mask:0xf
	;; [unrolled: 1-line block ×4, first 2 shown]
	s_and_saveexec_b64 s[12:13], vcc
	s_cbranch_execz .LBB342_10
; %bb.16:                               ;   in Loop: Header=BB342_11 Depth=1
	v_add_f64 v[0:1], v[2:3], v[18:19]
	v_lshlrev_b64 v[18:19], 4, v[12:13]
	v_mov_b32_e32 v13, s5
	v_add_co_u32_e64 v18, s[0:1], s4, v18
	v_add_f64 v[2:3], v[20:21], v[22:23]
	v_addc_co_u32_e64 v19, s[0:1], v13, v19, s[0:1]
	s_and_saveexec_b64 s[0:1], s[2:3]
	s_cbranch_execz .LBB342_9
; %bb.17:                               ;   in Loop: Header=BB342_11 Depth=1
	global_load_dwordx4 v[20:23], v[18:19], off
	s_waitcnt vmcnt(0)
	v_fmac_f64_e32 v[0:1], v[8:9], v[20:21]
	v_fmac_f64_e32 v[2:3], v[10:11], v[20:21]
	v_fma_f64 v[0:1], -v[10:11], v[22:23], v[0:1]
	v_fmac_f64_e32 v[2:3], v[8:9], v[22:23]
	s_branch .LBB342_9
.LBB342_18:
	s_endpgm
	.section	.rodata,"a",@progbits
	.p2align	6, 0x0
	.amdhsa_kernel _ZN9rocsparseL21csrmvn_general_kernelILj256ELj4Elid21rocsparse_complex_numIdES2_S2_EEvbT2_NS_24const_host_device_scalarIT6_EEPKT1_S9_PKS3_PKT3_PKT4_S6_PT5_21rocsparse_index_base_b
		.amdhsa_group_segment_fixed_size 4096
		.amdhsa_private_segment_fixed_size 0
		.amdhsa_kernarg_size 352
		.amdhsa_user_sgpr_count 8
		.amdhsa_user_sgpr_private_segment_buffer 1
		.amdhsa_user_sgpr_dispatch_ptr 1
		.amdhsa_user_sgpr_queue_ptr 0
		.amdhsa_user_sgpr_kernarg_segment_ptr 1
		.amdhsa_user_sgpr_dispatch_id 0
		.amdhsa_user_sgpr_flat_scratch_init 0
		.amdhsa_user_sgpr_kernarg_preload_length 0
		.amdhsa_user_sgpr_kernarg_preload_offset 0
		.amdhsa_user_sgpr_private_segment_size 0
		.amdhsa_uses_dynamic_stack 0
		.amdhsa_system_sgpr_private_segment_wavefront_offset 0
		.amdhsa_system_sgpr_workgroup_id_x 1
		.amdhsa_system_sgpr_workgroup_id_y 0
		.amdhsa_system_sgpr_workgroup_id_z 0
		.amdhsa_system_sgpr_workgroup_info 0
		.amdhsa_system_vgpr_workitem_id 2
		.amdhsa_next_free_vgpr 40
		.amdhsa_next_free_sgpr 26
		.amdhsa_accum_offset 40
		.amdhsa_reserve_vcc 1
		.amdhsa_reserve_flat_scratch 0
		.amdhsa_float_round_mode_32 0
		.amdhsa_float_round_mode_16_64 0
		.amdhsa_float_denorm_mode_32 3
		.amdhsa_float_denorm_mode_16_64 3
		.amdhsa_dx10_clamp 1
		.amdhsa_ieee_mode 1
		.amdhsa_fp16_overflow 0
		.amdhsa_tg_split 0
		.amdhsa_exception_fp_ieee_invalid_op 0
		.amdhsa_exception_fp_denorm_src 0
		.amdhsa_exception_fp_ieee_div_zero 0
		.amdhsa_exception_fp_ieee_overflow 0
		.amdhsa_exception_fp_ieee_underflow 0
		.amdhsa_exception_fp_ieee_inexact 0
		.amdhsa_exception_int_div_zero 0
	.end_amdhsa_kernel
	.section	.text._ZN9rocsparseL21csrmvn_general_kernelILj256ELj4Elid21rocsparse_complex_numIdES2_S2_EEvbT2_NS_24const_host_device_scalarIT6_EEPKT1_S9_PKS3_PKT3_PKT4_S6_PT5_21rocsparse_index_base_b,"axG",@progbits,_ZN9rocsparseL21csrmvn_general_kernelILj256ELj4Elid21rocsparse_complex_numIdES2_S2_EEvbT2_NS_24const_host_device_scalarIT6_EEPKT1_S9_PKS3_PKT3_PKT4_S6_PT5_21rocsparse_index_base_b,comdat
.Lfunc_end342:
	.size	_ZN9rocsparseL21csrmvn_general_kernelILj256ELj4Elid21rocsparse_complex_numIdES2_S2_EEvbT2_NS_24const_host_device_scalarIT6_EEPKT1_S9_PKS3_PKT3_PKT4_S6_PT5_21rocsparse_index_base_b, .Lfunc_end342-_ZN9rocsparseL21csrmvn_general_kernelILj256ELj4Elid21rocsparse_complex_numIdES2_S2_EEvbT2_NS_24const_host_device_scalarIT6_EEPKT1_S9_PKS3_PKT3_PKT4_S6_PT5_21rocsparse_index_base_b
                                        ; -- End function
	.section	.AMDGPU.csdata,"",@progbits
; Kernel info:
; codeLenInByte = 1116
; NumSgprs: 30
; NumVgprs: 40
; NumAgprs: 0
; TotalNumVgprs: 40
; ScratchSize: 0
; MemoryBound: 0
; FloatMode: 240
; IeeeMode: 1
; LDSByteSize: 4096 bytes/workgroup (compile time only)
; SGPRBlocks: 3
; VGPRBlocks: 4
; NumSGPRsForWavesPerEU: 30
; NumVGPRsForWavesPerEU: 40
; AccumOffset: 40
; Occupancy: 8
; WaveLimiterHint : 1
; COMPUTE_PGM_RSRC2:SCRATCH_EN: 0
; COMPUTE_PGM_RSRC2:USER_SGPR: 8
; COMPUTE_PGM_RSRC2:TRAP_HANDLER: 0
; COMPUTE_PGM_RSRC2:TGID_X_EN: 1
; COMPUTE_PGM_RSRC2:TGID_Y_EN: 0
; COMPUTE_PGM_RSRC2:TGID_Z_EN: 0
; COMPUTE_PGM_RSRC2:TIDIG_COMP_CNT: 2
; COMPUTE_PGM_RSRC3_GFX90A:ACCUM_OFFSET: 9
; COMPUTE_PGM_RSRC3_GFX90A:TG_SPLIT: 0
	.section	.text._ZN9rocsparseL21csrmvn_general_kernelILj256ELj8Elid21rocsparse_complex_numIdES2_S2_EEvbT2_NS_24const_host_device_scalarIT6_EEPKT1_S9_PKS3_PKT3_PKT4_S6_PT5_21rocsparse_index_base_b,"axG",@progbits,_ZN9rocsparseL21csrmvn_general_kernelILj256ELj8Elid21rocsparse_complex_numIdES2_S2_EEvbT2_NS_24const_host_device_scalarIT6_EEPKT1_S9_PKS3_PKT3_PKT4_S6_PT5_21rocsparse_index_base_b,comdat
	.globl	_ZN9rocsparseL21csrmvn_general_kernelILj256ELj8Elid21rocsparse_complex_numIdES2_S2_EEvbT2_NS_24const_host_device_scalarIT6_EEPKT1_S9_PKS3_PKT3_PKT4_S6_PT5_21rocsparse_index_base_b ; -- Begin function _ZN9rocsparseL21csrmvn_general_kernelILj256ELj8Elid21rocsparse_complex_numIdES2_S2_EEvbT2_NS_24const_host_device_scalarIT6_EEPKT1_S9_PKS3_PKT3_PKT4_S6_PT5_21rocsparse_index_base_b
	.p2align	8
	.type	_ZN9rocsparseL21csrmvn_general_kernelILj256ELj8Elid21rocsparse_complex_numIdES2_S2_EEvbT2_NS_24const_host_device_scalarIT6_EEPKT1_S9_PKS3_PKT3_PKT4_S6_PT5_21rocsparse_index_base_b,@function
_ZN9rocsparseL21csrmvn_general_kernelILj256ELj8Elid21rocsparse_complex_numIdES2_S2_EEvbT2_NS_24const_host_device_scalarIT6_EEPKT1_S9_PKS3_PKT3_PKT4_S6_PT5_21rocsparse_index_base_b: ; @_ZN9rocsparseL21csrmvn_general_kernelILj256ELj8Elid21rocsparse_complex_numIdES2_S2_EEvbT2_NS_24const_host_device_scalarIT6_EEPKT1_S9_PKS3_PKT3_PKT4_S6_PT5_21rocsparse_index_base_b
; %bb.0:
	s_load_dwordx2 s[24:25], s[6:7], 0x58
	s_load_dwordx8 s[12:19], s[6:7], 0x8
	s_load_dwordx4 s[20:23], s[6:7], 0x40
	s_mov_b64 s[2:3], src_shared_base
	s_load_dwordx2 s[4:5], s[4:5], 0x4
	s_waitcnt lgkmcnt(0)
	s_bitcmp1_b32 s25, 0
	s_cselect_b64 s[0:1], -1, 0
	s_and_b64 vcc, s[0:1], exec
	s_cselect_b32 s2, s3, s13
	s_lshr_b32 s4, s4, 16
	v_and_b32_e32 v1, 0x3ff, v0
	s_mul_i32 s4, s4, s5
	v_mul_lo_u32 v2, s4, v1
	v_bfe_u32 v3, v0, 10, 10
	v_mad_u32_u24 v2, v3, s5, v2
	v_bfe_u32 v0, v0, 20, 10
	v_add_lshl_u32 v0, v2, v0, 3
	v_mov_b32_e32 v6, s12
	v_add_u32_e32 v7, 0x800, v0
	v_pk_mov_b32 v[2:3], s[12:13], s[12:13] op_sel:[0,1]
	v_pk_mov_b32 v[4:5], s[20:21], s[20:21] op_sel:[0,1]
	ds_write2st64_b64 v0, v[4:5], v[2:3] offset1:4
	v_cndmask_b32_e64 v2, v6, v7, s[0:1]
	v_mov_b32_e32 v3, s2
	flat_load_dwordx2 v[4:5], v[2:3]
	s_xor_b64 s[4:5], s[0:1], -1
	v_pk_mov_b32 v[6:7], s[14:15], s[14:15] op_sel:[0,1]
	s_cbranch_vccnz .LBB343_2
; %bb.1:
	v_pk_mov_b32 v[2:3], s[12:13], s[12:13] op_sel:[0,1]
	flat_load_dwordx2 v[6:7], v[2:3] offset:8
.LBB343_2:
	s_and_b64 s[10:11], s[0:1], exec
	s_cselect_b32 s2, s3, s21
	v_mov_b32_e32 v2, s20
	v_cndmask_b32_e64 v2, v2, v0, s[0:1]
	v_mov_b32_e32 v3, s2
	flat_load_dwordx2 v[8:9], v[2:3]
	s_andn2_b64 vcc, exec, s[4:5]
	v_pk_mov_b32 v[10:11], s[22:23], s[22:23] op_sel:[0,1]
	s_cbranch_vccnz .LBB343_4
; %bb.3:
	v_pk_mov_b32 v[2:3], s[20:21], s[20:21] op_sel:[0,1]
	flat_load_dwordx2 v[10:11], v[2:3] offset:8
.LBB343_4:
	s_waitcnt vmcnt(0) lgkmcnt(0)
	v_cmp_eq_f64_e32 vcc, 0, v[4:5]
	v_cmp_eq_f64_e64 s[0:1], 0, v[6:7]
	s_and_b64 s[4:5], vcc, s[0:1]
	s_mov_b64 s[0:1], -1
	s_and_saveexec_b64 s[2:3], s[4:5]
; %bb.5:
	v_cmp_neq_f64_e32 vcc, 1.0, v[8:9]
	v_cmp_neq_f64_e64 s[0:1], 0, v[10:11]
	s_or_b64 s[0:1], vcc, s[0:1]
	s_orn2_b64 s[0:1], s[0:1], exec
; %bb.6:
	s_or_b64 exec, exec, s[2:3]
	s_and_saveexec_b64 s[2:3], s[0:1]
	s_cbranch_execz .LBB343_18
; %bb.7:
	s_load_dword s20, s[6:7], 0x4
	v_lshl_or_b32 v0, s8, 8, v1
	v_lshrrev_b32_e32 v12, 3, v0
	s_waitcnt lgkmcnt(0)
	v_cmp_gt_i32_e32 vcc, s20, v12
	s_and_b64 exec, exec, vcc
	s_cbranch_execz .LBB343_18
; %bb.8:
	s_load_dword s2, s[6:7], 0x60
	s_load_dwordx2 s[4:5], s[6:7], 0x50
	s_load_dwordx4 s[8:11], s[6:7], 0x28
	s_load_dwordx2 s[0:1], s[6:7], 0x38
	v_and_b32_e32 v0, 7, v1
	v_subrev_co_u32_e32 v26, vcc, s24, v0
	s_waitcnt lgkmcnt(0)
	s_lshl_b32 s21, s2, 5
	v_subb_co_u32_e64 v27, s[2:3], 0, 0, vcc
	s_mov_b32 s2, 0
	s_brev_b32 s3, 1
	v_mul_f64 v[14:15], v[6:7], s[2:3]
	s_ashr_i32 s3, s24, 31
	s_mov_b32 s2, s24
	s_lshl_b64 s[2:3], s[2:3], 4
	s_sub_u32 s22, s0, s2
	s_mov_b32 s12, 0
	s_subb_u32 s13, s1, s3
	v_cmp_neq_f64_e64 s[0:1], 0, v[8:9]
	v_cmp_neq_f64_e64 s[2:3], 0, v[10:11]
	s_mov_b64 s[6:7], 0
	v_mul_f64 v[16:17], v[4:5], 0
	v_cmp_eq_u32_e32 vcc, 7, v0
	s_or_b64 s[2:3], s[0:1], s[2:3]
	v_mov_b32_e32 v28, s17
	v_mov_b32_e32 v29, s19
	;; [unrolled: 1-line block ×4, first 2 shown]
	s_branch .LBB343_11
.LBB343_9:                              ;   in Loop: Header=BB343_11 Depth=1
	s_or_b64 exec, exec, s[0:1]
	global_store_dwordx4 v[18:19], v[0:3], off
.LBB343_10:                             ;   in Loop: Header=BB343_11 Depth=1
	s_or_b64 exec, exec, s[12:13]
	v_add_u32_e32 v12, s21, v12
	v_cmp_le_i32_e64 s[0:1], s20, v12
	s_or_b64 s[6:7], s[0:1], s[6:7]
	s_andn2_b64 exec, exec, s[6:7]
	s_cbranch_execz .LBB343_18
.LBB343_11:                             ; =>This Loop Header: Depth=1
                                        ;     Child Loop BB343_13 Depth 2
	v_ashrrev_i32_e32 v13, 31, v12
	v_lshlrev_b64 v[0:1], 3, v[12:13]
	v_add_co_u32_e64 v2, s[0:1], s18, v0
	v_addc_co_u32_e64 v3, s[0:1], v29, v1, s[0:1]
	global_load_dwordx2 v[2:3], v[2:3], off
	v_add_co_u32_e64 v0, s[0:1], s16, v0
	v_addc_co_u32_e64 v1, s[0:1], v28, v1, s[0:1]
	global_load_dwordx2 v[18:19], v[0:1], off
	v_pk_mov_b32 v[0:1], 0, 0
	v_pk_mov_b32 v[20:21], v[0:1], v[0:1] op_sel:[0,1]
	s_waitcnt vmcnt(1)
	v_subrev_co_u32_e64 v2, s[0:1], s24, v2
	v_subb_co_u32_e64 v3, s[0:1], v3, v30, s[0:1]
	s_waitcnt vmcnt(0)
	v_add_co_u32_e64 v18, s[0:1], v18, v26
	v_addc_co_u32_e64 v19, s[0:1], v19, v27, s[0:1]
	v_cmp_lt_i64_e64 s[0:1], v[18:19], v[2:3]
	s_and_saveexec_b64 s[12:13], s[0:1]
	s_cbranch_execz .LBB343_15
; %bb.12:                               ;   in Loop: Header=BB343_11 Depth=1
	v_lshlrev_b64 v[0:1], 3, v[18:19]
	v_mov_b32_e32 v20, s11
	v_add_co_u32_e64 v22, s[0:1], s10, v0
	v_addc_co_u32_e64 v23, s[0:1], v20, v1, s[0:1]
	v_lshlrev_b64 v[0:1], 2, v[18:19]
	v_mov_b32_e32 v20, s9
	v_add_co_u32_e64 v24, s[0:1], s8, v0
	v_addc_co_u32_e64 v25, s[0:1], v20, v1, s[0:1]
	v_pk_mov_b32 v[0:1], 0, 0
	s_mov_b64 s[14:15], 0
	v_pk_mov_b32 v[20:21], v[0:1], v[0:1] op_sel:[0,1]
.LBB343_13:                             ;   Parent Loop BB343_11 Depth=1
                                        ; =>  This Inner Loop Header: Depth=2
	global_load_dword v32, v[24:25], off
	global_load_dwordx2 v[36:37], v[22:23], off
	s_waitcnt vmcnt(1)
	v_ashrrev_i32_e32 v33, 31, v32
	v_lshlrev_b64 v[32:33], 4, v[32:33]
	v_add_co_u32_e64 v32, s[0:1], s22, v32
	v_addc_co_u32_e64 v33, s[0:1], v31, v33, s[0:1]
	global_load_dwordx4 v[32:35], v[32:33], off
	v_add_co_u32_e64 v18, s[0:1], 8, v18
	v_addc_co_u32_e64 v19, s[0:1], 0, v19, s[0:1]
	v_add_co_u32_e64 v22, s[0:1], 64, v22
	v_addc_co_u32_e64 v23, s[0:1], 0, v23, s[0:1]
	v_add_co_u32_e64 v24, s[0:1], 32, v24
	v_addc_co_u32_e64 v25, s[0:1], 0, v25, s[0:1]
	s_waitcnt vmcnt(1)
	v_fma_f64 v[38:39], v[4:5], v[36:37], v[14:15]
	v_fma_f64 v[36:37], v[6:7], v[36:37], v[16:17]
	v_cmp_ge_i64_e64 s[0:1], v[18:19], v[2:3]
	s_or_b64 s[14:15], s[0:1], s[14:15]
	s_waitcnt vmcnt(0)
	v_fmac_f64_e32 v[20:21], v[38:39], v[32:33]
	v_fmac_f64_e32 v[0:1], v[36:37], v[32:33]
	v_fma_f64 v[20:21], -v[36:37], v[34:35], v[20:21]
	v_fmac_f64_e32 v[0:1], v[38:39], v[34:35]
	s_andn2_b64 exec, exec, s[14:15]
	s_cbranch_execnz .LBB343_13
; %bb.14:                               ;   in Loop: Header=BB343_11 Depth=1
	s_or_b64 exec, exec, s[14:15]
.LBB343_15:                             ;   in Loop: Header=BB343_11 Depth=1
	s_or_b64 exec, exec, s[12:13]
	v_mov_b32_dpp v2, v20 row_shr:1 row_mask:0xf bank_mask:0xf
	v_mov_b32_dpp v3, v21 row_shr:1 row_mask:0xf bank_mask:0xf
	v_add_f64 v[2:3], v[20:21], v[2:3]
	v_mov_b32_dpp v20, v0 row_shr:1 row_mask:0xf bank_mask:0xf
	v_mov_b32_dpp v21, v1 row_shr:1 row_mask:0xf bank_mask:0xf
	v_add_f64 v[0:1], v[0:1], v[20:21]
	v_mov_b32_dpp v18, v2 row_shr:2 row_mask:0xf bank_mask:0xf
	v_mov_b32_dpp v19, v3 row_shr:2 row_mask:0xf bank_mask:0xf
	;; [unrolled: 1-line block ×4, first 2 shown]
	v_add_f64 v[2:3], v[2:3], v[18:19]
	v_add_f64 v[20:21], v[0:1], v[20:21]
	s_nop 0
	v_mov_b32_dpp v18, v2 row_shr:4 row_mask:0xf bank_mask:0xe
	v_mov_b32_dpp v19, v3 row_shr:4 row_mask:0xf bank_mask:0xe
	;; [unrolled: 1-line block ×4, first 2 shown]
	s_and_saveexec_b64 s[12:13], vcc
	s_cbranch_execz .LBB343_10
; %bb.16:                               ;   in Loop: Header=BB343_11 Depth=1
	v_add_f64 v[0:1], v[2:3], v[18:19]
	v_lshlrev_b64 v[18:19], 4, v[12:13]
	v_mov_b32_e32 v13, s5
	v_add_co_u32_e64 v18, s[0:1], s4, v18
	v_add_f64 v[2:3], v[20:21], v[22:23]
	v_addc_co_u32_e64 v19, s[0:1], v13, v19, s[0:1]
	s_and_saveexec_b64 s[0:1], s[2:3]
	s_cbranch_execz .LBB343_9
; %bb.17:                               ;   in Loop: Header=BB343_11 Depth=1
	global_load_dwordx4 v[20:23], v[18:19], off
	s_waitcnt vmcnt(0)
	v_fmac_f64_e32 v[0:1], v[8:9], v[20:21]
	v_fmac_f64_e32 v[2:3], v[10:11], v[20:21]
	v_fma_f64 v[0:1], -v[10:11], v[22:23], v[0:1]
	v_fmac_f64_e32 v[2:3], v[8:9], v[22:23]
	s_branch .LBB343_9
.LBB343_18:
	s_endpgm
	.section	.rodata,"a",@progbits
	.p2align	6, 0x0
	.amdhsa_kernel _ZN9rocsparseL21csrmvn_general_kernelILj256ELj8Elid21rocsparse_complex_numIdES2_S2_EEvbT2_NS_24const_host_device_scalarIT6_EEPKT1_S9_PKS3_PKT3_PKT4_S6_PT5_21rocsparse_index_base_b
		.amdhsa_group_segment_fixed_size 4096
		.amdhsa_private_segment_fixed_size 0
		.amdhsa_kernarg_size 352
		.amdhsa_user_sgpr_count 8
		.amdhsa_user_sgpr_private_segment_buffer 1
		.amdhsa_user_sgpr_dispatch_ptr 1
		.amdhsa_user_sgpr_queue_ptr 0
		.amdhsa_user_sgpr_kernarg_segment_ptr 1
		.amdhsa_user_sgpr_dispatch_id 0
		.amdhsa_user_sgpr_flat_scratch_init 0
		.amdhsa_user_sgpr_kernarg_preload_length 0
		.amdhsa_user_sgpr_kernarg_preload_offset 0
		.amdhsa_user_sgpr_private_segment_size 0
		.amdhsa_uses_dynamic_stack 0
		.amdhsa_system_sgpr_private_segment_wavefront_offset 0
		.amdhsa_system_sgpr_workgroup_id_x 1
		.amdhsa_system_sgpr_workgroup_id_y 0
		.amdhsa_system_sgpr_workgroup_id_z 0
		.amdhsa_system_sgpr_workgroup_info 0
		.amdhsa_system_vgpr_workitem_id 2
		.amdhsa_next_free_vgpr 40
		.amdhsa_next_free_sgpr 26
		.amdhsa_accum_offset 40
		.amdhsa_reserve_vcc 1
		.amdhsa_reserve_flat_scratch 0
		.amdhsa_float_round_mode_32 0
		.amdhsa_float_round_mode_16_64 0
		.amdhsa_float_denorm_mode_32 3
		.amdhsa_float_denorm_mode_16_64 3
		.amdhsa_dx10_clamp 1
		.amdhsa_ieee_mode 1
		.amdhsa_fp16_overflow 0
		.amdhsa_tg_split 0
		.amdhsa_exception_fp_ieee_invalid_op 0
		.amdhsa_exception_fp_denorm_src 0
		.amdhsa_exception_fp_ieee_div_zero 0
		.amdhsa_exception_fp_ieee_overflow 0
		.amdhsa_exception_fp_ieee_underflow 0
		.amdhsa_exception_fp_ieee_inexact 0
		.amdhsa_exception_int_div_zero 0
	.end_amdhsa_kernel
	.section	.text._ZN9rocsparseL21csrmvn_general_kernelILj256ELj8Elid21rocsparse_complex_numIdES2_S2_EEvbT2_NS_24const_host_device_scalarIT6_EEPKT1_S9_PKS3_PKT3_PKT4_S6_PT5_21rocsparse_index_base_b,"axG",@progbits,_ZN9rocsparseL21csrmvn_general_kernelILj256ELj8Elid21rocsparse_complex_numIdES2_S2_EEvbT2_NS_24const_host_device_scalarIT6_EEPKT1_S9_PKS3_PKT3_PKT4_S6_PT5_21rocsparse_index_base_b,comdat
.Lfunc_end343:
	.size	_ZN9rocsparseL21csrmvn_general_kernelILj256ELj8Elid21rocsparse_complex_numIdES2_S2_EEvbT2_NS_24const_host_device_scalarIT6_EEPKT1_S9_PKS3_PKT3_PKT4_S6_PT5_21rocsparse_index_base_b, .Lfunc_end343-_ZN9rocsparseL21csrmvn_general_kernelILj256ELj8Elid21rocsparse_complex_numIdES2_S2_EEvbT2_NS_24const_host_device_scalarIT6_EEPKT1_S9_PKS3_PKT3_PKT4_S6_PT5_21rocsparse_index_base_b
                                        ; -- End function
	.section	.AMDGPU.csdata,"",@progbits
; Kernel info:
; codeLenInByte = 1168
; NumSgprs: 30
; NumVgprs: 40
; NumAgprs: 0
; TotalNumVgprs: 40
; ScratchSize: 0
; MemoryBound: 0
; FloatMode: 240
; IeeeMode: 1
; LDSByteSize: 4096 bytes/workgroup (compile time only)
; SGPRBlocks: 3
; VGPRBlocks: 4
; NumSGPRsForWavesPerEU: 30
; NumVGPRsForWavesPerEU: 40
; AccumOffset: 40
; Occupancy: 8
; WaveLimiterHint : 1
; COMPUTE_PGM_RSRC2:SCRATCH_EN: 0
; COMPUTE_PGM_RSRC2:USER_SGPR: 8
; COMPUTE_PGM_RSRC2:TRAP_HANDLER: 0
; COMPUTE_PGM_RSRC2:TGID_X_EN: 1
; COMPUTE_PGM_RSRC2:TGID_Y_EN: 0
; COMPUTE_PGM_RSRC2:TGID_Z_EN: 0
; COMPUTE_PGM_RSRC2:TIDIG_COMP_CNT: 2
; COMPUTE_PGM_RSRC3_GFX90A:ACCUM_OFFSET: 9
; COMPUTE_PGM_RSRC3_GFX90A:TG_SPLIT: 0
	.section	.text._ZN9rocsparseL21csrmvn_general_kernelILj256ELj16Elid21rocsparse_complex_numIdES2_S2_EEvbT2_NS_24const_host_device_scalarIT6_EEPKT1_S9_PKS3_PKT3_PKT4_S6_PT5_21rocsparse_index_base_b,"axG",@progbits,_ZN9rocsparseL21csrmvn_general_kernelILj256ELj16Elid21rocsparse_complex_numIdES2_S2_EEvbT2_NS_24const_host_device_scalarIT6_EEPKT1_S9_PKS3_PKT3_PKT4_S6_PT5_21rocsparse_index_base_b,comdat
	.globl	_ZN9rocsparseL21csrmvn_general_kernelILj256ELj16Elid21rocsparse_complex_numIdES2_S2_EEvbT2_NS_24const_host_device_scalarIT6_EEPKT1_S9_PKS3_PKT3_PKT4_S6_PT5_21rocsparse_index_base_b ; -- Begin function _ZN9rocsparseL21csrmvn_general_kernelILj256ELj16Elid21rocsparse_complex_numIdES2_S2_EEvbT2_NS_24const_host_device_scalarIT6_EEPKT1_S9_PKS3_PKT3_PKT4_S6_PT5_21rocsparse_index_base_b
	.p2align	8
	.type	_ZN9rocsparseL21csrmvn_general_kernelILj256ELj16Elid21rocsparse_complex_numIdES2_S2_EEvbT2_NS_24const_host_device_scalarIT6_EEPKT1_S9_PKS3_PKT3_PKT4_S6_PT5_21rocsparse_index_base_b,@function
_ZN9rocsparseL21csrmvn_general_kernelILj256ELj16Elid21rocsparse_complex_numIdES2_S2_EEvbT2_NS_24const_host_device_scalarIT6_EEPKT1_S9_PKS3_PKT3_PKT4_S6_PT5_21rocsparse_index_base_b: ; @_ZN9rocsparseL21csrmvn_general_kernelILj256ELj16Elid21rocsparse_complex_numIdES2_S2_EEvbT2_NS_24const_host_device_scalarIT6_EEPKT1_S9_PKS3_PKT3_PKT4_S6_PT5_21rocsparse_index_base_b
; %bb.0:
	s_load_dwordx2 s[24:25], s[6:7], 0x58
	s_load_dwordx8 s[12:19], s[6:7], 0x8
	s_load_dwordx4 s[20:23], s[6:7], 0x40
	s_mov_b64 s[2:3], src_shared_base
	s_load_dwordx2 s[4:5], s[4:5], 0x4
	s_waitcnt lgkmcnt(0)
	s_bitcmp1_b32 s25, 0
	s_cselect_b64 s[0:1], -1, 0
	s_and_b64 vcc, s[0:1], exec
	s_cselect_b32 s2, s3, s13
	s_lshr_b32 s4, s4, 16
	v_and_b32_e32 v1, 0x3ff, v0
	s_mul_i32 s4, s4, s5
	v_mul_lo_u32 v2, s4, v1
	v_bfe_u32 v3, v0, 10, 10
	v_mad_u32_u24 v2, v3, s5, v2
	v_bfe_u32 v0, v0, 20, 10
	v_add_lshl_u32 v0, v2, v0, 3
	v_mov_b32_e32 v6, s12
	v_add_u32_e32 v7, 0x800, v0
	v_pk_mov_b32 v[2:3], s[12:13], s[12:13] op_sel:[0,1]
	v_pk_mov_b32 v[4:5], s[20:21], s[20:21] op_sel:[0,1]
	ds_write2st64_b64 v0, v[4:5], v[2:3] offset1:4
	v_cndmask_b32_e64 v2, v6, v7, s[0:1]
	v_mov_b32_e32 v3, s2
	flat_load_dwordx2 v[4:5], v[2:3]
	s_xor_b64 s[4:5], s[0:1], -1
	v_pk_mov_b32 v[6:7], s[14:15], s[14:15] op_sel:[0,1]
	s_cbranch_vccnz .LBB344_2
; %bb.1:
	v_pk_mov_b32 v[2:3], s[12:13], s[12:13] op_sel:[0,1]
	flat_load_dwordx2 v[6:7], v[2:3] offset:8
.LBB344_2:
	s_and_b64 s[10:11], s[0:1], exec
	s_cselect_b32 s2, s3, s21
	v_mov_b32_e32 v2, s20
	v_cndmask_b32_e64 v2, v2, v0, s[0:1]
	v_mov_b32_e32 v3, s2
	flat_load_dwordx2 v[8:9], v[2:3]
	s_andn2_b64 vcc, exec, s[4:5]
	v_pk_mov_b32 v[10:11], s[22:23], s[22:23] op_sel:[0,1]
	s_cbranch_vccnz .LBB344_4
; %bb.3:
	v_pk_mov_b32 v[2:3], s[20:21], s[20:21] op_sel:[0,1]
	flat_load_dwordx2 v[10:11], v[2:3] offset:8
.LBB344_4:
	s_waitcnt vmcnt(0) lgkmcnt(0)
	v_cmp_eq_f64_e32 vcc, 0, v[4:5]
	v_cmp_eq_f64_e64 s[0:1], 0, v[6:7]
	s_and_b64 s[4:5], vcc, s[0:1]
	s_mov_b64 s[0:1], -1
	s_and_saveexec_b64 s[2:3], s[4:5]
; %bb.5:
	v_cmp_neq_f64_e32 vcc, 1.0, v[8:9]
	v_cmp_neq_f64_e64 s[0:1], 0, v[10:11]
	s_or_b64 s[0:1], vcc, s[0:1]
	s_orn2_b64 s[0:1], s[0:1], exec
; %bb.6:
	s_or_b64 exec, exec, s[2:3]
	s_and_saveexec_b64 s[2:3], s[0:1]
	s_cbranch_execz .LBB344_18
; %bb.7:
	s_load_dword s22, s[6:7], 0x4
	v_lshl_or_b32 v0, s8, 8, v1
	v_lshrrev_b32_e32 v12, 4, v0
	s_waitcnt lgkmcnt(0)
	v_cmp_gt_i32_e32 vcc, s22, v12
	s_and_b64 exec, exec, vcc
	s_cbranch_execz .LBB344_18
; %bb.8:
	s_load_dword s2, s[6:7], 0x60
	s_load_dwordx2 s[4:5], s[6:7], 0x50
	s_load_dwordx4 s[8:11], s[6:7], 0x28
	s_load_dwordx2 s[0:1], s[6:7], 0x38
	v_and_b32_e32 v0, 15, v1
	v_subrev_co_u32_e32 v26, vcc, s24, v0
	s_waitcnt lgkmcnt(0)
	s_lshl_b32 s23, s2, 4
	v_subb_co_u32_e64 v27, s[2:3], 0, 0, vcc
	s_mov_b32 s2, 0
	s_brev_b32 s3, 1
	v_mul_f64 v[14:15], v[6:7], s[2:3]
	s_ashr_i32 s3, s24, 31
	s_mov_b32 s2, s24
	s_lshl_b64 s[2:3], s[2:3], 4
	s_sub_u32 s25, s0, s2
	s_mov_b32 s14, 0
	s_subb_u32 s15, s1, s3
	v_cmp_neq_f64_e32 vcc, 0, v[8:9]
	v_cmp_neq_f64_e64 s[2:3], 0, v[10:11]
	s_mov_b64 s[6:7], 0
	v_mul_f64 v[16:17], v[4:5], 0
	v_cmp_eq_u32_e64 s[0:1], 15, v0
	s_or_b64 s[12:13], vcc, s[2:3]
	v_mov_b32_e32 v28, s17
	v_mov_b32_e32 v29, s19
	;; [unrolled: 1-line block ×4, first 2 shown]
	s_branch .LBB344_11
.LBB344_9:                              ;   in Loop: Header=BB344_11 Depth=1
	s_or_b64 exec, exec, s[14:15]
	global_store_dwordx4 v[18:19], v[0:3], off
.LBB344_10:                             ;   in Loop: Header=BB344_11 Depth=1
	s_or_b64 exec, exec, s[2:3]
	v_add_u32_e32 v12, s23, v12
	v_cmp_le_i32_e32 vcc, s22, v12
	s_or_b64 s[6:7], vcc, s[6:7]
	s_andn2_b64 exec, exec, s[6:7]
	s_cbranch_execz .LBB344_18
.LBB344_11:                             ; =>This Loop Header: Depth=1
                                        ;     Child Loop BB344_13 Depth 2
	v_ashrrev_i32_e32 v13, 31, v12
	v_lshlrev_b64 v[0:1], 3, v[12:13]
	v_add_co_u32_e32 v2, vcc, s18, v0
	v_addc_co_u32_e32 v3, vcc, v29, v1, vcc
	global_load_dwordx2 v[2:3], v[2:3], off
	v_add_co_u32_e32 v0, vcc, s16, v0
	v_addc_co_u32_e32 v1, vcc, v28, v1, vcc
	global_load_dwordx2 v[18:19], v[0:1], off
	v_pk_mov_b32 v[0:1], 0, 0
	v_pk_mov_b32 v[20:21], v[0:1], v[0:1] op_sel:[0,1]
	s_waitcnt vmcnt(1)
	v_subrev_co_u32_e32 v2, vcc, s24, v2
	v_subb_co_u32_e32 v3, vcc, v3, v30, vcc
	s_waitcnt vmcnt(0)
	v_add_co_u32_e32 v18, vcc, v18, v26
	v_addc_co_u32_e32 v19, vcc, v19, v27, vcc
	v_cmp_lt_i64_e32 vcc, v[18:19], v[2:3]
	s_and_saveexec_b64 s[14:15], vcc
	s_cbranch_execz .LBB344_15
; %bb.12:                               ;   in Loop: Header=BB344_11 Depth=1
	v_lshlrev_b64 v[0:1], 3, v[18:19]
	v_mov_b32_e32 v20, s11
	v_add_co_u32_e32 v22, vcc, s10, v0
	v_addc_co_u32_e32 v23, vcc, v20, v1, vcc
	v_lshlrev_b64 v[0:1], 2, v[18:19]
	v_mov_b32_e32 v20, s9
	v_add_co_u32_e32 v24, vcc, s8, v0
	v_addc_co_u32_e32 v25, vcc, v20, v1, vcc
	v_pk_mov_b32 v[0:1], 0, 0
	s_mov_b64 s[20:21], 0
	v_pk_mov_b32 v[20:21], v[0:1], v[0:1] op_sel:[0,1]
.LBB344_13:                             ;   Parent Loop BB344_11 Depth=1
                                        ; =>  This Inner Loop Header: Depth=2
	global_load_dword v32, v[24:25], off
	global_load_dwordx2 v[36:37], v[22:23], off
	v_add_co_u32_e64 v24, s[2:3], 64, v24
	v_addc_co_u32_e64 v25, s[2:3], 0, v25, s[2:3]
	s_waitcnt vmcnt(1)
	v_ashrrev_i32_e32 v33, 31, v32
	v_lshlrev_b64 v[32:33], 4, v[32:33]
	v_add_co_u32_e32 v32, vcc, s25, v32
	v_addc_co_u32_e32 v33, vcc, v31, v33, vcc
	global_load_dwordx4 v[32:35], v[32:33], off
	v_add_co_u32_e32 v18, vcc, 16, v18
	v_addc_co_u32_e32 v19, vcc, 0, v19, vcc
	v_add_co_u32_e32 v22, vcc, 0x80, v22
	v_addc_co_u32_e32 v23, vcc, 0, v23, vcc
	s_waitcnt vmcnt(1)
	v_fma_f64 v[38:39], v[4:5], v[36:37], v[14:15]
	v_fma_f64 v[36:37], v[6:7], v[36:37], v[16:17]
	v_cmp_ge_i64_e32 vcc, v[18:19], v[2:3]
	s_or_b64 s[20:21], vcc, s[20:21]
	s_waitcnt vmcnt(0)
	v_fmac_f64_e32 v[20:21], v[38:39], v[32:33]
	v_fmac_f64_e32 v[0:1], v[36:37], v[32:33]
	v_fma_f64 v[20:21], -v[36:37], v[34:35], v[20:21]
	v_fmac_f64_e32 v[0:1], v[38:39], v[34:35]
	s_andn2_b64 exec, exec, s[20:21]
	s_cbranch_execnz .LBB344_13
; %bb.14:                               ;   in Loop: Header=BB344_11 Depth=1
	s_or_b64 exec, exec, s[20:21]
.LBB344_15:                             ;   in Loop: Header=BB344_11 Depth=1
	s_or_b64 exec, exec, s[14:15]
	v_mov_b32_dpp v2, v20 row_shr:1 row_mask:0xf bank_mask:0xf
	v_mov_b32_dpp v3, v21 row_shr:1 row_mask:0xf bank_mask:0xf
	v_add_f64 v[2:3], v[20:21], v[2:3]
	v_mov_b32_dpp v20, v0 row_shr:1 row_mask:0xf bank_mask:0xf
	v_mov_b32_dpp v21, v1 row_shr:1 row_mask:0xf bank_mask:0xf
	v_add_f64 v[0:1], v[0:1], v[20:21]
	v_mov_b32_dpp v18, v2 row_shr:2 row_mask:0xf bank_mask:0xf
	v_mov_b32_dpp v19, v3 row_shr:2 row_mask:0xf bank_mask:0xf
	;; [unrolled: 1-line block ×4, first 2 shown]
	v_add_f64 v[2:3], v[2:3], v[18:19]
	v_add_f64 v[0:1], v[0:1], v[20:21]
	s_nop 0
	v_mov_b32_dpp v18, v2 row_shr:4 row_mask:0xf bank_mask:0xe
	v_mov_b32_dpp v19, v3 row_shr:4 row_mask:0xf bank_mask:0xe
	;; [unrolled: 1-line block ×4, first 2 shown]
	v_add_f64 v[2:3], v[2:3], v[18:19]
	v_add_f64 v[20:21], v[0:1], v[20:21]
	s_nop 0
	v_mov_b32_dpp v18, v2 row_shr:8 row_mask:0xf bank_mask:0xc
	v_mov_b32_dpp v19, v3 row_shr:8 row_mask:0xf bank_mask:0xc
	v_mov_b32_dpp v22, v20 row_shr:8 row_mask:0xf bank_mask:0xc
	v_mov_b32_dpp v23, v21 row_shr:8 row_mask:0xf bank_mask:0xc
	s_and_saveexec_b64 s[2:3], s[0:1]
	s_cbranch_execz .LBB344_10
; %bb.16:                               ;   in Loop: Header=BB344_11 Depth=1
	v_add_f64 v[0:1], v[2:3], v[18:19]
	v_lshlrev_b64 v[18:19], 4, v[12:13]
	v_mov_b32_e32 v13, s5
	v_add_co_u32_e32 v18, vcc, s4, v18
	v_add_f64 v[2:3], v[20:21], v[22:23]
	v_addc_co_u32_e32 v19, vcc, v13, v19, vcc
	s_and_saveexec_b64 s[14:15], s[12:13]
	s_cbranch_execz .LBB344_9
; %bb.17:                               ;   in Loop: Header=BB344_11 Depth=1
	global_load_dwordx4 v[20:23], v[18:19], off
	s_waitcnt vmcnt(0)
	v_fmac_f64_e32 v[0:1], v[8:9], v[20:21]
	v_fmac_f64_e32 v[2:3], v[10:11], v[20:21]
	v_fma_f64 v[0:1], -v[10:11], v[22:23], v[0:1]
	v_fmac_f64_e32 v[2:3], v[8:9], v[22:23]
	s_branch .LBB344_9
.LBB344_18:
	s_endpgm
	.section	.rodata,"a",@progbits
	.p2align	6, 0x0
	.amdhsa_kernel _ZN9rocsparseL21csrmvn_general_kernelILj256ELj16Elid21rocsparse_complex_numIdES2_S2_EEvbT2_NS_24const_host_device_scalarIT6_EEPKT1_S9_PKS3_PKT3_PKT4_S6_PT5_21rocsparse_index_base_b
		.amdhsa_group_segment_fixed_size 4096
		.amdhsa_private_segment_fixed_size 0
		.amdhsa_kernarg_size 352
		.amdhsa_user_sgpr_count 8
		.amdhsa_user_sgpr_private_segment_buffer 1
		.amdhsa_user_sgpr_dispatch_ptr 1
		.amdhsa_user_sgpr_queue_ptr 0
		.amdhsa_user_sgpr_kernarg_segment_ptr 1
		.amdhsa_user_sgpr_dispatch_id 0
		.amdhsa_user_sgpr_flat_scratch_init 0
		.amdhsa_user_sgpr_kernarg_preload_length 0
		.amdhsa_user_sgpr_kernarg_preload_offset 0
		.amdhsa_user_sgpr_private_segment_size 0
		.amdhsa_uses_dynamic_stack 0
		.amdhsa_system_sgpr_private_segment_wavefront_offset 0
		.amdhsa_system_sgpr_workgroup_id_x 1
		.amdhsa_system_sgpr_workgroup_id_y 0
		.amdhsa_system_sgpr_workgroup_id_z 0
		.amdhsa_system_sgpr_workgroup_info 0
		.amdhsa_system_vgpr_workitem_id 2
		.amdhsa_next_free_vgpr 40
		.amdhsa_next_free_sgpr 26
		.amdhsa_accum_offset 40
		.amdhsa_reserve_vcc 1
		.amdhsa_reserve_flat_scratch 0
		.amdhsa_float_round_mode_32 0
		.amdhsa_float_round_mode_16_64 0
		.amdhsa_float_denorm_mode_32 3
		.amdhsa_float_denorm_mode_16_64 3
		.amdhsa_dx10_clamp 1
		.amdhsa_ieee_mode 1
		.amdhsa_fp16_overflow 0
		.amdhsa_tg_split 0
		.amdhsa_exception_fp_ieee_invalid_op 0
		.amdhsa_exception_fp_denorm_src 0
		.amdhsa_exception_fp_ieee_div_zero 0
		.amdhsa_exception_fp_ieee_overflow 0
		.amdhsa_exception_fp_ieee_underflow 0
		.amdhsa_exception_fp_ieee_inexact 0
		.amdhsa_exception_int_div_zero 0
	.end_amdhsa_kernel
	.section	.text._ZN9rocsparseL21csrmvn_general_kernelILj256ELj16Elid21rocsparse_complex_numIdES2_S2_EEvbT2_NS_24const_host_device_scalarIT6_EEPKT1_S9_PKS3_PKT3_PKT4_S6_PT5_21rocsparse_index_base_b,"axG",@progbits,_ZN9rocsparseL21csrmvn_general_kernelILj256ELj16Elid21rocsparse_complex_numIdES2_S2_EEvbT2_NS_24const_host_device_scalarIT6_EEPKT1_S9_PKS3_PKT3_PKT4_S6_PT5_21rocsparse_index_base_b,comdat
.Lfunc_end344:
	.size	_ZN9rocsparseL21csrmvn_general_kernelILj256ELj16Elid21rocsparse_complex_numIdES2_S2_EEvbT2_NS_24const_host_device_scalarIT6_EEPKT1_S9_PKS3_PKT3_PKT4_S6_PT5_21rocsparse_index_base_b, .Lfunc_end344-_ZN9rocsparseL21csrmvn_general_kernelILj256ELj16Elid21rocsparse_complex_numIdES2_S2_EEvbT2_NS_24const_host_device_scalarIT6_EEPKT1_S9_PKS3_PKT3_PKT4_S6_PT5_21rocsparse_index_base_b
                                        ; -- End function
	.section	.AMDGPU.csdata,"",@progbits
; Kernel info:
; codeLenInByte = 1132
; NumSgprs: 30
; NumVgprs: 40
; NumAgprs: 0
; TotalNumVgprs: 40
; ScratchSize: 0
; MemoryBound: 0
; FloatMode: 240
; IeeeMode: 1
; LDSByteSize: 4096 bytes/workgroup (compile time only)
; SGPRBlocks: 3
; VGPRBlocks: 4
; NumSGPRsForWavesPerEU: 30
; NumVGPRsForWavesPerEU: 40
; AccumOffset: 40
; Occupancy: 8
; WaveLimiterHint : 1
; COMPUTE_PGM_RSRC2:SCRATCH_EN: 0
; COMPUTE_PGM_RSRC2:USER_SGPR: 8
; COMPUTE_PGM_RSRC2:TRAP_HANDLER: 0
; COMPUTE_PGM_RSRC2:TGID_X_EN: 1
; COMPUTE_PGM_RSRC2:TGID_Y_EN: 0
; COMPUTE_PGM_RSRC2:TGID_Z_EN: 0
; COMPUTE_PGM_RSRC2:TIDIG_COMP_CNT: 2
; COMPUTE_PGM_RSRC3_GFX90A:ACCUM_OFFSET: 9
; COMPUTE_PGM_RSRC3_GFX90A:TG_SPLIT: 0
	.section	.text._ZN9rocsparseL21csrmvn_general_kernelILj256ELj32Elid21rocsparse_complex_numIdES2_S2_EEvbT2_NS_24const_host_device_scalarIT6_EEPKT1_S9_PKS3_PKT3_PKT4_S6_PT5_21rocsparse_index_base_b,"axG",@progbits,_ZN9rocsparseL21csrmvn_general_kernelILj256ELj32Elid21rocsparse_complex_numIdES2_S2_EEvbT2_NS_24const_host_device_scalarIT6_EEPKT1_S9_PKS3_PKT3_PKT4_S6_PT5_21rocsparse_index_base_b,comdat
	.globl	_ZN9rocsparseL21csrmvn_general_kernelILj256ELj32Elid21rocsparse_complex_numIdES2_S2_EEvbT2_NS_24const_host_device_scalarIT6_EEPKT1_S9_PKS3_PKT3_PKT4_S6_PT5_21rocsparse_index_base_b ; -- Begin function _ZN9rocsparseL21csrmvn_general_kernelILj256ELj32Elid21rocsparse_complex_numIdES2_S2_EEvbT2_NS_24const_host_device_scalarIT6_EEPKT1_S9_PKS3_PKT3_PKT4_S6_PT5_21rocsparse_index_base_b
	.p2align	8
	.type	_ZN9rocsparseL21csrmvn_general_kernelILj256ELj32Elid21rocsparse_complex_numIdES2_S2_EEvbT2_NS_24const_host_device_scalarIT6_EEPKT1_S9_PKS3_PKT3_PKT4_S6_PT5_21rocsparse_index_base_b,@function
_ZN9rocsparseL21csrmvn_general_kernelILj256ELj32Elid21rocsparse_complex_numIdES2_S2_EEvbT2_NS_24const_host_device_scalarIT6_EEPKT1_S9_PKS3_PKT3_PKT4_S6_PT5_21rocsparse_index_base_b: ; @_ZN9rocsparseL21csrmvn_general_kernelILj256ELj32Elid21rocsparse_complex_numIdES2_S2_EEvbT2_NS_24const_host_device_scalarIT6_EEPKT1_S9_PKS3_PKT3_PKT4_S6_PT5_21rocsparse_index_base_b
; %bb.0:
	s_load_dwordx2 s[24:25], s[6:7], 0x58
	s_load_dwordx8 s[12:19], s[6:7], 0x8
	s_load_dwordx4 s[20:23], s[6:7], 0x40
	s_mov_b64 s[2:3], src_shared_base
	s_load_dwordx2 s[4:5], s[4:5], 0x4
	s_waitcnt lgkmcnt(0)
	s_bitcmp1_b32 s25, 0
	s_cselect_b64 s[0:1], -1, 0
	s_and_b64 vcc, s[0:1], exec
	s_cselect_b32 s2, s3, s13
	s_lshr_b32 s4, s4, 16
	v_and_b32_e32 v1, 0x3ff, v0
	s_mul_i32 s4, s4, s5
	v_mul_lo_u32 v2, s4, v1
	v_bfe_u32 v3, v0, 10, 10
	v_mad_u32_u24 v2, v3, s5, v2
	v_bfe_u32 v0, v0, 20, 10
	v_add_lshl_u32 v0, v2, v0, 3
	v_mov_b32_e32 v6, s12
	v_add_u32_e32 v7, 0x800, v0
	v_pk_mov_b32 v[2:3], s[12:13], s[12:13] op_sel:[0,1]
	v_pk_mov_b32 v[4:5], s[20:21], s[20:21] op_sel:[0,1]
	ds_write2st64_b64 v0, v[4:5], v[2:3] offset1:4
	v_cndmask_b32_e64 v2, v6, v7, s[0:1]
	v_mov_b32_e32 v3, s2
	flat_load_dwordx2 v[4:5], v[2:3]
	s_xor_b64 s[4:5], s[0:1], -1
	v_pk_mov_b32 v[6:7], s[14:15], s[14:15] op_sel:[0,1]
	s_cbranch_vccnz .LBB345_2
; %bb.1:
	v_pk_mov_b32 v[2:3], s[12:13], s[12:13] op_sel:[0,1]
	flat_load_dwordx2 v[6:7], v[2:3] offset:8
.LBB345_2:
	s_and_b64 s[10:11], s[0:1], exec
	s_cselect_b32 s2, s3, s21
	v_mov_b32_e32 v2, s20
	v_cndmask_b32_e64 v2, v2, v0, s[0:1]
	v_mov_b32_e32 v3, s2
	flat_load_dwordx2 v[8:9], v[2:3]
	s_andn2_b64 vcc, exec, s[4:5]
	v_pk_mov_b32 v[10:11], s[22:23], s[22:23] op_sel:[0,1]
	s_cbranch_vccnz .LBB345_4
; %bb.3:
	v_pk_mov_b32 v[2:3], s[20:21], s[20:21] op_sel:[0,1]
	flat_load_dwordx2 v[10:11], v[2:3] offset:8
.LBB345_4:
	s_waitcnt vmcnt(0) lgkmcnt(0)
	v_cmp_eq_f64_e32 vcc, 0, v[4:5]
	v_cmp_eq_f64_e64 s[0:1], 0, v[6:7]
	s_and_b64 s[4:5], vcc, s[0:1]
	s_mov_b64 s[0:1], -1
	s_and_saveexec_b64 s[2:3], s[4:5]
; %bb.5:
	v_cmp_neq_f64_e32 vcc, 1.0, v[8:9]
	v_cmp_neq_f64_e64 s[0:1], 0, v[10:11]
	s_or_b64 s[0:1], vcc, s[0:1]
	s_orn2_b64 s[0:1], s[0:1], exec
; %bb.6:
	s_or_b64 exec, exec, s[2:3]
	s_and_saveexec_b64 s[2:3], s[0:1]
	s_cbranch_execz .LBB345_18
; %bb.7:
	s_load_dword s22, s[6:7], 0x4
	v_lshl_or_b32 v0, s8, 8, v1
	v_lshrrev_b32_e32 v12, 5, v0
	s_waitcnt lgkmcnt(0)
	v_cmp_gt_i32_e32 vcc, s22, v12
	s_and_b64 exec, exec, vcc
	s_cbranch_execz .LBB345_18
; %bb.8:
	s_load_dword s2, s[6:7], 0x60
	s_load_dwordx2 s[4:5], s[6:7], 0x50
	s_load_dwordx4 s[8:11], s[6:7], 0x28
	s_load_dwordx2 s[0:1], s[6:7], 0x38
	v_and_b32_e32 v0, 31, v1
	v_subrev_co_u32_e32 v26, vcc, s24, v0
	s_waitcnt lgkmcnt(0)
	s_lshl_b32 s23, s2, 3
	v_subb_co_u32_e64 v27, s[2:3], 0, 0, vcc
	s_mov_b32 s2, 0
	s_brev_b32 s3, 1
	v_mul_f64 v[14:15], v[6:7], s[2:3]
	s_ashr_i32 s3, s24, 31
	s_mov_b32 s2, s24
	s_lshl_b64 s[2:3], s[2:3], 4
	s_sub_u32 s25, s0, s2
	s_mov_b32 s14, 0
	s_subb_u32 s15, s1, s3
	v_cmp_neq_f64_e32 vcc, 0, v[8:9]
	v_cmp_neq_f64_e64 s[2:3], 0, v[10:11]
	s_mov_b64 s[6:7], 0
	v_mul_f64 v[16:17], v[4:5], 0
	v_cmp_eq_u32_e64 s[0:1], 31, v0
	s_or_b64 s[12:13], vcc, s[2:3]
	v_mov_b32_e32 v28, s17
	v_mov_b32_e32 v29, s19
	;; [unrolled: 1-line block ×4, first 2 shown]
	s_branch .LBB345_11
.LBB345_9:                              ;   in Loop: Header=BB345_11 Depth=1
	s_or_b64 exec, exec, s[14:15]
	global_store_dwordx4 v[18:19], v[0:3], off
.LBB345_10:                             ;   in Loop: Header=BB345_11 Depth=1
	s_or_b64 exec, exec, s[2:3]
	v_add_u32_e32 v12, s23, v12
	v_cmp_le_i32_e32 vcc, s22, v12
	s_or_b64 s[6:7], vcc, s[6:7]
	s_andn2_b64 exec, exec, s[6:7]
	s_cbranch_execz .LBB345_18
.LBB345_11:                             ; =>This Loop Header: Depth=1
                                        ;     Child Loop BB345_13 Depth 2
	v_ashrrev_i32_e32 v13, 31, v12
	v_lshlrev_b64 v[0:1], 3, v[12:13]
	v_add_co_u32_e32 v2, vcc, s18, v0
	v_addc_co_u32_e32 v3, vcc, v29, v1, vcc
	global_load_dwordx2 v[2:3], v[2:3], off
	v_add_co_u32_e32 v0, vcc, s16, v0
	v_addc_co_u32_e32 v1, vcc, v28, v1, vcc
	global_load_dwordx2 v[18:19], v[0:1], off
	v_pk_mov_b32 v[0:1], 0, 0
	v_pk_mov_b32 v[20:21], v[0:1], v[0:1] op_sel:[0,1]
	s_waitcnt vmcnt(1)
	v_subrev_co_u32_e32 v2, vcc, s24, v2
	v_subb_co_u32_e32 v3, vcc, v3, v30, vcc
	s_waitcnt vmcnt(0)
	v_add_co_u32_e32 v18, vcc, v18, v26
	v_addc_co_u32_e32 v19, vcc, v19, v27, vcc
	v_cmp_lt_i64_e32 vcc, v[18:19], v[2:3]
	s_and_saveexec_b64 s[14:15], vcc
	s_cbranch_execz .LBB345_15
; %bb.12:                               ;   in Loop: Header=BB345_11 Depth=1
	v_lshlrev_b64 v[0:1], 3, v[18:19]
	v_mov_b32_e32 v20, s11
	v_add_co_u32_e32 v22, vcc, s10, v0
	v_addc_co_u32_e32 v23, vcc, v20, v1, vcc
	v_lshlrev_b64 v[0:1], 2, v[18:19]
	v_mov_b32_e32 v20, s9
	v_add_co_u32_e32 v24, vcc, s8, v0
	v_addc_co_u32_e32 v25, vcc, v20, v1, vcc
	v_pk_mov_b32 v[0:1], 0, 0
	s_mov_b64 s[20:21], 0
	v_pk_mov_b32 v[20:21], v[0:1], v[0:1] op_sel:[0,1]
.LBB345_13:                             ;   Parent Loop BB345_11 Depth=1
                                        ; =>  This Inner Loop Header: Depth=2
	global_load_dword v32, v[24:25], off
	global_load_dwordx2 v[36:37], v[22:23], off
	s_waitcnt vmcnt(1)
	v_ashrrev_i32_e32 v33, 31, v32
	v_lshlrev_b64 v[32:33], 4, v[32:33]
	v_add_co_u32_e32 v32, vcc, s25, v32
	v_addc_co_u32_e32 v33, vcc, v31, v33, vcc
	global_load_dwordx4 v[32:35], v[32:33], off
	v_add_co_u32_e32 v18, vcc, 32, v18
	v_addc_co_u32_e32 v19, vcc, 0, v19, vcc
	v_add_co_u32_e32 v22, vcc, 0x100, v22
	v_addc_co_u32_e32 v23, vcc, 0, v23, vcc
	s_waitcnt vmcnt(1)
	v_fma_f64 v[38:39], v[4:5], v[36:37], v[14:15]
	v_fma_f64 v[36:37], v[6:7], v[36:37], v[16:17]
	v_add_co_u32_e32 v24, vcc, 0x80, v24
	v_cmp_ge_i64_e64 s[2:3], v[18:19], v[2:3]
	v_addc_co_u32_e32 v25, vcc, 0, v25, vcc
	s_or_b64 s[20:21], s[2:3], s[20:21]
	s_waitcnt vmcnt(0)
	v_fmac_f64_e32 v[20:21], v[38:39], v[32:33]
	v_fmac_f64_e32 v[0:1], v[36:37], v[32:33]
	v_fma_f64 v[20:21], -v[36:37], v[34:35], v[20:21]
	v_fmac_f64_e32 v[0:1], v[38:39], v[34:35]
	s_andn2_b64 exec, exec, s[20:21]
	s_cbranch_execnz .LBB345_13
; %bb.14:                               ;   in Loop: Header=BB345_11 Depth=1
	s_or_b64 exec, exec, s[20:21]
.LBB345_15:                             ;   in Loop: Header=BB345_11 Depth=1
	s_or_b64 exec, exec, s[14:15]
	v_mov_b32_dpp v2, v20 row_shr:1 row_mask:0xf bank_mask:0xf
	v_mov_b32_dpp v3, v21 row_shr:1 row_mask:0xf bank_mask:0xf
	v_add_f64 v[2:3], v[20:21], v[2:3]
	v_mov_b32_dpp v20, v0 row_shr:1 row_mask:0xf bank_mask:0xf
	v_mov_b32_dpp v21, v1 row_shr:1 row_mask:0xf bank_mask:0xf
	v_add_f64 v[0:1], v[0:1], v[20:21]
	v_mov_b32_dpp v18, v2 row_shr:2 row_mask:0xf bank_mask:0xf
	v_mov_b32_dpp v19, v3 row_shr:2 row_mask:0xf bank_mask:0xf
	v_mov_b32_dpp v20, v0 row_shr:2 row_mask:0xf bank_mask:0xf
	v_mov_b32_dpp v21, v1 row_shr:2 row_mask:0xf bank_mask:0xf
	v_add_f64 v[2:3], v[2:3], v[18:19]
	v_add_f64 v[0:1], v[0:1], v[20:21]
	s_nop 0
	v_mov_b32_dpp v18, v2 row_shr:4 row_mask:0xf bank_mask:0xe
	v_mov_b32_dpp v19, v3 row_shr:4 row_mask:0xf bank_mask:0xe
	v_mov_b32_dpp v20, v0 row_shr:4 row_mask:0xf bank_mask:0xe
	v_mov_b32_dpp v21, v1 row_shr:4 row_mask:0xf bank_mask:0xe
	v_add_f64 v[2:3], v[2:3], v[18:19]
	v_add_f64 v[0:1], v[0:1], v[20:21]
	s_nop 0
	;; [unrolled: 7-line block ×3, first 2 shown]
	v_mov_b32_dpp v18, v2 row_bcast:15 row_mask:0xa bank_mask:0xf
	v_mov_b32_dpp v19, v3 row_bcast:15 row_mask:0xa bank_mask:0xf
	;; [unrolled: 1-line block ×4, first 2 shown]
	s_and_saveexec_b64 s[2:3], s[0:1]
	s_cbranch_execz .LBB345_10
; %bb.16:                               ;   in Loop: Header=BB345_11 Depth=1
	v_add_f64 v[0:1], v[2:3], v[18:19]
	v_lshlrev_b64 v[18:19], 4, v[12:13]
	v_mov_b32_e32 v13, s5
	v_add_co_u32_e32 v18, vcc, s4, v18
	v_add_f64 v[2:3], v[20:21], v[22:23]
	v_addc_co_u32_e32 v19, vcc, v13, v19, vcc
	s_and_saveexec_b64 s[14:15], s[12:13]
	s_cbranch_execz .LBB345_9
; %bb.17:                               ;   in Loop: Header=BB345_11 Depth=1
	global_load_dwordx4 v[20:23], v[18:19], off
	s_waitcnt vmcnt(0)
	v_fmac_f64_e32 v[0:1], v[8:9], v[20:21]
	v_fmac_f64_e32 v[2:3], v[10:11], v[20:21]
	v_fma_f64 v[0:1], -v[10:11], v[22:23], v[0:1]
	v_fmac_f64_e32 v[2:3], v[8:9], v[22:23]
	s_branch .LBB345_9
.LBB345_18:
	s_endpgm
	.section	.rodata,"a",@progbits
	.p2align	6, 0x0
	.amdhsa_kernel _ZN9rocsparseL21csrmvn_general_kernelILj256ELj32Elid21rocsparse_complex_numIdES2_S2_EEvbT2_NS_24const_host_device_scalarIT6_EEPKT1_S9_PKS3_PKT3_PKT4_S6_PT5_21rocsparse_index_base_b
		.amdhsa_group_segment_fixed_size 4096
		.amdhsa_private_segment_fixed_size 0
		.amdhsa_kernarg_size 352
		.amdhsa_user_sgpr_count 8
		.amdhsa_user_sgpr_private_segment_buffer 1
		.amdhsa_user_sgpr_dispatch_ptr 1
		.amdhsa_user_sgpr_queue_ptr 0
		.amdhsa_user_sgpr_kernarg_segment_ptr 1
		.amdhsa_user_sgpr_dispatch_id 0
		.amdhsa_user_sgpr_flat_scratch_init 0
		.amdhsa_user_sgpr_kernarg_preload_length 0
		.amdhsa_user_sgpr_kernarg_preload_offset 0
		.amdhsa_user_sgpr_private_segment_size 0
		.amdhsa_uses_dynamic_stack 0
		.amdhsa_system_sgpr_private_segment_wavefront_offset 0
		.amdhsa_system_sgpr_workgroup_id_x 1
		.amdhsa_system_sgpr_workgroup_id_y 0
		.amdhsa_system_sgpr_workgroup_id_z 0
		.amdhsa_system_sgpr_workgroup_info 0
		.amdhsa_system_vgpr_workitem_id 2
		.amdhsa_next_free_vgpr 40
		.amdhsa_next_free_sgpr 26
		.amdhsa_accum_offset 40
		.amdhsa_reserve_vcc 1
		.amdhsa_reserve_flat_scratch 0
		.amdhsa_float_round_mode_32 0
		.amdhsa_float_round_mode_16_64 0
		.amdhsa_float_denorm_mode_32 3
		.amdhsa_float_denorm_mode_16_64 3
		.amdhsa_dx10_clamp 1
		.amdhsa_ieee_mode 1
		.amdhsa_fp16_overflow 0
		.amdhsa_tg_split 0
		.amdhsa_exception_fp_ieee_invalid_op 0
		.amdhsa_exception_fp_denorm_src 0
		.amdhsa_exception_fp_ieee_div_zero 0
		.amdhsa_exception_fp_ieee_overflow 0
		.amdhsa_exception_fp_ieee_underflow 0
		.amdhsa_exception_fp_ieee_inexact 0
		.amdhsa_exception_int_div_zero 0
	.end_amdhsa_kernel
	.section	.text._ZN9rocsparseL21csrmvn_general_kernelILj256ELj32Elid21rocsparse_complex_numIdES2_S2_EEvbT2_NS_24const_host_device_scalarIT6_EEPKT1_S9_PKS3_PKT3_PKT4_S6_PT5_21rocsparse_index_base_b,"axG",@progbits,_ZN9rocsparseL21csrmvn_general_kernelILj256ELj32Elid21rocsparse_complex_numIdES2_S2_EEvbT2_NS_24const_host_device_scalarIT6_EEPKT1_S9_PKS3_PKT3_PKT4_S6_PT5_21rocsparse_index_base_b,comdat
.Lfunc_end345:
	.size	_ZN9rocsparseL21csrmvn_general_kernelILj256ELj32Elid21rocsparse_complex_numIdES2_S2_EEvbT2_NS_24const_host_device_scalarIT6_EEPKT1_S9_PKS3_PKT3_PKT4_S6_PT5_21rocsparse_index_base_b, .Lfunc_end345-_ZN9rocsparseL21csrmvn_general_kernelILj256ELj32Elid21rocsparse_complex_numIdES2_S2_EEvbT2_NS_24const_host_device_scalarIT6_EEPKT1_S9_PKS3_PKT3_PKT4_S6_PT5_21rocsparse_index_base_b
                                        ; -- End function
	.section	.AMDGPU.csdata,"",@progbits
; Kernel info:
; codeLenInByte = 1184
; NumSgprs: 30
; NumVgprs: 40
; NumAgprs: 0
; TotalNumVgprs: 40
; ScratchSize: 0
; MemoryBound: 0
; FloatMode: 240
; IeeeMode: 1
; LDSByteSize: 4096 bytes/workgroup (compile time only)
; SGPRBlocks: 3
; VGPRBlocks: 4
; NumSGPRsForWavesPerEU: 30
; NumVGPRsForWavesPerEU: 40
; AccumOffset: 40
; Occupancy: 8
; WaveLimiterHint : 1
; COMPUTE_PGM_RSRC2:SCRATCH_EN: 0
; COMPUTE_PGM_RSRC2:USER_SGPR: 8
; COMPUTE_PGM_RSRC2:TRAP_HANDLER: 0
; COMPUTE_PGM_RSRC2:TGID_X_EN: 1
; COMPUTE_PGM_RSRC2:TGID_Y_EN: 0
; COMPUTE_PGM_RSRC2:TGID_Z_EN: 0
; COMPUTE_PGM_RSRC2:TIDIG_COMP_CNT: 2
; COMPUTE_PGM_RSRC3_GFX90A:ACCUM_OFFSET: 9
; COMPUTE_PGM_RSRC3_GFX90A:TG_SPLIT: 0
	.section	.text._ZN9rocsparseL21csrmvn_general_kernelILj256ELj64Elid21rocsparse_complex_numIdES2_S2_EEvbT2_NS_24const_host_device_scalarIT6_EEPKT1_S9_PKS3_PKT3_PKT4_S6_PT5_21rocsparse_index_base_b,"axG",@progbits,_ZN9rocsparseL21csrmvn_general_kernelILj256ELj64Elid21rocsparse_complex_numIdES2_S2_EEvbT2_NS_24const_host_device_scalarIT6_EEPKT1_S9_PKS3_PKT3_PKT4_S6_PT5_21rocsparse_index_base_b,comdat
	.globl	_ZN9rocsparseL21csrmvn_general_kernelILj256ELj64Elid21rocsparse_complex_numIdES2_S2_EEvbT2_NS_24const_host_device_scalarIT6_EEPKT1_S9_PKS3_PKT3_PKT4_S6_PT5_21rocsparse_index_base_b ; -- Begin function _ZN9rocsparseL21csrmvn_general_kernelILj256ELj64Elid21rocsparse_complex_numIdES2_S2_EEvbT2_NS_24const_host_device_scalarIT6_EEPKT1_S9_PKS3_PKT3_PKT4_S6_PT5_21rocsparse_index_base_b
	.p2align	8
	.type	_ZN9rocsparseL21csrmvn_general_kernelILj256ELj64Elid21rocsparse_complex_numIdES2_S2_EEvbT2_NS_24const_host_device_scalarIT6_EEPKT1_S9_PKS3_PKT3_PKT4_S6_PT5_21rocsparse_index_base_b,@function
_ZN9rocsparseL21csrmvn_general_kernelILj256ELj64Elid21rocsparse_complex_numIdES2_S2_EEvbT2_NS_24const_host_device_scalarIT6_EEPKT1_S9_PKS3_PKT3_PKT4_S6_PT5_21rocsparse_index_base_b: ; @_ZN9rocsparseL21csrmvn_general_kernelILj256ELj64Elid21rocsparse_complex_numIdES2_S2_EEvbT2_NS_24const_host_device_scalarIT6_EEPKT1_S9_PKS3_PKT3_PKT4_S6_PT5_21rocsparse_index_base_b
; %bb.0:
	s_load_dwordx2 s[24:25], s[6:7], 0x58
	s_load_dwordx8 s[12:19], s[6:7], 0x8
	s_load_dwordx4 s[20:23], s[6:7], 0x40
	s_mov_b64 s[2:3], src_shared_base
	s_load_dwordx2 s[4:5], s[4:5], 0x4
	s_waitcnt lgkmcnt(0)
	s_bitcmp1_b32 s25, 0
	s_cselect_b64 s[0:1], -1, 0
	s_and_b64 vcc, s[0:1], exec
	s_cselect_b32 s2, s3, s13
	s_lshr_b32 s4, s4, 16
	v_and_b32_e32 v1, 0x3ff, v0
	s_mul_i32 s4, s4, s5
	v_mul_lo_u32 v2, s4, v1
	v_bfe_u32 v3, v0, 10, 10
	v_mad_u32_u24 v2, v3, s5, v2
	v_bfe_u32 v0, v0, 20, 10
	v_add_lshl_u32 v0, v2, v0, 3
	v_mov_b32_e32 v6, s12
	v_add_u32_e32 v7, 0x800, v0
	v_pk_mov_b32 v[2:3], s[12:13], s[12:13] op_sel:[0,1]
	v_pk_mov_b32 v[4:5], s[20:21], s[20:21] op_sel:[0,1]
	ds_write2st64_b64 v0, v[4:5], v[2:3] offset1:4
	v_cndmask_b32_e64 v2, v6, v7, s[0:1]
	v_mov_b32_e32 v3, s2
	flat_load_dwordx2 v[4:5], v[2:3]
	s_xor_b64 s[4:5], s[0:1], -1
	v_pk_mov_b32 v[6:7], s[14:15], s[14:15] op_sel:[0,1]
	s_cbranch_vccnz .LBB346_2
; %bb.1:
	v_pk_mov_b32 v[2:3], s[12:13], s[12:13] op_sel:[0,1]
	flat_load_dwordx2 v[6:7], v[2:3] offset:8
.LBB346_2:
	s_and_b64 s[10:11], s[0:1], exec
	s_cselect_b32 s2, s3, s21
	v_mov_b32_e32 v2, s20
	v_cndmask_b32_e64 v2, v2, v0, s[0:1]
	v_mov_b32_e32 v3, s2
	flat_load_dwordx2 v[8:9], v[2:3]
	s_andn2_b64 vcc, exec, s[4:5]
	v_pk_mov_b32 v[10:11], s[22:23], s[22:23] op_sel:[0,1]
	s_cbranch_vccnz .LBB346_4
; %bb.3:
	v_pk_mov_b32 v[2:3], s[20:21], s[20:21] op_sel:[0,1]
	flat_load_dwordx2 v[10:11], v[2:3] offset:8
.LBB346_4:
	s_waitcnt vmcnt(0) lgkmcnt(0)
	v_cmp_eq_f64_e32 vcc, 0, v[4:5]
	v_cmp_eq_f64_e64 s[0:1], 0, v[6:7]
	s_and_b64 s[4:5], vcc, s[0:1]
	s_mov_b64 s[0:1], -1
	s_and_saveexec_b64 s[2:3], s[4:5]
; %bb.5:
	v_cmp_neq_f64_e32 vcc, 1.0, v[8:9]
	v_cmp_neq_f64_e64 s[0:1], 0, v[10:11]
	s_or_b64 s[0:1], vcc, s[0:1]
	s_orn2_b64 s[0:1], s[0:1], exec
; %bb.6:
	s_or_b64 exec, exec, s[2:3]
	s_and_saveexec_b64 s[2:3], s[0:1]
	s_cbranch_execz .LBB346_18
; %bb.7:
	s_load_dword s22, s[6:7], 0x4
	v_lshl_or_b32 v0, s8, 8, v1
	v_lshrrev_b32_e32 v12, 6, v0
	s_waitcnt lgkmcnt(0)
	v_cmp_gt_i32_e32 vcc, s22, v12
	s_and_b64 exec, exec, vcc
	s_cbranch_execz .LBB346_18
; %bb.8:
	s_load_dword s2, s[6:7], 0x60
	s_load_dwordx2 s[4:5], s[6:7], 0x50
	s_load_dwordx4 s[8:11], s[6:7], 0x28
	s_load_dwordx2 s[0:1], s[6:7], 0x38
	v_and_b32_e32 v0, 63, v1
	v_subrev_co_u32_e32 v26, vcc, s24, v0
	s_waitcnt lgkmcnt(0)
	s_lshl_b32 s23, s2, 2
	v_subb_co_u32_e64 v27, s[2:3], 0, 0, vcc
	s_mov_b32 s2, 0
	s_brev_b32 s3, 1
	v_mul_f64 v[14:15], v[6:7], s[2:3]
	s_ashr_i32 s3, s24, 31
	s_mov_b32 s2, s24
	s_lshl_b64 s[2:3], s[2:3], 4
	s_sub_u32 s25, s0, s2
	s_mov_b32 s14, 0
	s_subb_u32 s15, s1, s3
	v_cmp_neq_f64_e32 vcc, 0, v[8:9]
	v_cmp_neq_f64_e64 s[2:3], 0, v[10:11]
	s_mov_b64 s[6:7], 0
	v_mul_f64 v[16:17], v[4:5], 0
	v_cmp_eq_u32_e64 s[0:1], 63, v0
	s_or_b64 s[12:13], vcc, s[2:3]
	v_mov_b32_e32 v28, s17
	v_mov_b32_e32 v29, s19
	;; [unrolled: 1-line block ×4, first 2 shown]
	s_branch .LBB346_11
.LBB346_9:                              ;   in Loop: Header=BB346_11 Depth=1
	s_or_b64 exec, exec, s[14:15]
	global_store_dwordx4 v[18:19], v[0:3], off
.LBB346_10:                             ;   in Loop: Header=BB346_11 Depth=1
	s_or_b64 exec, exec, s[2:3]
	v_add_u32_e32 v12, s23, v12
	v_cmp_le_i32_e32 vcc, s22, v12
	s_or_b64 s[6:7], vcc, s[6:7]
	s_andn2_b64 exec, exec, s[6:7]
	s_cbranch_execz .LBB346_18
.LBB346_11:                             ; =>This Loop Header: Depth=1
                                        ;     Child Loop BB346_13 Depth 2
	v_ashrrev_i32_e32 v13, 31, v12
	v_lshlrev_b64 v[0:1], 3, v[12:13]
	v_add_co_u32_e32 v2, vcc, s18, v0
	v_addc_co_u32_e32 v3, vcc, v29, v1, vcc
	global_load_dwordx2 v[2:3], v[2:3], off
	v_add_co_u32_e32 v0, vcc, s16, v0
	v_addc_co_u32_e32 v1, vcc, v28, v1, vcc
	global_load_dwordx2 v[18:19], v[0:1], off
	v_pk_mov_b32 v[0:1], 0, 0
	v_pk_mov_b32 v[20:21], v[0:1], v[0:1] op_sel:[0,1]
	s_waitcnt vmcnt(1)
	v_subrev_co_u32_e32 v2, vcc, s24, v2
	v_subb_co_u32_e32 v3, vcc, v3, v30, vcc
	s_waitcnt vmcnt(0)
	v_add_co_u32_e32 v18, vcc, v18, v26
	v_addc_co_u32_e32 v19, vcc, v19, v27, vcc
	v_cmp_lt_i64_e32 vcc, v[18:19], v[2:3]
	s_and_saveexec_b64 s[14:15], vcc
	s_cbranch_execz .LBB346_15
; %bb.12:                               ;   in Loop: Header=BB346_11 Depth=1
	v_lshlrev_b64 v[0:1], 3, v[18:19]
	v_mov_b32_e32 v20, s11
	v_add_co_u32_e32 v22, vcc, s10, v0
	v_addc_co_u32_e32 v23, vcc, v20, v1, vcc
	v_lshlrev_b64 v[0:1], 2, v[18:19]
	v_mov_b32_e32 v20, s9
	v_add_co_u32_e32 v24, vcc, s8, v0
	v_addc_co_u32_e32 v25, vcc, v20, v1, vcc
	v_pk_mov_b32 v[0:1], 0, 0
	s_mov_b64 s[20:21], 0
	v_pk_mov_b32 v[20:21], v[0:1], v[0:1] op_sel:[0,1]
.LBB346_13:                             ;   Parent Loop BB346_11 Depth=1
                                        ; =>  This Inner Loop Header: Depth=2
	global_load_dword v32, v[24:25], off
	global_load_dwordx2 v[36:37], v[22:23], off
	s_waitcnt vmcnt(1)
	v_ashrrev_i32_e32 v33, 31, v32
	v_lshlrev_b64 v[32:33], 4, v[32:33]
	v_add_co_u32_e32 v32, vcc, s25, v32
	v_addc_co_u32_e32 v33, vcc, v31, v33, vcc
	global_load_dwordx4 v[32:35], v[32:33], off
	v_add_co_u32_e32 v18, vcc, 64, v18
	v_addc_co_u32_e32 v19, vcc, 0, v19, vcc
	v_add_co_u32_e32 v22, vcc, 0x200, v22
	v_addc_co_u32_e32 v23, vcc, 0, v23, vcc
	s_waitcnt vmcnt(1)
	v_fma_f64 v[38:39], v[4:5], v[36:37], v[14:15]
	v_fma_f64 v[36:37], v[6:7], v[36:37], v[16:17]
	v_add_co_u32_e32 v24, vcc, 0x100, v24
	v_cmp_ge_i64_e64 s[2:3], v[18:19], v[2:3]
	v_addc_co_u32_e32 v25, vcc, 0, v25, vcc
	s_or_b64 s[20:21], s[2:3], s[20:21]
	s_waitcnt vmcnt(0)
	v_fmac_f64_e32 v[20:21], v[38:39], v[32:33]
	v_fmac_f64_e32 v[0:1], v[36:37], v[32:33]
	v_fma_f64 v[20:21], -v[36:37], v[34:35], v[20:21]
	v_fmac_f64_e32 v[0:1], v[38:39], v[34:35]
	s_andn2_b64 exec, exec, s[20:21]
	s_cbranch_execnz .LBB346_13
; %bb.14:                               ;   in Loop: Header=BB346_11 Depth=1
	s_or_b64 exec, exec, s[20:21]
.LBB346_15:                             ;   in Loop: Header=BB346_11 Depth=1
	s_or_b64 exec, exec, s[14:15]
	v_mov_b32_dpp v2, v20 row_shr:1 row_mask:0xf bank_mask:0xf
	v_mov_b32_dpp v3, v21 row_shr:1 row_mask:0xf bank_mask:0xf
	v_add_f64 v[2:3], v[20:21], v[2:3]
	v_mov_b32_dpp v20, v0 row_shr:1 row_mask:0xf bank_mask:0xf
	v_mov_b32_dpp v21, v1 row_shr:1 row_mask:0xf bank_mask:0xf
	v_add_f64 v[0:1], v[0:1], v[20:21]
	v_mov_b32_dpp v18, v2 row_shr:2 row_mask:0xf bank_mask:0xf
	v_mov_b32_dpp v19, v3 row_shr:2 row_mask:0xf bank_mask:0xf
	v_mov_b32_dpp v20, v0 row_shr:2 row_mask:0xf bank_mask:0xf
	v_mov_b32_dpp v21, v1 row_shr:2 row_mask:0xf bank_mask:0xf
	v_add_f64 v[2:3], v[2:3], v[18:19]
	v_add_f64 v[0:1], v[0:1], v[20:21]
	s_nop 0
	v_mov_b32_dpp v18, v2 row_shr:4 row_mask:0xf bank_mask:0xe
	v_mov_b32_dpp v19, v3 row_shr:4 row_mask:0xf bank_mask:0xe
	v_mov_b32_dpp v20, v0 row_shr:4 row_mask:0xf bank_mask:0xe
	v_mov_b32_dpp v21, v1 row_shr:4 row_mask:0xf bank_mask:0xe
	v_add_f64 v[2:3], v[2:3], v[18:19]
	v_add_f64 v[0:1], v[0:1], v[20:21]
	s_nop 0
	;; [unrolled: 7-line block ×3, first 2 shown]
	v_mov_b32_dpp v18, v2 row_bcast:15 row_mask:0xa bank_mask:0xf
	v_mov_b32_dpp v19, v3 row_bcast:15 row_mask:0xa bank_mask:0xf
	;; [unrolled: 1-line block ×4, first 2 shown]
	v_add_f64 v[2:3], v[2:3], v[18:19]
	v_add_f64 v[20:21], v[0:1], v[20:21]
	s_nop 0
	v_mov_b32_dpp v18, v2 row_bcast:31 row_mask:0xc bank_mask:0xf
	v_mov_b32_dpp v19, v3 row_bcast:31 row_mask:0xc bank_mask:0xf
	;; [unrolled: 1-line block ×4, first 2 shown]
	s_and_saveexec_b64 s[2:3], s[0:1]
	s_cbranch_execz .LBB346_10
; %bb.16:                               ;   in Loop: Header=BB346_11 Depth=1
	v_add_f64 v[0:1], v[2:3], v[18:19]
	v_lshlrev_b64 v[18:19], 4, v[12:13]
	v_mov_b32_e32 v13, s5
	v_add_co_u32_e32 v18, vcc, s4, v18
	v_add_f64 v[2:3], v[20:21], v[22:23]
	v_addc_co_u32_e32 v19, vcc, v13, v19, vcc
	s_and_saveexec_b64 s[14:15], s[12:13]
	s_cbranch_execz .LBB346_9
; %bb.17:                               ;   in Loop: Header=BB346_11 Depth=1
	global_load_dwordx4 v[20:23], v[18:19], off
	s_waitcnt vmcnt(0)
	v_fmac_f64_e32 v[0:1], v[8:9], v[20:21]
	v_fmac_f64_e32 v[2:3], v[10:11], v[20:21]
	v_fma_f64 v[0:1], -v[10:11], v[22:23], v[0:1]
	v_fmac_f64_e32 v[2:3], v[8:9], v[22:23]
	s_branch .LBB346_9
.LBB346_18:
	s_endpgm
	.section	.rodata,"a",@progbits
	.p2align	6, 0x0
	.amdhsa_kernel _ZN9rocsparseL21csrmvn_general_kernelILj256ELj64Elid21rocsparse_complex_numIdES2_S2_EEvbT2_NS_24const_host_device_scalarIT6_EEPKT1_S9_PKS3_PKT3_PKT4_S6_PT5_21rocsparse_index_base_b
		.amdhsa_group_segment_fixed_size 4096
		.amdhsa_private_segment_fixed_size 0
		.amdhsa_kernarg_size 352
		.amdhsa_user_sgpr_count 8
		.amdhsa_user_sgpr_private_segment_buffer 1
		.amdhsa_user_sgpr_dispatch_ptr 1
		.amdhsa_user_sgpr_queue_ptr 0
		.amdhsa_user_sgpr_kernarg_segment_ptr 1
		.amdhsa_user_sgpr_dispatch_id 0
		.amdhsa_user_sgpr_flat_scratch_init 0
		.amdhsa_user_sgpr_kernarg_preload_length 0
		.amdhsa_user_sgpr_kernarg_preload_offset 0
		.amdhsa_user_sgpr_private_segment_size 0
		.amdhsa_uses_dynamic_stack 0
		.amdhsa_system_sgpr_private_segment_wavefront_offset 0
		.amdhsa_system_sgpr_workgroup_id_x 1
		.amdhsa_system_sgpr_workgroup_id_y 0
		.amdhsa_system_sgpr_workgroup_id_z 0
		.amdhsa_system_sgpr_workgroup_info 0
		.amdhsa_system_vgpr_workitem_id 2
		.amdhsa_next_free_vgpr 40
		.amdhsa_next_free_sgpr 26
		.amdhsa_accum_offset 40
		.amdhsa_reserve_vcc 1
		.amdhsa_reserve_flat_scratch 0
		.amdhsa_float_round_mode_32 0
		.amdhsa_float_round_mode_16_64 0
		.amdhsa_float_denorm_mode_32 3
		.amdhsa_float_denorm_mode_16_64 3
		.amdhsa_dx10_clamp 1
		.amdhsa_ieee_mode 1
		.amdhsa_fp16_overflow 0
		.amdhsa_tg_split 0
		.amdhsa_exception_fp_ieee_invalid_op 0
		.amdhsa_exception_fp_denorm_src 0
		.amdhsa_exception_fp_ieee_div_zero 0
		.amdhsa_exception_fp_ieee_overflow 0
		.amdhsa_exception_fp_ieee_underflow 0
		.amdhsa_exception_fp_ieee_inexact 0
		.amdhsa_exception_int_div_zero 0
	.end_amdhsa_kernel
	.section	.text._ZN9rocsparseL21csrmvn_general_kernelILj256ELj64Elid21rocsparse_complex_numIdES2_S2_EEvbT2_NS_24const_host_device_scalarIT6_EEPKT1_S9_PKS3_PKT3_PKT4_S6_PT5_21rocsparse_index_base_b,"axG",@progbits,_ZN9rocsparseL21csrmvn_general_kernelILj256ELj64Elid21rocsparse_complex_numIdES2_S2_EEvbT2_NS_24const_host_device_scalarIT6_EEPKT1_S9_PKS3_PKT3_PKT4_S6_PT5_21rocsparse_index_base_b,comdat
.Lfunc_end346:
	.size	_ZN9rocsparseL21csrmvn_general_kernelILj256ELj64Elid21rocsparse_complex_numIdES2_S2_EEvbT2_NS_24const_host_device_scalarIT6_EEPKT1_S9_PKS3_PKT3_PKT4_S6_PT5_21rocsparse_index_base_b, .Lfunc_end346-_ZN9rocsparseL21csrmvn_general_kernelILj256ELj64Elid21rocsparse_complex_numIdES2_S2_EEvbT2_NS_24const_host_device_scalarIT6_EEPKT1_S9_PKS3_PKT3_PKT4_S6_PT5_21rocsparse_index_base_b
                                        ; -- End function
	.section	.AMDGPU.csdata,"",@progbits
; Kernel info:
; codeLenInByte = 1236
; NumSgprs: 30
; NumVgprs: 40
; NumAgprs: 0
; TotalNumVgprs: 40
; ScratchSize: 0
; MemoryBound: 0
; FloatMode: 240
; IeeeMode: 1
; LDSByteSize: 4096 bytes/workgroup (compile time only)
; SGPRBlocks: 3
; VGPRBlocks: 4
; NumSGPRsForWavesPerEU: 30
; NumVGPRsForWavesPerEU: 40
; AccumOffset: 40
; Occupancy: 8
; WaveLimiterHint : 1
; COMPUTE_PGM_RSRC2:SCRATCH_EN: 0
; COMPUTE_PGM_RSRC2:USER_SGPR: 8
; COMPUTE_PGM_RSRC2:TRAP_HANDLER: 0
; COMPUTE_PGM_RSRC2:TGID_X_EN: 1
; COMPUTE_PGM_RSRC2:TGID_Y_EN: 0
; COMPUTE_PGM_RSRC2:TGID_Z_EN: 0
; COMPUTE_PGM_RSRC2:TIDIG_COMP_CNT: 2
; COMPUTE_PGM_RSRC3_GFX90A:ACCUM_OFFSET: 9
; COMPUTE_PGM_RSRC3_GFX90A:TG_SPLIT: 0
	.section	.text._ZN9rocsparseL21csrmvt_general_kernelILj256ELj4Elid21rocsparse_complex_numIdES2_S2_EEvbbT2_NS_24const_host_device_scalarIT6_EEPKT1_S9_PKS3_PKT3_PKT4_PT5_21rocsparse_index_base_b,"axG",@progbits,_ZN9rocsparseL21csrmvt_general_kernelILj256ELj4Elid21rocsparse_complex_numIdES2_S2_EEvbbT2_NS_24const_host_device_scalarIT6_EEPKT1_S9_PKS3_PKT3_PKT4_PT5_21rocsparse_index_base_b,comdat
	.globl	_ZN9rocsparseL21csrmvt_general_kernelILj256ELj4Elid21rocsparse_complex_numIdES2_S2_EEvbbT2_NS_24const_host_device_scalarIT6_EEPKT1_S9_PKS3_PKT3_PKT4_PT5_21rocsparse_index_base_b ; -- Begin function _ZN9rocsparseL21csrmvt_general_kernelILj256ELj4Elid21rocsparse_complex_numIdES2_S2_EEvbbT2_NS_24const_host_device_scalarIT6_EEPKT1_S9_PKS3_PKT3_PKT4_PT5_21rocsparse_index_base_b
	.p2align	8
	.type	_ZN9rocsparseL21csrmvt_general_kernelILj256ELj4Elid21rocsparse_complex_numIdES2_S2_EEvbbT2_NS_24const_host_device_scalarIT6_EEPKT1_S9_PKS3_PKT3_PKT4_PT5_21rocsparse_index_base_b,@function
_ZN9rocsparseL21csrmvt_general_kernelILj256ELj4Elid21rocsparse_complex_numIdES2_S2_EEvbbT2_NS_24const_host_device_scalarIT6_EEPKT1_S9_PKS3_PKT3_PKT4_PT5_21rocsparse_index_base_b: ; @_ZN9rocsparseL21csrmvt_general_kernelILj256ELj4Elid21rocsparse_complex_numIdES2_S2_EEvbbT2_NS_24const_host_device_scalarIT6_EEPKT1_S9_PKS3_PKT3_PKT4_PT5_21rocsparse_index_base_b
; %bb.0:
	s_load_dwordx2 s[2:3], s[6:7], 0x48
	s_load_dwordx2 s[0:1], s[4:5], 0x4
	s_load_dwordx8 s[12:19], s[6:7], 0x8
	v_and_b32_e32 v1, 0x3ff, v0
	v_bfe_u32 v3, v0, 10, 10
	s_waitcnt lgkmcnt(0)
	s_and_b32 s3, 1, s3
	s_lshr_b32 s0, s0, 16
	s_mul_i32 s0, s0, s1
	v_mul_lo_u32 v2, s0, v1
	s_cmp_eq_u32 s3, 1
	v_mad_u32_u24 v2, v3, s1, v2
	v_bfe_u32 v0, v0, 20, 10
	v_add_lshl_u32 v0, v2, v0, 3
	v_pk_mov_b32 v[2:3], s[12:13], s[12:13] op_sel:[0,1]
	s_cselect_b64 vcc, -1, 0
	ds_write_b64 v0, v[2:3]
	s_mov_b64 s[0:1], src_shared_base
	v_cndmask_b32_e32 v2, v2, v0, vcc
	s_and_b64 vcc, vcc, exec
	s_cselect_b32 s0, s1, s13
	v_mov_b32_e32 v3, s0
	flat_load_dwordx2 v[4:5], v[2:3]
	v_pk_mov_b32 v[6:7], s[14:15], s[14:15] op_sel:[0,1]
	s_cbranch_vccnz .LBB347_2
; %bb.1:
	v_pk_mov_b32 v[2:3], s[12:13], s[12:13] op_sel:[0,1]
	flat_load_dwordx2 v[6:7], v[2:3] offset:8
.LBB347_2:
	s_waitcnt vmcnt(0) lgkmcnt(0)
	v_cmp_neq_f64_e32 vcc, 0, v[4:5]
	v_cmp_neq_f64_e64 s[0:1], 0, v[6:7]
	s_or_b64 s[0:1], vcc, s[0:1]
	s_and_saveexec_b64 s[4:5], s[0:1]
	s_cbranch_execz .LBB347_27
; %bb.3:
	s_load_dwordx2 s[4:5], s[6:7], 0x0
	s_load_dword s0, s[6:7], 0x50
	s_load_dwordx8 s[20:27], s[6:7], 0x28
	v_lshl_or_b32 v0, s8, 8, v1
	v_lshrrev_b32_e32 v8, 2, v0
	s_waitcnt lgkmcnt(0)
	s_and_b32 s1, s4, 1
	s_lshl_b32 s3, s0, 6
	v_and_b32_e32 v9, 3, v1
	s_cmp_eq_u32 s1, 0
	v_cmp_gt_i32_e64 s[0:1], s5, v8
	s_mov_b64 s[6:7], -1
	s_cbranch_scc0 .LBB347_15
; %bb.4:
	s_and_saveexec_b64 s[6:7], s[0:1]
	s_cbranch_execz .LBB347_14
; %bb.5:
	v_subrev_co_u32_e32 v30, vcc, s2, v9
	s_mov_b32 s4, 0
	v_subb_co_u32_e64 v31, s[8:9], 0, 0, vcc
	s_mov_b32 s10, 0
	s_mov_b64 s[8:9], 0
	v_mov_b32_e32 v32, s17
	v_mov_b32_e32 v33, s19
	;; [unrolled: 1-line block ×3, first 2 shown]
	s_brev_b32 s11, 1
	v_mov_b32_e32 v10, v8
	s_branch .LBB347_7
.LBB347_6:                              ;   in Loop: Header=BB347_7 Depth=1
	s_or_b64 exec, exec, s[12:13]
	v_add_u32_e32 v10, s3, v10
	v_cmp_le_i32_e32 vcc, s5, v10
	s_or_b64 s[8:9], vcc, s[8:9]
	s_andn2_b64 exec, exec, s[8:9]
	s_cbranch_execz .LBB347_14
.LBB347_7:                              ; =>This Loop Header: Depth=1
                                        ;     Child Loop BB347_9 Depth 2
                                        ;       Child Loop BB347_10 Depth 3
                                        ;       Child Loop BB347_12 Depth 3
	v_ashrrev_i32_e32 v11, 31, v10
	v_lshlrev_b64 v[0:1], 3, v[10:11]
	v_add_co_u32_e32 v2, vcc, s18, v0
	v_addc_co_u32_e32 v3, vcc, v33, v1, vcc
	global_load_dwordx2 v[2:3], v[2:3], off
	v_add_co_u32_e32 v0, vcc, s16, v0
	v_addc_co_u32_e32 v1, vcc, v32, v1, vcc
	global_load_dwordx2 v[0:1], v[0:1], off
	s_waitcnt vmcnt(1)
	v_subrev_co_u32_e32 v12, vcc, s2, v2
	v_subb_co_u32_e32 v13, vcc, v3, v34, vcc
	s_waitcnt vmcnt(0)
	v_add_co_u32_e32 v14, vcc, v0, v30
	v_addc_co_u32_e32 v15, vcc, v1, v31, vcc
	v_cmp_lt_i64_e32 vcc, v[14:15], v[12:13]
	s_and_saveexec_b64 s[12:13], vcc
	s_cbranch_execz .LBB347_6
; %bb.8:                                ;   in Loop: Header=BB347_7 Depth=1
	v_lshlrev_b64 v[0:1], 4, v[10:11]
	v_mov_b32_e32 v2, s25
	v_add_co_u32_e32 v0, vcc, s24, v0
	v_addc_co_u32_e32 v1, vcc, v2, v1, vcc
	global_load_dwordx4 v[0:3], v[0:1], off
	s_mov_b64 s[14:15], 0
	s_waitcnt vmcnt(0)
	v_mul_f64 v[16:17], v[2:3], -v[6:7]
	v_mul_f64 v[18:19], v[4:5], v[2:3]
	v_fmac_f64_e32 v[16:17], v[4:5], v[0:1]
	v_fmac_f64_e32 v[18:19], v[6:7], v[0:1]
	v_mul_f64 v[20:21], v[18:19], s[10:11]
	v_mul_f64 v[22:23], v[16:17], 0
.LBB347_9:                              ;   Parent Loop BB347_7 Depth=1
                                        ; =>  This Loop Header: Depth=2
                                        ;       Child Loop BB347_10 Depth 3
                                        ;       Child Loop BB347_12 Depth 3
	v_lshlrev_b64 v[0:1], 2, v[14:15]
	v_mov_b32_e32 v2, s21
	v_add_co_u32_e32 v0, vcc, s20, v0
	v_addc_co_u32_e32 v1, vcc, v2, v1, vcc
	global_load_dword v2, v[0:1], off
	v_lshlrev_b64 v[0:1], 3, v[14:15]
	v_mov_b32_e32 v3, s23
	v_add_co_u32_e32 v0, vcc, s22, v0
	v_addc_co_u32_e32 v1, vcc, v3, v1, vcc
	global_load_dwordx2 v[26:27], v[0:1], off
	v_mov_b32_e32 v11, s27
	s_mov_b64 s[28:29], 0
	s_waitcnt vmcnt(1)
	v_subrev_u32_e32 v0, s2, v2
	v_ashrrev_i32_e32 v1, 31, v0
	v_lshlrev_b64 v[0:1], 4, v[0:1]
	v_add_co_u32_e32 v24, vcc, s26, v0
	v_addc_co_u32_e32 v25, vcc, v11, v1, vcc
	global_load_dwordx2 v[2:3], v[24:25], off
	s_waitcnt vmcnt(1)
	v_fma_f64 v[28:29], v[16:17], v[26:27], v[20:21]
.LBB347_10:                             ;   Parent Loop BB347_7 Depth=1
                                        ;     Parent Loop BB347_9 Depth=2
                                        ; =>    This Inner Loop Header: Depth=3
	s_waitcnt vmcnt(0)
	v_add_f64 v[0:1], v[2:3], v[28:29]
	global_atomic_cmpswap_x2 v[0:1], v[24:25], v[0:3], off glc
	s_waitcnt vmcnt(0)
	v_cmp_eq_u64_e32 vcc, v[0:1], v[2:3]
	s_or_b64 s[28:29], vcc, s[28:29]
	v_pk_mov_b32 v[2:3], v[0:1], v[0:1] op_sel:[0,1]
	s_andn2_b64 exec, exec, s[28:29]
	s_cbranch_execnz .LBB347_10
; %bb.11:                               ;   in Loop: Header=BB347_9 Depth=2
	s_or_b64 exec, exec, s[28:29]
	global_load_dwordx2 v[2:3], v[24:25], off offset:8
	v_fma_f64 v[26:27], v[18:19], v[26:27], v[22:23]
	s_mov_b64 s[28:29], 0
.LBB347_12:                             ;   Parent Loop BB347_7 Depth=1
                                        ;     Parent Loop BB347_9 Depth=2
                                        ; =>    This Inner Loop Header: Depth=3
	s_waitcnt vmcnt(0)
	v_add_f64 v[0:1], v[2:3], v[26:27]
	global_atomic_cmpswap_x2 v[0:1], v[24:25], v[0:3], off offset:8 glc
	s_waitcnt vmcnt(0)
	v_cmp_eq_u64_e32 vcc, v[0:1], v[2:3]
	s_or_b64 s[28:29], vcc, s[28:29]
	v_pk_mov_b32 v[2:3], v[0:1], v[0:1] op_sel:[0,1]
	s_andn2_b64 exec, exec, s[28:29]
	s_cbranch_execnz .LBB347_12
; %bb.13:                               ;   in Loop: Header=BB347_9 Depth=2
	s_or_b64 exec, exec, s[28:29]
	v_add_co_u32_e32 v14, vcc, 4, v14
	v_addc_co_u32_e32 v15, vcc, 0, v15, vcc
	v_cmp_ge_i64_e32 vcc, v[14:15], v[12:13]
	s_or_b64 s[14:15], vcc, s[14:15]
	s_andn2_b64 exec, exec, s[14:15]
	s_cbranch_execnz .LBB347_9
	s_branch .LBB347_6
.LBB347_14:
	s_or_b64 exec, exec, s[6:7]
	s_mov_b64 s[6:7], 0
.LBB347_15:
	s_andn2_b64 vcc, exec, s[6:7]
	s_cbranch_vccnz .LBB347_27
; %bb.16:
	s_and_b64 exec, exec, s[0:1]
	s_cbranch_execz .LBB347_27
; %bb.17:
	v_subrev_co_u32_e32 v28, vcc, s2, v9
	s_mov_b32 s4, 0
	v_subb_co_u32_e64 v29, s[0:1], 0, 0, vcc
	s_mov_b32 s6, 0
	s_mov_b64 s[0:1], 0
	v_mov_b32_e32 v30, s17
	v_mov_b32_e32 v31, s19
	;; [unrolled: 1-line block ×3, first 2 shown]
	s_brev_b32 s7, 1
	s_branch .LBB347_19
.LBB347_18:                             ;   in Loop: Header=BB347_19 Depth=1
	s_or_b64 exec, exec, s[8:9]
	v_add_u32_e32 v8, s3, v8
	v_cmp_le_i32_e32 vcc, s5, v8
	s_or_b64 s[0:1], vcc, s[0:1]
	s_andn2_b64 exec, exec, s[0:1]
	s_cbranch_execz .LBB347_27
.LBB347_19:                             ; =>This Loop Header: Depth=1
                                        ;     Child Loop BB347_22 Depth 2
                                        ;       Child Loop BB347_24 Depth 3
                                        ;       Child Loop BB347_26 Depth 3
	v_ashrrev_i32_e32 v9, 31, v8
	v_lshlrev_b64 v[0:1], 3, v[8:9]
	v_add_co_u32_e32 v2, vcc, s18, v0
	v_addc_co_u32_e32 v3, vcc, v31, v1, vcc
	global_load_dwordx2 v[2:3], v[2:3], off
	v_add_co_u32_e32 v0, vcc, s16, v0
	v_addc_co_u32_e32 v1, vcc, v30, v1, vcc
	global_load_dwordx2 v[0:1], v[0:1], off
	s_waitcnt vmcnt(1)
	v_subrev_co_u32_e32 v10, vcc, s2, v2
	v_subb_co_u32_e32 v11, vcc, v3, v32, vcc
	s_waitcnt vmcnt(0)
	v_add_co_u32_e32 v12, vcc, v0, v28
	v_addc_co_u32_e32 v13, vcc, v1, v29, vcc
	v_cmp_lt_i64_e32 vcc, v[12:13], v[10:11]
	s_and_saveexec_b64 s[8:9], vcc
	s_cbranch_execz .LBB347_18
; %bb.20:                               ;   in Loop: Header=BB347_19 Depth=1
	v_lshlrev_b64 v[0:1], 4, v[8:9]
	v_mov_b32_e32 v2, s25
	v_add_co_u32_e32 v0, vcc, s24, v0
	v_addc_co_u32_e32 v1, vcc, v2, v1, vcc
	global_load_dwordx4 v[0:3], v[0:1], off
	s_mov_b64 s[10:11], 0
	s_waitcnt vmcnt(0)
	v_mul_f64 v[14:15], v[2:3], -v[6:7]
	v_mul_f64 v[16:17], v[4:5], v[2:3]
	v_fmac_f64_e32 v[14:15], v[4:5], v[0:1]
	v_fmac_f64_e32 v[16:17], v[6:7], v[0:1]
	v_mul_f64 v[18:19], v[16:17], s[6:7]
	v_mul_f64 v[20:21], v[14:15], 0
	s_branch .LBB347_22
.LBB347_21:                             ;   in Loop: Header=BB347_22 Depth=2
	s_or_b64 exec, exec, s[12:13]
	v_add_co_u32_e32 v12, vcc, 4, v12
	v_addc_co_u32_e32 v13, vcc, 0, v13, vcc
	v_cmp_ge_i64_e32 vcc, v[12:13], v[10:11]
	s_or_b64 s[10:11], vcc, s[10:11]
	s_andn2_b64 exec, exec, s[10:11]
	s_cbranch_execz .LBB347_18
.LBB347_22:                             ;   Parent Loop BB347_19 Depth=1
                                        ; =>  This Loop Header: Depth=2
                                        ;       Child Loop BB347_24 Depth 3
                                        ;       Child Loop BB347_26 Depth 3
	v_lshlrev_b64 v[0:1], 2, v[12:13]
	v_mov_b32_e32 v2, s21
	v_add_co_u32_e32 v0, vcc, s20, v0
	v_addc_co_u32_e32 v1, vcc, v2, v1, vcc
	global_load_dword v0, v[0:1], off
	s_waitcnt vmcnt(0)
	v_subrev_u32_e32 v0, s2, v0
	v_cmp_ne_u32_e32 vcc, v0, v8
	s_and_saveexec_b64 s[12:13], vcc
	s_cbranch_execz .LBB347_21
; %bb.23:                               ;   in Loop: Header=BB347_22 Depth=2
	v_lshlrev_b64 v[2:3], 3, v[12:13]
	v_mov_b32_e32 v1, s23
	v_add_co_u32_e32 v2, vcc, s22, v2
	v_addc_co_u32_e32 v3, vcc, v1, v3, vcc
	v_ashrrev_i32_e32 v1, 31, v0
	v_lshlrev_b64 v[0:1], 4, v[0:1]
	global_load_dwordx2 v[24:25], v[2:3], off
	v_mov_b32_e32 v2, s27
	v_add_co_u32_e32 v22, vcc, s26, v0
	v_addc_co_u32_e32 v23, vcc, v2, v1, vcc
	global_load_dwordx2 v[2:3], v[22:23], off
	s_mov_b64 s[14:15], 0
	s_waitcnt vmcnt(1)
	v_fma_f64 v[26:27], v[14:15], v[24:25], v[18:19]
.LBB347_24:                             ;   Parent Loop BB347_19 Depth=1
                                        ;     Parent Loop BB347_22 Depth=2
                                        ; =>    This Inner Loop Header: Depth=3
	s_waitcnt vmcnt(0)
	v_add_f64 v[0:1], v[2:3], v[26:27]
	global_atomic_cmpswap_x2 v[0:1], v[22:23], v[0:3], off glc
	s_waitcnt vmcnt(0)
	v_cmp_eq_u64_e32 vcc, v[0:1], v[2:3]
	s_or_b64 s[14:15], vcc, s[14:15]
	v_pk_mov_b32 v[2:3], v[0:1], v[0:1] op_sel:[0,1]
	s_andn2_b64 exec, exec, s[14:15]
	s_cbranch_execnz .LBB347_24
; %bb.25:                               ;   in Loop: Header=BB347_22 Depth=2
	s_or_b64 exec, exec, s[14:15]
	global_load_dwordx2 v[2:3], v[22:23], off offset:8
	v_fma_f64 v[24:25], v[16:17], v[24:25], v[20:21]
	s_mov_b64 s[14:15], 0
.LBB347_26:                             ;   Parent Loop BB347_19 Depth=1
                                        ;     Parent Loop BB347_22 Depth=2
                                        ; =>    This Inner Loop Header: Depth=3
	s_waitcnt vmcnt(0)
	v_add_f64 v[0:1], v[2:3], v[24:25]
	global_atomic_cmpswap_x2 v[0:1], v[22:23], v[0:3], off offset:8 glc
	s_waitcnt vmcnt(0)
	v_cmp_eq_u64_e32 vcc, v[0:1], v[2:3]
	s_or_b64 s[14:15], vcc, s[14:15]
	v_pk_mov_b32 v[2:3], v[0:1], v[0:1] op_sel:[0,1]
	s_andn2_b64 exec, exec, s[14:15]
	s_cbranch_execnz .LBB347_26
	s_branch .LBB347_21
.LBB347_27:
	s_endpgm
	.section	.rodata,"a",@progbits
	.p2align	6, 0x0
	.amdhsa_kernel _ZN9rocsparseL21csrmvt_general_kernelILj256ELj4Elid21rocsparse_complex_numIdES2_S2_EEvbbT2_NS_24const_host_device_scalarIT6_EEPKT1_S9_PKS3_PKT3_PKT4_PT5_21rocsparse_index_base_b
		.amdhsa_group_segment_fixed_size 2048
		.amdhsa_private_segment_fixed_size 0
		.amdhsa_kernarg_size 336
		.amdhsa_user_sgpr_count 8
		.amdhsa_user_sgpr_private_segment_buffer 1
		.amdhsa_user_sgpr_dispatch_ptr 1
		.amdhsa_user_sgpr_queue_ptr 0
		.amdhsa_user_sgpr_kernarg_segment_ptr 1
		.amdhsa_user_sgpr_dispatch_id 0
		.amdhsa_user_sgpr_flat_scratch_init 0
		.amdhsa_user_sgpr_kernarg_preload_length 0
		.amdhsa_user_sgpr_kernarg_preload_offset 0
		.amdhsa_user_sgpr_private_segment_size 0
		.amdhsa_uses_dynamic_stack 0
		.amdhsa_system_sgpr_private_segment_wavefront_offset 0
		.amdhsa_system_sgpr_workgroup_id_x 1
		.amdhsa_system_sgpr_workgroup_id_y 0
		.amdhsa_system_sgpr_workgroup_id_z 0
		.amdhsa_system_sgpr_workgroup_info 0
		.amdhsa_system_vgpr_workitem_id 2
		.amdhsa_next_free_vgpr 35
		.amdhsa_next_free_sgpr 30
		.amdhsa_accum_offset 36
		.amdhsa_reserve_vcc 1
		.amdhsa_reserve_flat_scratch 0
		.amdhsa_float_round_mode_32 0
		.amdhsa_float_round_mode_16_64 0
		.amdhsa_float_denorm_mode_32 3
		.amdhsa_float_denorm_mode_16_64 3
		.amdhsa_dx10_clamp 1
		.amdhsa_ieee_mode 1
		.amdhsa_fp16_overflow 0
		.amdhsa_tg_split 0
		.amdhsa_exception_fp_ieee_invalid_op 0
		.amdhsa_exception_fp_denorm_src 0
		.amdhsa_exception_fp_ieee_div_zero 0
		.amdhsa_exception_fp_ieee_overflow 0
		.amdhsa_exception_fp_ieee_underflow 0
		.amdhsa_exception_fp_ieee_inexact 0
		.amdhsa_exception_int_div_zero 0
	.end_amdhsa_kernel
	.section	.text._ZN9rocsparseL21csrmvt_general_kernelILj256ELj4Elid21rocsparse_complex_numIdES2_S2_EEvbbT2_NS_24const_host_device_scalarIT6_EEPKT1_S9_PKS3_PKT3_PKT4_PT5_21rocsparse_index_base_b,"axG",@progbits,_ZN9rocsparseL21csrmvt_general_kernelILj256ELj4Elid21rocsparse_complex_numIdES2_S2_EEvbbT2_NS_24const_host_device_scalarIT6_EEPKT1_S9_PKS3_PKT3_PKT4_PT5_21rocsparse_index_base_b,comdat
.Lfunc_end347:
	.size	_ZN9rocsparseL21csrmvt_general_kernelILj256ELj4Elid21rocsparse_complex_numIdES2_S2_EEvbbT2_NS_24const_host_device_scalarIT6_EEPKT1_S9_PKS3_PKT3_PKT4_PT5_21rocsparse_index_base_b, .Lfunc_end347-_ZN9rocsparseL21csrmvt_general_kernelILj256ELj4Elid21rocsparse_complex_numIdES2_S2_EEvbbT2_NS_24const_host_device_scalarIT6_EEPKT1_S9_PKS3_PKT3_PKT4_PT5_21rocsparse_index_base_b
                                        ; -- End function
	.section	.AMDGPU.csdata,"",@progbits
; Kernel info:
; codeLenInByte = 1300
; NumSgprs: 34
; NumVgprs: 35
; NumAgprs: 0
; TotalNumVgprs: 35
; ScratchSize: 0
; MemoryBound: 0
; FloatMode: 240
; IeeeMode: 1
; LDSByteSize: 2048 bytes/workgroup (compile time only)
; SGPRBlocks: 4
; VGPRBlocks: 4
; NumSGPRsForWavesPerEU: 34
; NumVGPRsForWavesPerEU: 35
; AccumOffset: 36
; Occupancy: 8
; WaveLimiterHint : 1
; COMPUTE_PGM_RSRC2:SCRATCH_EN: 0
; COMPUTE_PGM_RSRC2:USER_SGPR: 8
; COMPUTE_PGM_RSRC2:TRAP_HANDLER: 0
; COMPUTE_PGM_RSRC2:TGID_X_EN: 1
; COMPUTE_PGM_RSRC2:TGID_Y_EN: 0
; COMPUTE_PGM_RSRC2:TGID_Z_EN: 0
; COMPUTE_PGM_RSRC2:TIDIG_COMP_CNT: 2
; COMPUTE_PGM_RSRC3_GFX90A:ACCUM_OFFSET: 8
; COMPUTE_PGM_RSRC3_GFX90A:TG_SPLIT: 0
	.section	.text._ZN9rocsparseL21csrmvt_general_kernelILj256ELj8Elid21rocsparse_complex_numIdES2_S2_EEvbbT2_NS_24const_host_device_scalarIT6_EEPKT1_S9_PKS3_PKT3_PKT4_PT5_21rocsparse_index_base_b,"axG",@progbits,_ZN9rocsparseL21csrmvt_general_kernelILj256ELj8Elid21rocsparse_complex_numIdES2_S2_EEvbbT2_NS_24const_host_device_scalarIT6_EEPKT1_S9_PKS3_PKT3_PKT4_PT5_21rocsparse_index_base_b,comdat
	.globl	_ZN9rocsparseL21csrmvt_general_kernelILj256ELj8Elid21rocsparse_complex_numIdES2_S2_EEvbbT2_NS_24const_host_device_scalarIT6_EEPKT1_S9_PKS3_PKT3_PKT4_PT5_21rocsparse_index_base_b ; -- Begin function _ZN9rocsparseL21csrmvt_general_kernelILj256ELj8Elid21rocsparse_complex_numIdES2_S2_EEvbbT2_NS_24const_host_device_scalarIT6_EEPKT1_S9_PKS3_PKT3_PKT4_PT5_21rocsparse_index_base_b
	.p2align	8
	.type	_ZN9rocsparseL21csrmvt_general_kernelILj256ELj8Elid21rocsparse_complex_numIdES2_S2_EEvbbT2_NS_24const_host_device_scalarIT6_EEPKT1_S9_PKS3_PKT3_PKT4_PT5_21rocsparse_index_base_b,@function
_ZN9rocsparseL21csrmvt_general_kernelILj256ELj8Elid21rocsparse_complex_numIdES2_S2_EEvbbT2_NS_24const_host_device_scalarIT6_EEPKT1_S9_PKS3_PKT3_PKT4_PT5_21rocsparse_index_base_b: ; @_ZN9rocsparseL21csrmvt_general_kernelILj256ELj8Elid21rocsparse_complex_numIdES2_S2_EEvbbT2_NS_24const_host_device_scalarIT6_EEPKT1_S9_PKS3_PKT3_PKT4_PT5_21rocsparse_index_base_b
; %bb.0:
	s_load_dwordx2 s[2:3], s[6:7], 0x48
	s_load_dwordx2 s[0:1], s[4:5], 0x4
	s_load_dwordx8 s[12:19], s[6:7], 0x8
	v_and_b32_e32 v1, 0x3ff, v0
	v_bfe_u32 v3, v0, 10, 10
	s_waitcnt lgkmcnt(0)
	s_and_b32 s3, 1, s3
	s_lshr_b32 s0, s0, 16
	s_mul_i32 s0, s0, s1
	v_mul_lo_u32 v2, s0, v1
	s_cmp_eq_u32 s3, 1
	v_mad_u32_u24 v2, v3, s1, v2
	v_bfe_u32 v0, v0, 20, 10
	v_add_lshl_u32 v0, v2, v0, 3
	v_pk_mov_b32 v[2:3], s[12:13], s[12:13] op_sel:[0,1]
	s_cselect_b64 vcc, -1, 0
	ds_write_b64 v0, v[2:3]
	s_mov_b64 s[0:1], src_shared_base
	v_cndmask_b32_e32 v2, v2, v0, vcc
	s_and_b64 vcc, vcc, exec
	s_cselect_b32 s0, s1, s13
	v_mov_b32_e32 v3, s0
	flat_load_dwordx2 v[4:5], v[2:3]
	v_pk_mov_b32 v[6:7], s[14:15], s[14:15] op_sel:[0,1]
	s_cbranch_vccnz .LBB348_2
; %bb.1:
	v_pk_mov_b32 v[2:3], s[12:13], s[12:13] op_sel:[0,1]
	flat_load_dwordx2 v[6:7], v[2:3] offset:8
.LBB348_2:
	s_waitcnt vmcnt(0) lgkmcnt(0)
	v_cmp_neq_f64_e32 vcc, 0, v[4:5]
	v_cmp_neq_f64_e64 s[0:1], 0, v[6:7]
	s_or_b64 s[0:1], vcc, s[0:1]
	s_and_saveexec_b64 s[4:5], s[0:1]
	s_cbranch_execz .LBB348_27
; %bb.3:
	s_load_dwordx2 s[4:5], s[6:7], 0x0
	s_load_dword s0, s[6:7], 0x50
	s_load_dwordx8 s[20:27], s[6:7], 0x28
	v_lshl_or_b32 v0, s8, 8, v1
	v_lshrrev_b32_e32 v8, 3, v0
	s_waitcnt lgkmcnt(0)
	s_and_b32 s1, s4, 1
	s_lshl_b32 s3, s0, 5
	v_and_b32_e32 v9, 7, v1
	s_cmp_eq_u32 s1, 0
	v_cmp_gt_i32_e64 s[0:1], s5, v8
	s_mov_b64 s[6:7], -1
	s_cbranch_scc0 .LBB348_15
; %bb.4:
	s_and_saveexec_b64 s[6:7], s[0:1]
	s_cbranch_execz .LBB348_14
; %bb.5:
	v_subrev_co_u32_e32 v30, vcc, s2, v9
	s_mov_b32 s4, 0
	v_subb_co_u32_e64 v31, s[8:9], 0, 0, vcc
	s_mov_b32 s10, 0
	s_mov_b64 s[8:9], 0
	v_mov_b32_e32 v32, s17
	v_mov_b32_e32 v33, s19
	;; [unrolled: 1-line block ×3, first 2 shown]
	s_brev_b32 s11, 1
	v_mov_b32_e32 v10, v8
	s_branch .LBB348_7
.LBB348_6:                              ;   in Loop: Header=BB348_7 Depth=1
	s_or_b64 exec, exec, s[12:13]
	v_add_u32_e32 v10, s3, v10
	v_cmp_le_i32_e32 vcc, s5, v10
	s_or_b64 s[8:9], vcc, s[8:9]
	s_andn2_b64 exec, exec, s[8:9]
	s_cbranch_execz .LBB348_14
.LBB348_7:                              ; =>This Loop Header: Depth=1
                                        ;     Child Loop BB348_9 Depth 2
                                        ;       Child Loop BB348_10 Depth 3
                                        ;       Child Loop BB348_12 Depth 3
	v_ashrrev_i32_e32 v11, 31, v10
	v_lshlrev_b64 v[0:1], 3, v[10:11]
	v_add_co_u32_e32 v2, vcc, s18, v0
	v_addc_co_u32_e32 v3, vcc, v33, v1, vcc
	global_load_dwordx2 v[2:3], v[2:3], off
	v_add_co_u32_e32 v0, vcc, s16, v0
	v_addc_co_u32_e32 v1, vcc, v32, v1, vcc
	global_load_dwordx2 v[0:1], v[0:1], off
	s_waitcnt vmcnt(1)
	v_subrev_co_u32_e32 v12, vcc, s2, v2
	v_subb_co_u32_e32 v13, vcc, v3, v34, vcc
	s_waitcnt vmcnt(0)
	v_add_co_u32_e32 v14, vcc, v0, v30
	v_addc_co_u32_e32 v15, vcc, v1, v31, vcc
	v_cmp_lt_i64_e32 vcc, v[14:15], v[12:13]
	s_and_saveexec_b64 s[12:13], vcc
	s_cbranch_execz .LBB348_6
; %bb.8:                                ;   in Loop: Header=BB348_7 Depth=1
	v_lshlrev_b64 v[0:1], 4, v[10:11]
	v_mov_b32_e32 v2, s25
	v_add_co_u32_e32 v0, vcc, s24, v0
	v_addc_co_u32_e32 v1, vcc, v2, v1, vcc
	global_load_dwordx4 v[0:3], v[0:1], off
	s_mov_b64 s[14:15], 0
	s_waitcnt vmcnt(0)
	v_mul_f64 v[16:17], v[2:3], -v[6:7]
	v_mul_f64 v[18:19], v[4:5], v[2:3]
	v_fmac_f64_e32 v[16:17], v[4:5], v[0:1]
	v_fmac_f64_e32 v[18:19], v[6:7], v[0:1]
	v_mul_f64 v[20:21], v[18:19], s[10:11]
	v_mul_f64 v[22:23], v[16:17], 0
.LBB348_9:                              ;   Parent Loop BB348_7 Depth=1
                                        ; =>  This Loop Header: Depth=2
                                        ;       Child Loop BB348_10 Depth 3
                                        ;       Child Loop BB348_12 Depth 3
	v_lshlrev_b64 v[0:1], 2, v[14:15]
	v_mov_b32_e32 v2, s21
	v_add_co_u32_e32 v0, vcc, s20, v0
	v_addc_co_u32_e32 v1, vcc, v2, v1, vcc
	global_load_dword v2, v[0:1], off
	v_lshlrev_b64 v[0:1], 3, v[14:15]
	v_mov_b32_e32 v3, s23
	v_add_co_u32_e32 v0, vcc, s22, v0
	v_addc_co_u32_e32 v1, vcc, v3, v1, vcc
	global_load_dwordx2 v[26:27], v[0:1], off
	v_mov_b32_e32 v11, s27
	s_mov_b64 s[28:29], 0
	s_waitcnt vmcnt(1)
	v_subrev_u32_e32 v0, s2, v2
	v_ashrrev_i32_e32 v1, 31, v0
	v_lshlrev_b64 v[0:1], 4, v[0:1]
	v_add_co_u32_e32 v24, vcc, s26, v0
	v_addc_co_u32_e32 v25, vcc, v11, v1, vcc
	global_load_dwordx2 v[2:3], v[24:25], off
	s_waitcnt vmcnt(1)
	v_fma_f64 v[28:29], v[16:17], v[26:27], v[20:21]
.LBB348_10:                             ;   Parent Loop BB348_7 Depth=1
                                        ;     Parent Loop BB348_9 Depth=2
                                        ; =>    This Inner Loop Header: Depth=3
	s_waitcnt vmcnt(0)
	v_add_f64 v[0:1], v[2:3], v[28:29]
	global_atomic_cmpswap_x2 v[0:1], v[24:25], v[0:3], off glc
	s_waitcnt vmcnt(0)
	v_cmp_eq_u64_e32 vcc, v[0:1], v[2:3]
	s_or_b64 s[28:29], vcc, s[28:29]
	v_pk_mov_b32 v[2:3], v[0:1], v[0:1] op_sel:[0,1]
	s_andn2_b64 exec, exec, s[28:29]
	s_cbranch_execnz .LBB348_10
; %bb.11:                               ;   in Loop: Header=BB348_9 Depth=2
	s_or_b64 exec, exec, s[28:29]
	global_load_dwordx2 v[2:3], v[24:25], off offset:8
	v_fma_f64 v[26:27], v[18:19], v[26:27], v[22:23]
	s_mov_b64 s[28:29], 0
.LBB348_12:                             ;   Parent Loop BB348_7 Depth=1
                                        ;     Parent Loop BB348_9 Depth=2
                                        ; =>    This Inner Loop Header: Depth=3
	s_waitcnt vmcnt(0)
	v_add_f64 v[0:1], v[2:3], v[26:27]
	global_atomic_cmpswap_x2 v[0:1], v[24:25], v[0:3], off offset:8 glc
	s_waitcnt vmcnt(0)
	v_cmp_eq_u64_e32 vcc, v[0:1], v[2:3]
	s_or_b64 s[28:29], vcc, s[28:29]
	v_pk_mov_b32 v[2:3], v[0:1], v[0:1] op_sel:[0,1]
	s_andn2_b64 exec, exec, s[28:29]
	s_cbranch_execnz .LBB348_12
; %bb.13:                               ;   in Loop: Header=BB348_9 Depth=2
	s_or_b64 exec, exec, s[28:29]
	v_add_co_u32_e32 v14, vcc, 8, v14
	v_addc_co_u32_e32 v15, vcc, 0, v15, vcc
	v_cmp_ge_i64_e32 vcc, v[14:15], v[12:13]
	s_or_b64 s[14:15], vcc, s[14:15]
	s_andn2_b64 exec, exec, s[14:15]
	s_cbranch_execnz .LBB348_9
	s_branch .LBB348_6
.LBB348_14:
	s_or_b64 exec, exec, s[6:7]
	s_mov_b64 s[6:7], 0
.LBB348_15:
	s_andn2_b64 vcc, exec, s[6:7]
	s_cbranch_vccnz .LBB348_27
; %bb.16:
	s_and_b64 exec, exec, s[0:1]
	s_cbranch_execz .LBB348_27
; %bb.17:
	v_subrev_co_u32_e32 v28, vcc, s2, v9
	s_mov_b32 s4, 0
	v_subb_co_u32_e64 v29, s[0:1], 0, 0, vcc
	s_mov_b32 s6, 0
	s_mov_b64 s[0:1], 0
	v_mov_b32_e32 v30, s17
	v_mov_b32_e32 v31, s19
	v_mov_b32_e32 v32, s4
	s_brev_b32 s7, 1
	s_branch .LBB348_19
.LBB348_18:                             ;   in Loop: Header=BB348_19 Depth=1
	s_or_b64 exec, exec, s[8:9]
	v_add_u32_e32 v8, s3, v8
	v_cmp_le_i32_e32 vcc, s5, v8
	s_or_b64 s[0:1], vcc, s[0:1]
	s_andn2_b64 exec, exec, s[0:1]
	s_cbranch_execz .LBB348_27
.LBB348_19:                             ; =>This Loop Header: Depth=1
                                        ;     Child Loop BB348_22 Depth 2
                                        ;       Child Loop BB348_24 Depth 3
                                        ;       Child Loop BB348_26 Depth 3
	v_ashrrev_i32_e32 v9, 31, v8
	v_lshlrev_b64 v[0:1], 3, v[8:9]
	v_add_co_u32_e32 v2, vcc, s18, v0
	v_addc_co_u32_e32 v3, vcc, v31, v1, vcc
	global_load_dwordx2 v[2:3], v[2:3], off
	v_add_co_u32_e32 v0, vcc, s16, v0
	v_addc_co_u32_e32 v1, vcc, v30, v1, vcc
	global_load_dwordx2 v[0:1], v[0:1], off
	s_waitcnt vmcnt(1)
	v_subrev_co_u32_e32 v10, vcc, s2, v2
	v_subb_co_u32_e32 v11, vcc, v3, v32, vcc
	s_waitcnt vmcnt(0)
	v_add_co_u32_e32 v12, vcc, v0, v28
	v_addc_co_u32_e32 v13, vcc, v1, v29, vcc
	v_cmp_lt_i64_e32 vcc, v[12:13], v[10:11]
	s_and_saveexec_b64 s[8:9], vcc
	s_cbranch_execz .LBB348_18
; %bb.20:                               ;   in Loop: Header=BB348_19 Depth=1
	v_lshlrev_b64 v[0:1], 4, v[8:9]
	v_mov_b32_e32 v2, s25
	v_add_co_u32_e32 v0, vcc, s24, v0
	v_addc_co_u32_e32 v1, vcc, v2, v1, vcc
	global_load_dwordx4 v[0:3], v[0:1], off
	s_mov_b64 s[10:11], 0
	s_waitcnt vmcnt(0)
	v_mul_f64 v[14:15], v[2:3], -v[6:7]
	v_mul_f64 v[16:17], v[4:5], v[2:3]
	v_fmac_f64_e32 v[14:15], v[4:5], v[0:1]
	v_fmac_f64_e32 v[16:17], v[6:7], v[0:1]
	v_mul_f64 v[18:19], v[16:17], s[6:7]
	v_mul_f64 v[20:21], v[14:15], 0
	s_branch .LBB348_22
.LBB348_21:                             ;   in Loop: Header=BB348_22 Depth=2
	s_or_b64 exec, exec, s[12:13]
	v_add_co_u32_e32 v12, vcc, 8, v12
	v_addc_co_u32_e32 v13, vcc, 0, v13, vcc
	v_cmp_ge_i64_e32 vcc, v[12:13], v[10:11]
	s_or_b64 s[10:11], vcc, s[10:11]
	s_andn2_b64 exec, exec, s[10:11]
	s_cbranch_execz .LBB348_18
.LBB348_22:                             ;   Parent Loop BB348_19 Depth=1
                                        ; =>  This Loop Header: Depth=2
                                        ;       Child Loop BB348_24 Depth 3
                                        ;       Child Loop BB348_26 Depth 3
	v_lshlrev_b64 v[0:1], 2, v[12:13]
	v_mov_b32_e32 v2, s21
	v_add_co_u32_e32 v0, vcc, s20, v0
	v_addc_co_u32_e32 v1, vcc, v2, v1, vcc
	global_load_dword v0, v[0:1], off
	s_waitcnt vmcnt(0)
	v_subrev_u32_e32 v0, s2, v0
	v_cmp_ne_u32_e32 vcc, v0, v8
	s_and_saveexec_b64 s[12:13], vcc
	s_cbranch_execz .LBB348_21
; %bb.23:                               ;   in Loop: Header=BB348_22 Depth=2
	v_lshlrev_b64 v[2:3], 3, v[12:13]
	v_mov_b32_e32 v1, s23
	v_add_co_u32_e32 v2, vcc, s22, v2
	v_addc_co_u32_e32 v3, vcc, v1, v3, vcc
	v_ashrrev_i32_e32 v1, 31, v0
	v_lshlrev_b64 v[0:1], 4, v[0:1]
	global_load_dwordx2 v[24:25], v[2:3], off
	v_mov_b32_e32 v2, s27
	v_add_co_u32_e32 v22, vcc, s26, v0
	v_addc_co_u32_e32 v23, vcc, v2, v1, vcc
	global_load_dwordx2 v[2:3], v[22:23], off
	s_mov_b64 s[14:15], 0
	s_waitcnt vmcnt(1)
	v_fma_f64 v[26:27], v[14:15], v[24:25], v[18:19]
.LBB348_24:                             ;   Parent Loop BB348_19 Depth=1
                                        ;     Parent Loop BB348_22 Depth=2
                                        ; =>    This Inner Loop Header: Depth=3
	s_waitcnt vmcnt(0)
	v_add_f64 v[0:1], v[2:3], v[26:27]
	global_atomic_cmpswap_x2 v[0:1], v[22:23], v[0:3], off glc
	s_waitcnt vmcnt(0)
	v_cmp_eq_u64_e32 vcc, v[0:1], v[2:3]
	s_or_b64 s[14:15], vcc, s[14:15]
	v_pk_mov_b32 v[2:3], v[0:1], v[0:1] op_sel:[0,1]
	s_andn2_b64 exec, exec, s[14:15]
	s_cbranch_execnz .LBB348_24
; %bb.25:                               ;   in Loop: Header=BB348_22 Depth=2
	s_or_b64 exec, exec, s[14:15]
	global_load_dwordx2 v[2:3], v[22:23], off offset:8
	v_fma_f64 v[24:25], v[16:17], v[24:25], v[20:21]
	s_mov_b64 s[14:15], 0
.LBB348_26:                             ;   Parent Loop BB348_19 Depth=1
                                        ;     Parent Loop BB348_22 Depth=2
                                        ; =>    This Inner Loop Header: Depth=3
	s_waitcnt vmcnt(0)
	v_add_f64 v[0:1], v[2:3], v[24:25]
	global_atomic_cmpswap_x2 v[0:1], v[22:23], v[0:3], off offset:8 glc
	s_waitcnt vmcnt(0)
	v_cmp_eq_u64_e32 vcc, v[0:1], v[2:3]
	s_or_b64 s[14:15], vcc, s[14:15]
	v_pk_mov_b32 v[2:3], v[0:1], v[0:1] op_sel:[0,1]
	s_andn2_b64 exec, exec, s[14:15]
	s_cbranch_execnz .LBB348_26
	s_branch .LBB348_21
.LBB348_27:
	s_endpgm
	.section	.rodata,"a",@progbits
	.p2align	6, 0x0
	.amdhsa_kernel _ZN9rocsparseL21csrmvt_general_kernelILj256ELj8Elid21rocsparse_complex_numIdES2_S2_EEvbbT2_NS_24const_host_device_scalarIT6_EEPKT1_S9_PKS3_PKT3_PKT4_PT5_21rocsparse_index_base_b
		.amdhsa_group_segment_fixed_size 2048
		.amdhsa_private_segment_fixed_size 0
		.amdhsa_kernarg_size 336
		.amdhsa_user_sgpr_count 8
		.amdhsa_user_sgpr_private_segment_buffer 1
		.amdhsa_user_sgpr_dispatch_ptr 1
		.amdhsa_user_sgpr_queue_ptr 0
		.amdhsa_user_sgpr_kernarg_segment_ptr 1
		.amdhsa_user_sgpr_dispatch_id 0
		.amdhsa_user_sgpr_flat_scratch_init 0
		.amdhsa_user_sgpr_kernarg_preload_length 0
		.amdhsa_user_sgpr_kernarg_preload_offset 0
		.amdhsa_user_sgpr_private_segment_size 0
		.amdhsa_uses_dynamic_stack 0
		.amdhsa_system_sgpr_private_segment_wavefront_offset 0
		.amdhsa_system_sgpr_workgroup_id_x 1
		.amdhsa_system_sgpr_workgroup_id_y 0
		.amdhsa_system_sgpr_workgroup_id_z 0
		.amdhsa_system_sgpr_workgroup_info 0
		.amdhsa_system_vgpr_workitem_id 2
		.amdhsa_next_free_vgpr 35
		.amdhsa_next_free_sgpr 30
		.amdhsa_accum_offset 36
		.amdhsa_reserve_vcc 1
		.amdhsa_reserve_flat_scratch 0
		.amdhsa_float_round_mode_32 0
		.amdhsa_float_round_mode_16_64 0
		.amdhsa_float_denorm_mode_32 3
		.amdhsa_float_denorm_mode_16_64 3
		.amdhsa_dx10_clamp 1
		.amdhsa_ieee_mode 1
		.amdhsa_fp16_overflow 0
		.amdhsa_tg_split 0
		.amdhsa_exception_fp_ieee_invalid_op 0
		.amdhsa_exception_fp_denorm_src 0
		.amdhsa_exception_fp_ieee_div_zero 0
		.amdhsa_exception_fp_ieee_overflow 0
		.amdhsa_exception_fp_ieee_underflow 0
		.amdhsa_exception_fp_ieee_inexact 0
		.amdhsa_exception_int_div_zero 0
	.end_amdhsa_kernel
	.section	.text._ZN9rocsparseL21csrmvt_general_kernelILj256ELj8Elid21rocsparse_complex_numIdES2_S2_EEvbbT2_NS_24const_host_device_scalarIT6_EEPKT1_S9_PKS3_PKT3_PKT4_PT5_21rocsparse_index_base_b,"axG",@progbits,_ZN9rocsparseL21csrmvt_general_kernelILj256ELj8Elid21rocsparse_complex_numIdES2_S2_EEvbbT2_NS_24const_host_device_scalarIT6_EEPKT1_S9_PKS3_PKT3_PKT4_PT5_21rocsparse_index_base_b,comdat
.Lfunc_end348:
	.size	_ZN9rocsparseL21csrmvt_general_kernelILj256ELj8Elid21rocsparse_complex_numIdES2_S2_EEvbbT2_NS_24const_host_device_scalarIT6_EEPKT1_S9_PKS3_PKT3_PKT4_PT5_21rocsparse_index_base_b, .Lfunc_end348-_ZN9rocsparseL21csrmvt_general_kernelILj256ELj8Elid21rocsparse_complex_numIdES2_S2_EEvbbT2_NS_24const_host_device_scalarIT6_EEPKT1_S9_PKS3_PKT3_PKT4_PT5_21rocsparse_index_base_b
                                        ; -- End function
	.section	.AMDGPU.csdata,"",@progbits
; Kernel info:
; codeLenInByte = 1300
; NumSgprs: 34
; NumVgprs: 35
; NumAgprs: 0
; TotalNumVgprs: 35
; ScratchSize: 0
; MemoryBound: 0
; FloatMode: 240
; IeeeMode: 1
; LDSByteSize: 2048 bytes/workgroup (compile time only)
; SGPRBlocks: 4
; VGPRBlocks: 4
; NumSGPRsForWavesPerEU: 34
; NumVGPRsForWavesPerEU: 35
; AccumOffset: 36
; Occupancy: 8
; WaveLimiterHint : 1
; COMPUTE_PGM_RSRC2:SCRATCH_EN: 0
; COMPUTE_PGM_RSRC2:USER_SGPR: 8
; COMPUTE_PGM_RSRC2:TRAP_HANDLER: 0
; COMPUTE_PGM_RSRC2:TGID_X_EN: 1
; COMPUTE_PGM_RSRC2:TGID_Y_EN: 0
; COMPUTE_PGM_RSRC2:TGID_Z_EN: 0
; COMPUTE_PGM_RSRC2:TIDIG_COMP_CNT: 2
; COMPUTE_PGM_RSRC3_GFX90A:ACCUM_OFFSET: 8
; COMPUTE_PGM_RSRC3_GFX90A:TG_SPLIT: 0
	.section	.text._ZN9rocsparseL21csrmvt_general_kernelILj256ELj16Elid21rocsparse_complex_numIdES2_S2_EEvbbT2_NS_24const_host_device_scalarIT6_EEPKT1_S9_PKS3_PKT3_PKT4_PT5_21rocsparse_index_base_b,"axG",@progbits,_ZN9rocsparseL21csrmvt_general_kernelILj256ELj16Elid21rocsparse_complex_numIdES2_S2_EEvbbT2_NS_24const_host_device_scalarIT6_EEPKT1_S9_PKS3_PKT3_PKT4_PT5_21rocsparse_index_base_b,comdat
	.globl	_ZN9rocsparseL21csrmvt_general_kernelILj256ELj16Elid21rocsparse_complex_numIdES2_S2_EEvbbT2_NS_24const_host_device_scalarIT6_EEPKT1_S9_PKS3_PKT3_PKT4_PT5_21rocsparse_index_base_b ; -- Begin function _ZN9rocsparseL21csrmvt_general_kernelILj256ELj16Elid21rocsparse_complex_numIdES2_S2_EEvbbT2_NS_24const_host_device_scalarIT6_EEPKT1_S9_PKS3_PKT3_PKT4_PT5_21rocsparse_index_base_b
	.p2align	8
	.type	_ZN9rocsparseL21csrmvt_general_kernelILj256ELj16Elid21rocsparse_complex_numIdES2_S2_EEvbbT2_NS_24const_host_device_scalarIT6_EEPKT1_S9_PKS3_PKT3_PKT4_PT5_21rocsparse_index_base_b,@function
_ZN9rocsparseL21csrmvt_general_kernelILj256ELj16Elid21rocsparse_complex_numIdES2_S2_EEvbbT2_NS_24const_host_device_scalarIT6_EEPKT1_S9_PKS3_PKT3_PKT4_PT5_21rocsparse_index_base_b: ; @_ZN9rocsparseL21csrmvt_general_kernelILj256ELj16Elid21rocsparse_complex_numIdES2_S2_EEvbbT2_NS_24const_host_device_scalarIT6_EEPKT1_S9_PKS3_PKT3_PKT4_PT5_21rocsparse_index_base_b
; %bb.0:
	s_load_dwordx2 s[2:3], s[6:7], 0x48
	s_load_dwordx2 s[0:1], s[4:5], 0x4
	s_load_dwordx8 s[12:19], s[6:7], 0x8
	v_and_b32_e32 v1, 0x3ff, v0
	v_bfe_u32 v3, v0, 10, 10
	s_waitcnt lgkmcnt(0)
	s_and_b32 s3, 1, s3
	s_lshr_b32 s0, s0, 16
	s_mul_i32 s0, s0, s1
	v_mul_lo_u32 v2, s0, v1
	s_cmp_eq_u32 s3, 1
	v_mad_u32_u24 v2, v3, s1, v2
	v_bfe_u32 v0, v0, 20, 10
	v_add_lshl_u32 v0, v2, v0, 3
	v_pk_mov_b32 v[2:3], s[12:13], s[12:13] op_sel:[0,1]
	s_cselect_b64 vcc, -1, 0
	ds_write_b64 v0, v[2:3]
	s_mov_b64 s[0:1], src_shared_base
	v_cndmask_b32_e32 v2, v2, v0, vcc
	s_and_b64 vcc, vcc, exec
	s_cselect_b32 s0, s1, s13
	v_mov_b32_e32 v3, s0
	flat_load_dwordx2 v[4:5], v[2:3]
	v_pk_mov_b32 v[6:7], s[14:15], s[14:15] op_sel:[0,1]
	s_cbranch_vccnz .LBB349_2
; %bb.1:
	v_pk_mov_b32 v[2:3], s[12:13], s[12:13] op_sel:[0,1]
	flat_load_dwordx2 v[6:7], v[2:3] offset:8
.LBB349_2:
	s_waitcnt vmcnt(0) lgkmcnt(0)
	v_cmp_neq_f64_e32 vcc, 0, v[4:5]
	v_cmp_neq_f64_e64 s[0:1], 0, v[6:7]
	s_or_b64 s[0:1], vcc, s[0:1]
	s_and_saveexec_b64 s[4:5], s[0:1]
	s_cbranch_execz .LBB349_27
; %bb.3:
	s_load_dwordx2 s[4:5], s[6:7], 0x0
	s_load_dword s0, s[6:7], 0x50
	s_load_dwordx8 s[20:27], s[6:7], 0x28
	v_lshl_or_b32 v0, s8, 8, v1
	v_lshrrev_b32_e32 v8, 4, v0
	s_waitcnt lgkmcnt(0)
	s_and_b32 s1, s4, 1
	s_lshl_b32 s3, s0, 4
	v_and_b32_e32 v9, 15, v1
	s_cmp_eq_u32 s1, 0
	v_cmp_gt_i32_e64 s[0:1], s5, v8
	s_mov_b64 s[6:7], -1
	s_cbranch_scc0 .LBB349_15
; %bb.4:
	s_and_saveexec_b64 s[6:7], s[0:1]
	s_cbranch_execz .LBB349_14
; %bb.5:
	v_subrev_co_u32_e32 v30, vcc, s2, v9
	s_mov_b32 s4, 0
	v_subb_co_u32_e64 v31, s[8:9], 0, 0, vcc
	s_mov_b32 s10, 0
	s_mov_b64 s[8:9], 0
	v_mov_b32_e32 v32, s17
	v_mov_b32_e32 v33, s19
	;; [unrolled: 1-line block ×3, first 2 shown]
	s_brev_b32 s11, 1
	v_mov_b32_e32 v10, v8
	s_branch .LBB349_7
.LBB349_6:                              ;   in Loop: Header=BB349_7 Depth=1
	s_or_b64 exec, exec, s[12:13]
	v_add_u32_e32 v10, s3, v10
	v_cmp_le_i32_e32 vcc, s5, v10
	s_or_b64 s[8:9], vcc, s[8:9]
	s_andn2_b64 exec, exec, s[8:9]
	s_cbranch_execz .LBB349_14
.LBB349_7:                              ; =>This Loop Header: Depth=1
                                        ;     Child Loop BB349_9 Depth 2
                                        ;       Child Loop BB349_10 Depth 3
                                        ;       Child Loop BB349_12 Depth 3
	v_ashrrev_i32_e32 v11, 31, v10
	v_lshlrev_b64 v[0:1], 3, v[10:11]
	v_add_co_u32_e32 v2, vcc, s18, v0
	v_addc_co_u32_e32 v3, vcc, v33, v1, vcc
	global_load_dwordx2 v[2:3], v[2:3], off
	v_add_co_u32_e32 v0, vcc, s16, v0
	v_addc_co_u32_e32 v1, vcc, v32, v1, vcc
	global_load_dwordx2 v[0:1], v[0:1], off
	s_waitcnt vmcnt(1)
	v_subrev_co_u32_e32 v12, vcc, s2, v2
	v_subb_co_u32_e32 v13, vcc, v3, v34, vcc
	s_waitcnt vmcnt(0)
	v_add_co_u32_e32 v14, vcc, v0, v30
	v_addc_co_u32_e32 v15, vcc, v1, v31, vcc
	v_cmp_lt_i64_e32 vcc, v[14:15], v[12:13]
	s_and_saveexec_b64 s[12:13], vcc
	s_cbranch_execz .LBB349_6
; %bb.8:                                ;   in Loop: Header=BB349_7 Depth=1
	v_lshlrev_b64 v[0:1], 4, v[10:11]
	v_mov_b32_e32 v2, s25
	v_add_co_u32_e32 v0, vcc, s24, v0
	v_addc_co_u32_e32 v1, vcc, v2, v1, vcc
	global_load_dwordx4 v[0:3], v[0:1], off
	s_mov_b64 s[14:15], 0
	s_waitcnt vmcnt(0)
	v_mul_f64 v[16:17], v[2:3], -v[6:7]
	v_mul_f64 v[18:19], v[4:5], v[2:3]
	v_fmac_f64_e32 v[16:17], v[4:5], v[0:1]
	v_fmac_f64_e32 v[18:19], v[6:7], v[0:1]
	v_mul_f64 v[20:21], v[18:19], s[10:11]
	v_mul_f64 v[22:23], v[16:17], 0
.LBB349_9:                              ;   Parent Loop BB349_7 Depth=1
                                        ; =>  This Loop Header: Depth=2
                                        ;       Child Loop BB349_10 Depth 3
                                        ;       Child Loop BB349_12 Depth 3
	v_lshlrev_b64 v[0:1], 2, v[14:15]
	v_mov_b32_e32 v2, s21
	v_add_co_u32_e32 v0, vcc, s20, v0
	v_addc_co_u32_e32 v1, vcc, v2, v1, vcc
	global_load_dword v2, v[0:1], off
	v_lshlrev_b64 v[0:1], 3, v[14:15]
	v_mov_b32_e32 v3, s23
	v_add_co_u32_e32 v0, vcc, s22, v0
	v_addc_co_u32_e32 v1, vcc, v3, v1, vcc
	global_load_dwordx2 v[26:27], v[0:1], off
	v_mov_b32_e32 v11, s27
	s_mov_b64 s[28:29], 0
	s_waitcnt vmcnt(1)
	v_subrev_u32_e32 v0, s2, v2
	v_ashrrev_i32_e32 v1, 31, v0
	v_lshlrev_b64 v[0:1], 4, v[0:1]
	v_add_co_u32_e32 v24, vcc, s26, v0
	v_addc_co_u32_e32 v25, vcc, v11, v1, vcc
	global_load_dwordx2 v[2:3], v[24:25], off
	s_waitcnt vmcnt(1)
	v_fma_f64 v[28:29], v[16:17], v[26:27], v[20:21]
.LBB349_10:                             ;   Parent Loop BB349_7 Depth=1
                                        ;     Parent Loop BB349_9 Depth=2
                                        ; =>    This Inner Loop Header: Depth=3
	s_waitcnt vmcnt(0)
	v_add_f64 v[0:1], v[2:3], v[28:29]
	global_atomic_cmpswap_x2 v[0:1], v[24:25], v[0:3], off glc
	s_waitcnt vmcnt(0)
	v_cmp_eq_u64_e32 vcc, v[0:1], v[2:3]
	s_or_b64 s[28:29], vcc, s[28:29]
	v_pk_mov_b32 v[2:3], v[0:1], v[0:1] op_sel:[0,1]
	s_andn2_b64 exec, exec, s[28:29]
	s_cbranch_execnz .LBB349_10
; %bb.11:                               ;   in Loop: Header=BB349_9 Depth=2
	s_or_b64 exec, exec, s[28:29]
	global_load_dwordx2 v[2:3], v[24:25], off offset:8
	v_fma_f64 v[26:27], v[18:19], v[26:27], v[22:23]
	s_mov_b64 s[28:29], 0
.LBB349_12:                             ;   Parent Loop BB349_7 Depth=1
                                        ;     Parent Loop BB349_9 Depth=2
                                        ; =>    This Inner Loop Header: Depth=3
	s_waitcnt vmcnt(0)
	v_add_f64 v[0:1], v[2:3], v[26:27]
	global_atomic_cmpswap_x2 v[0:1], v[24:25], v[0:3], off offset:8 glc
	s_waitcnt vmcnt(0)
	v_cmp_eq_u64_e32 vcc, v[0:1], v[2:3]
	s_or_b64 s[28:29], vcc, s[28:29]
	v_pk_mov_b32 v[2:3], v[0:1], v[0:1] op_sel:[0,1]
	s_andn2_b64 exec, exec, s[28:29]
	s_cbranch_execnz .LBB349_12
; %bb.13:                               ;   in Loop: Header=BB349_9 Depth=2
	s_or_b64 exec, exec, s[28:29]
	v_add_co_u32_e32 v14, vcc, 16, v14
	v_addc_co_u32_e32 v15, vcc, 0, v15, vcc
	v_cmp_ge_i64_e32 vcc, v[14:15], v[12:13]
	s_or_b64 s[14:15], vcc, s[14:15]
	s_andn2_b64 exec, exec, s[14:15]
	s_cbranch_execnz .LBB349_9
	s_branch .LBB349_6
.LBB349_14:
	s_or_b64 exec, exec, s[6:7]
	s_mov_b64 s[6:7], 0
.LBB349_15:
	s_andn2_b64 vcc, exec, s[6:7]
	s_cbranch_vccnz .LBB349_27
; %bb.16:
	s_and_b64 exec, exec, s[0:1]
	s_cbranch_execz .LBB349_27
; %bb.17:
	v_subrev_co_u32_e32 v28, vcc, s2, v9
	s_mov_b32 s4, 0
	v_subb_co_u32_e64 v29, s[0:1], 0, 0, vcc
	s_mov_b32 s6, 0
	s_mov_b64 s[0:1], 0
	v_mov_b32_e32 v30, s17
	v_mov_b32_e32 v31, s19
	;; [unrolled: 1-line block ×3, first 2 shown]
	s_brev_b32 s7, 1
	s_branch .LBB349_19
.LBB349_18:                             ;   in Loop: Header=BB349_19 Depth=1
	s_or_b64 exec, exec, s[8:9]
	v_add_u32_e32 v8, s3, v8
	v_cmp_le_i32_e32 vcc, s5, v8
	s_or_b64 s[0:1], vcc, s[0:1]
	s_andn2_b64 exec, exec, s[0:1]
	s_cbranch_execz .LBB349_27
.LBB349_19:                             ; =>This Loop Header: Depth=1
                                        ;     Child Loop BB349_22 Depth 2
                                        ;       Child Loop BB349_24 Depth 3
                                        ;       Child Loop BB349_26 Depth 3
	v_ashrrev_i32_e32 v9, 31, v8
	v_lshlrev_b64 v[0:1], 3, v[8:9]
	v_add_co_u32_e32 v2, vcc, s18, v0
	v_addc_co_u32_e32 v3, vcc, v31, v1, vcc
	global_load_dwordx2 v[2:3], v[2:3], off
	v_add_co_u32_e32 v0, vcc, s16, v0
	v_addc_co_u32_e32 v1, vcc, v30, v1, vcc
	global_load_dwordx2 v[0:1], v[0:1], off
	s_waitcnt vmcnt(1)
	v_subrev_co_u32_e32 v10, vcc, s2, v2
	v_subb_co_u32_e32 v11, vcc, v3, v32, vcc
	s_waitcnt vmcnt(0)
	v_add_co_u32_e32 v12, vcc, v0, v28
	v_addc_co_u32_e32 v13, vcc, v1, v29, vcc
	v_cmp_lt_i64_e32 vcc, v[12:13], v[10:11]
	s_and_saveexec_b64 s[8:9], vcc
	s_cbranch_execz .LBB349_18
; %bb.20:                               ;   in Loop: Header=BB349_19 Depth=1
	v_lshlrev_b64 v[0:1], 4, v[8:9]
	v_mov_b32_e32 v2, s25
	v_add_co_u32_e32 v0, vcc, s24, v0
	v_addc_co_u32_e32 v1, vcc, v2, v1, vcc
	global_load_dwordx4 v[0:3], v[0:1], off
	s_mov_b64 s[10:11], 0
	s_waitcnt vmcnt(0)
	v_mul_f64 v[14:15], v[2:3], -v[6:7]
	v_mul_f64 v[16:17], v[4:5], v[2:3]
	v_fmac_f64_e32 v[14:15], v[4:5], v[0:1]
	v_fmac_f64_e32 v[16:17], v[6:7], v[0:1]
	v_mul_f64 v[18:19], v[16:17], s[6:7]
	v_mul_f64 v[20:21], v[14:15], 0
	s_branch .LBB349_22
.LBB349_21:                             ;   in Loop: Header=BB349_22 Depth=2
	s_or_b64 exec, exec, s[12:13]
	v_add_co_u32_e32 v12, vcc, 16, v12
	v_addc_co_u32_e32 v13, vcc, 0, v13, vcc
	v_cmp_ge_i64_e32 vcc, v[12:13], v[10:11]
	s_or_b64 s[10:11], vcc, s[10:11]
	s_andn2_b64 exec, exec, s[10:11]
	s_cbranch_execz .LBB349_18
.LBB349_22:                             ;   Parent Loop BB349_19 Depth=1
                                        ; =>  This Loop Header: Depth=2
                                        ;       Child Loop BB349_24 Depth 3
                                        ;       Child Loop BB349_26 Depth 3
	v_lshlrev_b64 v[0:1], 2, v[12:13]
	v_mov_b32_e32 v2, s21
	v_add_co_u32_e32 v0, vcc, s20, v0
	v_addc_co_u32_e32 v1, vcc, v2, v1, vcc
	global_load_dword v0, v[0:1], off
	s_waitcnt vmcnt(0)
	v_subrev_u32_e32 v0, s2, v0
	v_cmp_ne_u32_e32 vcc, v0, v8
	s_and_saveexec_b64 s[12:13], vcc
	s_cbranch_execz .LBB349_21
; %bb.23:                               ;   in Loop: Header=BB349_22 Depth=2
	v_lshlrev_b64 v[2:3], 3, v[12:13]
	v_mov_b32_e32 v1, s23
	v_add_co_u32_e32 v2, vcc, s22, v2
	v_addc_co_u32_e32 v3, vcc, v1, v3, vcc
	v_ashrrev_i32_e32 v1, 31, v0
	v_lshlrev_b64 v[0:1], 4, v[0:1]
	global_load_dwordx2 v[24:25], v[2:3], off
	v_mov_b32_e32 v2, s27
	v_add_co_u32_e32 v22, vcc, s26, v0
	v_addc_co_u32_e32 v23, vcc, v2, v1, vcc
	global_load_dwordx2 v[2:3], v[22:23], off
	s_mov_b64 s[14:15], 0
	s_waitcnt vmcnt(1)
	v_fma_f64 v[26:27], v[14:15], v[24:25], v[18:19]
.LBB349_24:                             ;   Parent Loop BB349_19 Depth=1
                                        ;     Parent Loop BB349_22 Depth=2
                                        ; =>    This Inner Loop Header: Depth=3
	s_waitcnt vmcnt(0)
	v_add_f64 v[0:1], v[2:3], v[26:27]
	global_atomic_cmpswap_x2 v[0:1], v[22:23], v[0:3], off glc
	s_waitcnt vmcnt(0)
	v_cmp_eq_u64_e32 vcc, v[0:1], v[2:3]
	s_or_b64 s[14:15], vcc, s[14:15]
	v_pk_mov_b32 v[2:3], v[0:1], v[0:1] op_sel:[0,1]
	s_andn2_b64 exec, exec, s[14:15]
	s_cbranch_execnz .LBB349_24
; %bb.25:                               ;   in Loop: Header=BB349_22 Depth=2
	s_or_b64 exec, exec, s[14:15]
	global_load_dwordx2 v[2:3], v[22:23], off offset:8
	v_fma_f64 v[24:25], v[16:17], v[24:25], v[20:21]
	s_mov_b64 s[14:15], 0
.LBB349_26:                             ;   Parent Loop BB349_19 Depth=1
                                        ;     Parent Loop BB349_22 Depth=2
                                        ; =>    This Inner Loop Header: Depth=3
	s_waitcnt vmcnt(0)
	v_add_f64 v[0:1], v[2:3], v[24:25]
	global_atomic_cmpswap_x2 v[0:1], v[22:23], v[0:3], off offset:8 glc
	s_waitcnt vmcnt(0)
	v_cmp_eq_u64_e32 vcc, v[0:1], v[2:3]
	s_or_b64 s[14:15], vcc, s[14:15]
	v_pk_mov_b32 v[2:3], v[0:1], v[0:1] op_sel:[0,1]
	s_andn2_b64 exec, exec, s[14:15]
	s_cbranch_execnz .LBB349_26
	s_branch .LBB349_21
.LBB349_27:
	s_endpgm
	.section	.rodata,"a",@progbits
	.p2align	6, 0x0
	.amdhsa_kernel _ZN9rocsparseL21csrmvt_general_kernelILj256ELj16Elid21rocsparse_complex_numIdES2_S2_EEvbbT2_NS_24const_host_device_scalarIT6_EEPKT1_S9_PKS3_PKT3_PKT4_PT5_21rocsparse_index_base_b
		.amdhsa_group_segment_fixed_size 2048
		.amdhsa_private_segment_fixed_size 0
		.amdhsa_kernarg_size 336
		.amdhsa_user_sgpr_count 8
		.amdhsa_user_sgpr_private_segment_buffer 1
		.amdhsa_user_sgpr_dispatch_ptr 1
		.amdhsa_user_sgpr_queue_ptr 0
		.amdhsa_user_sgpr_kernarg_segment_ptr 1
		.amdhsa_user_sgpr_dispatch_id 0
		.amdhsa_user_sgpr_flat_scratch_init 0
		.amdhsa_user_sgpr_kernarg_preload_length 0
		.amdhsa_user_sgpr_kernarg_preload_offset 0
		.amdhsa_user_sgpr_private_segment_size 0
		.amdhsa_uses_dynamic_stack 0
		.amdhsa_system_sgpr_private_segment_wavefront_offset 0
		.amdhsa_system_sgpr_workgroup_id_x 1
		.amdhsa_system_sgpr_workgroup_id_y 0
		.amdhsa_system_sgpr_workgroup_id_z 0
		.amdhsa_system_sgpr_workgroup_info 0
		.amdhsa_system_vgpr_workitem_id 2
		.amdhsa_next_free_vgpr 35
		.amdhsa_next_free_sgpr 30
		.amdhsa_accum_offset 36
		.amdhsa_reserve_vcc 1
		.amdhsa_reserve_flat_scratch 0
		.amdhsa_float_round_mode_32 0
		.amdhsa_float_round_mode_16_64 0
		.amdhsa_float_denorm_mode_32 3
		.amdhsa_float_denorm_mode_16_64 3
		.amdhsa_dx10_clamp 1
		.amdhsa_ieee_mode 1
		.amdhsa_fp16_overflow 0
		.amdhsa_tg_split 0
		.amdhsa_exception_fp_ieee_invalid_op 0
		.amdhsa_exception_fp_denorm_src 0
		.amdhsa_exception_fp_ieee_div_zero 0
		.amdhsa_exception_fp_ieee_overflow 0
		.amdhsa_exception_fp_ieee_underflow 0
		.amdhsa_exception_fp_ieee_inexact 0
		.amdhsa_exception_int_div_zero 0
	.end_amdhsa_kernel
	.section	.text._ZN9rocsparseL21csrmvt_general_kernelILj256ELj16Elid21rocsparse_complex_numIdES2_S2_EEvbbT2_NS_24const_host_device_scalarIT6_EEPKT1_S9_PKS3_PKT3_PKT4_PT5_21rocsparse_index_base_b,"axG",@progbits,_ZN9rocsparseL21csrmvt_general_kernelILj256ELj16Elid21rocsparse_complex_numIdES2_S2_EEvbbT2_NS_24const_host_device_scalarIT6_EEPKT1_S9_PKS3_PKT3_PKT4_PT5_21rocsparse_index_base_b,comdat
.Lfunc_end349:
	.size	_ZN9rocsparseL21csrmvt_general_kernelILj256ELj16Elid21rocsparse_complex_numIdES2_S2_EEvbbT2_NS_24const_host_device_scalarIT6_EEPKT1_S9_PKS3_PKT3_PKT4_PT5_21rocsparse_index_base_b, .Lfunc_end349-_ZN9rocsparseL21csrmvt_general_kernelILj256ELj16Elid21rocsparse_complex_numIdES2_S2_EEvbbT2_NS_24const_host_device_scalarIT6_EEPKT1_S9_PKS3_PKT3_PKT4_PT5_21rocsparse_index_base_b
                                        ; -- End function
	.section	.AMDGPU.csdata,"",@progbits
; Kernel info:
; codeLenInByte = 1300
; NumSgprs: 34
; NumVgprs: 35
; NumAgprs: 0
; TotalNumVgprs: 35
; ScratchSize: 0
; MemoryBound: 0
; FloatMode: 240
; IeeeMode: 1
; LDSByteSize: 2048 bytes/workgroup (compile time only)
; SGPRBlocks: 4
; VGPRBlocks: 4
; NumSGPRsForWavesPerEU: 34
; NumVGPRsForWavesPerEU: 35
; AccumOffset: 36
; Occupancy: 8
; WaveLimiterHint : 1
; COMPUTE_PGM_RSRC2:SCRATCH_EN: 0
; COMPUTE_PGM_RSRC2:USER_SGPR: 8
; COMPUTE_PGM_RSRC2:TRAP_HANDLER: 0
; COMPUTE_PGM_RSRC2:TGID_X_EN: 1
; COMPUTE_PGM_RSRC2:TGID_Y_EN: 0
; COMPUTE_PGM_RSRC2:TGID_Z_EN: 0
; COMPUTE_PGM_RSRC2:TIDIG_COMP_CNT: 2
; COMPUTE_PGM_RSRC3_GFX90A:ACCUM_OFFSET: 8
; COMPUTE_PGM_RSRC3_GFX90A:TG_SPLIT: 0
	.section	.text._ZN9rocsparseL21csrmvt_general_kernelILj256ELj32Elid21rocsparse_complex_numIdES2_S2_EEvbbT2_NS_24const_host_device_scalarIT6_EEPKT1_S9_PKS3_PKT3_PKT4_PT5_21rocsparse_index_base_b,"axG",@progbits,_ZN9rocsparseL21csrmvt_general_kernelILj256ELj32Elid21rocsparse_complex_numIdES2_S2_EEvbbT2_NS_24const_host_device_scalarIT6_EEPKT1_S9_PKS3_PKT3_PKT4_PT5_21rocsparse_index_base_b,comdat
	.globl	_ZN9rocsparseL21csrmvt_general_kernelILj256ELj32Elid21rocsparse_complex_numIdES2_S2_EEvbbT2_NS_24const_host_device_scalarIT6_EEPKT1_S9_PKS3_PKT3_PKT4_PT5_21rocsparse_index_base_b ; -- Begin function _ZN9rocsparseL21csrmvt_general_kernelILj256ELj32Elid21rocsparse_complex_numIdES2_S2_EEvbbT2_NS_24const_host_device_scalarIT6_EEPKT1_S9_PKS3_PKT3_PKT4_PT5_21rocsparse_index_base_b
	.p2align	8
	.type	_ZN9rocsparseL21csrmvt_general_kernelILj256ELj32Elid21rocsparse_complex_numIdES2_S2_EEvbbT2_NS_24const_host_device_scalarIT6_EEPKT1_S9_PKS3_PKT3_PKT4_PT5_21rocsparse_index_base_b,@function
_ZN9rocsparseL21csrmvt_general_kernelILj256ELj32Elid21rocsparse_complex_numIdES2_S2_EEvbbT2_NS_24const_host_device_scalarIT6_EEPKT1_S9_PKS3_PKT3_PKT4_PT5_21rocsparse_index_base_b: ; @_ZN9rocsparseL21csrmvt_general_kernelILj256ELj32Elid21rocsparse_complex_numIdES2_S2_EEvbbT2_NS_24const_host_device_scalarIT6_EEPKT1_S9_PKS3_PKT3_PKT4_PT5_21rocsparse_index_base_b
; %bb.0:
	s_load_dwordx2 s[2:3], s[6:7], 0x48
	s_load_dwordx2 s[0:1], s[4:5], 0x4
	s_load_dwordx8 s[12:19], s[6:7], 0x8
	v_and_b32_e32 v1, 0x3ff, v0
	v_bfe_u32 v3, v0, 10, 10
	s_waitcnt lgkmcnt(0)
	s_and_b32 s3, 1, s3
	s_lshr_b32 s0, s0, 16
	s_mul_i32 s0, s0, s1
	v_mul_lo_u32 v2, s0, v1
	s_cmp_eq_u32 s3, 1
	v_mad_u32_u24 v2, v3, s1, v2
	v_bfe_u32 v0, v0, 20, 10
	v_add_lshl_u32 v0, v2, v0, 3
	v_pk_mov_b32 v[2:3], s[12:13], s[12:13] op_sel:[0,1]
	s_cselect_b64 vcc, -1, 0
	ds_write_b64 v0, v[2:3]
	s_mov_b64 s[0:1], src_shared_base
	v_cndmask_b32_e32 v2, v2, v0, vcc
	s_and_b64 vcc, vcc, exec
	s_cselect_b32 s0, s1, s13
	v_mov_b32_e32 v3, s0
	flat_load_dwordx2 v[4:5], v[2:3]
	v_pk_mov_b32 v[6:7], s[14:15], s[14:15] op_sel:[0,1]
	s_cbranch_vccnz .LBB350_2
; %bb.1:
	v_pk_mov_b32 v[2:3], s[12:13], s[12:13] op_sel:[0,1]
	flat_load_dwordx2 v[6:7], v[2:3] offset:8
.LBB350_2:
	s_waitcnt vmcnt(0) lgkmcnt(0)
	v_cmp_neq_f64_e32 vcc, 0, v[4:5]
	v_cmp_neq_f64_e64 s[0:1], 0, v[6:7]
	s_or_b64 s[0:1], vcc, s[0:1]
	s_and_saveexec_b64 s[4:5], s[0:1]
	s_cbranch_execz .LBB350_27
; %bb.3:
	s_load_dwordx2 s[4:5], s[6:7], 0x0
	s_load_dword s0, s[6:7], 0x50
	s_load_dwordx8 s[20:27], s[6:7], 0x28
	v_lshl_or_b32 v0, s8, 8, v1
	v_lshrrev_b32_e32 v8, 5, v0
	s_waitcnt lgkmcnt(0)
	s_and_b32 s1, s4, 1
	s_lshl_b32 s3, s0, 3
	v_and_b32_e32 v9, 31, v1
	s_cmp_eq_u32 s1, 0
	v_cmp_gt_i32_e64 s[0:1], s5, v8
	s_mov_b64 s[6:7], -1
	s_cbranch_scc0 .LBB350_15
; %bb.4:
	s_and_saveexec_b64 s[6:7], s[0:1]
	s_cbranch_execz .LBB350_14
; %bb.5:
	v_subrev_co_u32_e32 v30, vcc, s2, v9
	s_mov_b32 s4, 0
	v_subb_co_u32_e64 v31, s[8:9], 0, 0, vcc
	s_mov_b32 s10, 0
	s_mov_b64 s[8:9], 0
	v_mov_b32_e32 v32, s17
	v_mov_b32_e32 v33, s19
	;; [unrolled: 1-line block ×3, first 2 shown]
	s_brev_b32 s11, 1
	v_mov_b32_e32 v10, v8
	s_branch .LBB350_7
.LBB350_6:                              ;   in Loop: Header=BB350_7 Depth=1
	s_or_b64 exec, exec, s[12:13]
	v_add_u32_e32 v10, s3, v10
	v_cmp_le_i32_e32 vcc, s5, v10
	s_or_b64 s[8:9], vcc, s[8:9]
	s_andn2_b64 exec, exec, s[8:9]
	s_cbranch_execz .LBB350_14
.LBB350_7:                              ; =>This Loop Header: Depth=1
                                        ;     Child Loop BB350_9 Depth 2
                                        ;       Child Loop BB350_10 Depth 3
                                        ;       Child Loop BB350_12 Depth 3
	v_ashrrev_i32_e32 v11, 31, v10
	v_lshlrev_b64 v[0:1], 3, v[10:11]
	v_add_co_u32_e32 v2, vcc, s18, v0
	v_addc_co_u32_e32 v3, vcc, v33, v1, vcc
	global_load_dwordx2 v[2:3], v[2:3], off
	v_add_co_u32_e32 v0, vcc, s16, v0
	v_addc_co_u32_e32 v1, vcc, v32, v1, vcc
	global_load_dwordx2 v[0:1], v[0:1], off
	s_waitcnt vmcnt(1)
	v_subrev_co_u32_e32 v12, vcc, s2, v2
	v_subb_co_u32_e32 v13, vcc, v3, v34, vcc
	s_waitcnt vmcnt(0)
	v_add_co_u32_e32 v14, vcc, v0, v30
	v_addc_co_u32_e32 v15, vcc, v1, v31, vcc
	v_cmp_lt_i64_e32 vcc, v[14:15], v[12:13]
	s_and_saveexec_b64 s[12:13], vcc
	s_cbranch_execz .LBB350_6
; %bb.8:                                ;   in Loop: Header=BB350_7 Depth=1
	v_lshlrev_b64 v[0:1], 4, v[10:11]
	v_mov_b32_e32 v2, s25
	v_add_co_u32_e32 v0, vcc, s24, v0
	v_addc_co_u32_e32 v1, vcc, v2, v1, vcc
	global_load_dwordx4 v[0:3], v[0:1], off
	s_mov_b64 s[14:15], 0
	s_waitcnt vmcnt(0)
	v_mul_f64 v[16:17], v[2:3], -v[6:7]
	v_mul_f64 v[18:19], v[4:5], v[2:3]
	v_fmac_f64_e32 v[16:17], v[4:5], v[0:1]
	v_fmac_f64_e32 v[18:19], v[6:7], v[0:1]
	v_mul_f64 v[20:21], v[18:19], s[10:11]
	v_mul_f64 v[22:23], v[16:17], 0
.LBB350_9:                              ;   Parent Loop BB350_7 Depth=1
                                        ; =>  This Loop Header: Depth=2
                                        ;       Child Loop BB350_10 Depth 3
                                        ;       Child Loop BB350_12 Depth 3
	v_lshlrev_b64 v[0:1], 2, v[14:15]
	v_mov_b32_e32 v2, s21
	v_add_co_u32_e32 v0, vcc, s20, v0
	v_addc_co_u32_e32 v1, vcc, v2, v1, vcc
	global_load_dword v2, v[0:1], off
	v_lshlrev_b64 v[0:1], 3, v[14:15]
	v_mov_b32_e32 v3, s23
	v_add_co_u32_e32 v0, vcc, s22, v0
	v_addc_co_u32_e32 v1, vcc, v3, v1, vcc
	global_load_dwordx2 v[26:27], v[0:1], off
	v_mov_b32_e32 v11, s27
	s_mov_b64 s[28:29], 0
	s_waitcnt vmcnt(1)
	v_subrev_u32_e32 v0, s2, v2
	v_ashrrev_i32_e32 v1, 31, v0
	v_lshlrev_b64 v[0:1], 4, v[0:1]
	v_add_co_u32_e32 v24, vcc, s26, v0
	v_addc_co_u32_e32 v25, vcc, v11, v1, vcc
	global_load_dwordx2 v[2:3], v[24:25], off
	s_waitcnt vmcnt(1)
	v_fma_f64 v[28:29], v[16:17], v[26:27], v[20:21]
.LBB350_10:                             ;   Parent Loop BB350_7 Depth=1
                                        ;     Parent Loop BB350_9 Depth=2
                                        ; =>    This Inner Loop Header: Depth=3
	s_waitcnt vmcnt(0)
	v_add_f64 v[0:1], v[2:3], v[28:29]
	global_atomic_cmpswap_x2 v[0:1], v[24:25], v[0:3], off glc
	s_waitcnt vmcnt(0)
	v_cmp_eq_u64_e32 vcc, v[0:1], v[2:3]
	s_or_b64 s[28:29], vcc, s[28:29]
	v_pk_mov_b32 v[2:3], v[0:1], v[0:1] op_sel:[0,1]
	s_andn2_b64 exec, exec, s[28:29]
	s_cbranch_execnz .LBB350_10
; %bb.11:                               ;   in Loop: Header=BB350_9 Depth=2
	s_or_b64 exec, exec, s[28:29]
	global_load_dwordx2 v[2:3], v[24:25], off offset:8
	v_fma_f64 v[26:27], v[18:19], v[26:27], v[22:23]
	s_mov_b64 s[28:29], 0
.LBB350_12:                             ;   Parent Loop BB350_7 Depth=1
                                        ;     Parent Loop BB350_9 Depth=2
                                        ; =>    This Inner Loop Header: Depth=3
	s_waitcnt vmcnt(0)
	v_add_f64 v[0:1], v[2:3], v[26:27]
	global_atomic_cmpswap_x2 v[0:1], v[24:25], v[0:3], off offset:8 glc
	s_waitcnt vmcnt(0)
	v_cmp_eq_u64_e32 vcc, v[0:1], v[2:3]
	s_or_b64 s[28:29], vcc, s[28:29]
	v_pk_mov_b32 v[2:3], v[0:1], v[0:1] op_sel:[0,1]
	s_andn2_b64 exec, exec, s[28:29]
	s_cbranch_execnz .LBB350_12
; %bb.13:                               ;   in Loop: Header=BB350_9 Depth=2
	s_or_b64 exec, exec, s[28:29]
	v_add_co_u32_e32 v14, vcc, 32, v14
	v_addc_co_u32_e32 v15, vcc, 0, v15, vcc
	v_cmp_ge_i64_e32 vcc, v[14:15], v[12:13]
	s_or_b64 s[14:15], vcc, s[14:15]
	s_andn2_b64 exec, exec, s[14:15]
	s_cbranch_execnz .LBB350_9
	s_branch .LBB350_6
.LBB350_14:
	s_or_b64 exec, exec, s[6:7]
	s_mov_b64 s[6:7], 0
.LBB350_15:
	s_andn2_b64 vcc, exec, s[6:7]
	s_cbranch_vccnz .LBB350_27
; %bb.16:
	s_and_b64 exec, exec, s[0:1]
	s_cbranch_execz .LBB350_27
; %bb.17:
	v_subrev_co_u32_e32 v28, vcc, s2, v9
	s_mov_b32 s4, 0
	v_subb_co_u32_e64 v29, s[0:1], 0, 0, vcc
	s_mov_b32 s6, 0
	s_mov_b64 s[0:1], 0
	v_mov_b32_e32 v30, s17
	v_mov_b32_e32 v31, s19
	;; [unrolled: 1-line block ×3, first 2 shown]
	s_brev_b32 s7, 1
	s_branch .LBB350_19
.LBB350_18:                             ;   in Loop: Header=BB350_19 Depth=1
	s_or_b64 exec, exec, s[8:9]
	v_add_u32_e32 v8, s3, v8
	v_cmp_le_i32_e32 vcc, s5, v8
	s_or_b64 s[0:1], vcc, s[0:1]
	s_andn2_b64 exec, exec, s[0:1]
	s_cbranch_execz .LBB350_27
.LBB350_19:                             ; =>This Loop Header: Depth=1
                                        ;     Child Loop BB350_22 Depth 2
                                        ;       Child Loop BB350_24 Depth 3
                                        ;       Child Loop BB350_26 Depth 3
	v_ashrrev_i32_e32 v9, 31, v8
	v_lshlrev_b64 v[0:1], 3, v[8:9]
	v_add_co_u32_e32 v2, vcc, s18, v0
	v_addc_co_u32_e32 v3, vcc, v31, v1, vcc
	global_load_dwordx2 v[2:3], v[2:3], off
	v_add_co_u32_e32 v0, vcc, s16, v0
	v_addc_co_u32_e32 v1, vcc, v30, v1, vcc
	global_load_dwordx2 v[0:1], v[0:1], off
	s_waitcnt vmcnt(1)
	v_subrev_co_u32_e32 v10, vcc, s2, v2
	v_subb_co_u32_e32 v11, vcc, v3, v32, vcc
	s_waitcnt vmcnt(0)
	v_add_co_u32_e32 v12, vcc, v0, v28
	v_addc_co_u32_e32 v13, vcc, v1, v29, vcc
	v_cmp_lt_i64_e32 vcc, v[12:13], v[10:11]
	s_and_saveexec_b64 s[8:9], vcc
	s_cbranch_execz .LBB350_18
; %bb.20:                               ;   in Loop: Header=BB350_19 Depth=1
	v_lshlrev_b64 v[0:1], 4, v[8:9]
	v_mov_b32_e32 v2, s25
	v_add_co_u32_e32 v0, vcc, s24, v0
	v_addc_co_u32_e32 v1, vcc, v2, v1, vcc
	global_load_dwordx4 v[0:3], v[0:1], off
	s_mov_b64 s[10:11], 0
	s_waitcnt vmcnt(0)
	v_mul_f64 v[14:15], v[2:3], -v[6:7]
	v_mul_f64 v[16:17], v[4:5], v[2:3]
	v_fmac_f64_e32 v[14:15], v[4:5], v[0:1]
	v_fmac_f64_e32 v[16:17], v[6:7], v[0:1]
	v_mul_f64 v[18:19], v[16:17], s[6:7]
	v_mul_f64 v[20:21], v[14:15], 0
	s_branch .LBB350_22
.LBB350_21:                             ;   in Loop: Header=BB350_22 Depth=2
	s_or_b64 exec, exec, s[12:13]
	v_add_co_u32_e32 v12, vcc, 32, v12
	v_addc_co_u32_e32 v13, vcc, 0, v13, vcc
	v_cmp_ge_i64_e32 vcc, v[12:13], v[10:11]
	s_or_b64 s[10:11], vcc, s[10:11]
	s_andn2_b64 exec, exec, s[10:11]
	s_cbranch_execz .LBB350_18
.LBB350_22:                             ;   Parent Loop BB350_19 Depth=1
                                        ; =>  This Loop Header: Depth=2
                                        ;       Child Loop BB350_24 Depth 3
                                        ;       Child Loop BB350_26 Depth 3
	v_lshlrev_b64 v[0:1], 2, v[12:13]
	v_mov_b32_e32 v2, s21
	v_add_co_u32_e32 v0, vcc, s20, v0
	v_addc_co_u32_e32 v1, vcc, v2, v1, vcc
	global_load_dword v0, v[0:1], off
	s_waitcnt vmcnt(0)
	v_subrev_u32_e32 v0, s2, v0
	v_cmp_ne_u32_e32 vcc, v0, v8
	s_and_saveexec_b64 s[12:13], vcc
	s_cbranch_execz .LBB350_21
; %bb.23:                               ;   in Loop: Header=BB350_22 Depth=2
	v_lshlrev_b64 v[2:3], 3, v[12:13]
	v_mov_b32_e32 v1, s23
	v_add_co_u32_e32 v2, vcc, s22, v2
	v_addc_co_u32_e32 v3, vcc, v1, v3, vcc
	v_ashrrev_i32_e32 v1, 31, v0
	v_lshlrev_b64 v[0:1], 4, v[0:1]
	global_load_dwordx2 v[24:25], v[2:3], off
	v_mov_b32_e32 v2, s27
	v_add_co_u32_e32 v22, vcc, s26, v0
	v_addc_co_u32_e32 v23, vcc, v2, v1, vcc
	global_load_dwordx2 v[2:3], v[22:23], off
	s_mov_b64 s[14:15], 0
	s_waitcnt vmcnt(1)
	v_fma_f64 v[26:27], v[14:15], v[24:25], v[18:19]
.LBB350_24:                             ;   Parent Loop BB350_19 Depth=1
                                        ;     Parent Loop BB350_22 Depth=2
                                        ; =>    This Inner Loop Header: Depth=3
	s_waitcnt vmcnt(0)
	v_add_f64 v[0:1], v[2:3], v[26:27]
	global_atomic_cmpswap_x2 v[0:1], v[22:23], v[0:3], off glc
	s_waitcnt vmcnt(0)
	v_cmp_eq_u64_e32 vcc, v[0:1], v[2:3]
	s_or_b64 s[14:15], vcc, s[14:15]
	v_pk_mov_b32 v[2:3], v[0:1], v[0:1] op_sel:[0,1]
	s_andn2_b64 exec, exec, s[14:15]
	s_cbranch_execnz .LBB350_24
; %bb.25:                               ;   in Loop: Header=BB350_22 Depth=2
	s_or_b64 exec, exec, s[14:15]
	global_load_dwordx2 v[2:3], v[22:23], off offset:8
	v_fma_f64 v[24:25], v[16:17], v[24:25], v[20:21]
	s_mov_b64 s[14:15], 0
.LBB350_26:                             ;   Parent Loop BB350_19 Depth=1
                                        ;     Parent Loop BB350_22 Depth=2
                                        ; =>    This Inner Loop Header: Depth=3
	s_waitcnt vmcnt(0)
	v_add_f64 v[0:1], v[2:3], v[24:25]
	global_atomic_cmpswap_x2 v[0:1], v[22:23], v[0:3], off offset:8 glc
	s_waitcnt vmcnt(0)
	v_cmp_eq_u64_e32 vcc, v[0:1], v[2:3]
	s_or_b64 s[14:15], vcc, s[14:15]
	v_pk_mov_b32 v[2:3], v[0:1], v[0:1] op_sel:[0,1]
	s_andn2_b64 exec, exec, s[14:15]
	s_cbranch_execnz .LBB350_26
	s_branch .LBB350_21
.LBB350_27:
	s_endpgm
	.section	.rodata,"a",@progbits
	.p2align	6, 0x0
	.amdhsa_kernel _ZN9rocsparseL21csrmvt_general_kernelILj256ELj32Elid21rocsparse_complex_numIdES2_S2_EEvbbT2_NS_24const_host_device_scalarIT6_EEPKT1_S9_PKS3_PKT3_PKT4_PT5_21rocsparse_index_base_b
		.amdhsa_group_segment_fixed_size 2048
		.amdhsa_private_segment_fixed_size 0
		.amdhsa_kernarg_size 336
		.amdhsa_user_sgpr_count 8
		.amdhsa_user_sgpr_private_segment_buffer 1
		.amdhsa_user_sgpr_dispatch_ptr 1
		.amdhsa_user_sgpr_queue_ptr 0
		.amdhsa_user_sgpr_kernarg_segment_ptr 1
		.amdhsa_user_sgpr_dispatch_id 0
		.amdhsa_user_sgpr_flat_scratch_init 0
		.amdhsa_user_sgpr_kernarg_preload_length 0
		.amdhsa_user_sgpr_kernarg_preload_offset 0
		.amdhsa_user_sgpr_private_segment_size 0
		.amdhsa_uses_dynamic_stack 0
		.amdhsa_system_sgpr_private_segment_wavefront_offset 0
		.amdhsa_system_sgpr_workgroup_id_x 1
		.amdhsa_system_sgpr_workgroup_id_y 0
		.amdhsa_system_sgpr_workgroup_id_z 0
		.amdhsa_system_sgpr_workgroup_info 0
		.amdhsa_system_vgpr_workitem_id 2
		.amdhsa_next_free_vgpr 35
		.amdhsa_next_free_sgpr 30
		.amdhsa_accum_offset 36
		.amdhsa_reserve_vcc 1
		.amdhsa_reserve_flat_scratch 0
		.amdhsa_float_round_mode_32 0
		.amdhsa_float_round_mode_16_64 0
		.amdhsa_float_denorm_mode_32 3
		.amdhsa_float_denorm_mode_16_64 3
		.amdhsa_dx10_clamp 1
		.amdhsa_ieee_mode 1
		.amdhsa_fp16_overflow 0
		.amdhsa_tg_split 0
		.amdhsa_exception_fp_ieee_invalid_op 0
		.amdhsa_exception_fp_denorm_src 0
		.amdhsa_exception_fp_ieee_div_zero 0
		.amdhsa_exception_fp_ieee_overflow 0
		.amdhsa_exception_fp_ieee_underflow 0
		.amdhsa_exception_fp_ieee_inexact 0
		.amdhsa_exception_int_div_zero 0
	.end_amdhsa_kernel
	.section	.text._ZN9rocsparseL21csrmvt_general_kernelILj256ELj32Elid21rocsparse_complex_numIdES2_S2_EEvbbT2_NS_24const_host_device_scalarIT6_EEPKT1_S9_PKS3_PKT3_PKT4_PT5_21rocsparse_index_base_b,"axG",@progbits,_ZN9rocsparseL21csrmvt_general_kernelILj256ELj32Elid21rocsparse_complex_numIdES2_S2_EEvbbT2_NS_24const_host_device_scalarIT6_EEPKT1_S9_PKS3_PKT3_PKT4_PT5_21rocsparse_index_base_b,comdat
.Lfunc_end350:
	.size	_ZN9rocsparseL21csrmvt_general_kernelILj256ELj32Elid21rocsparse_complex_numIdES2_S2_EEvbbT2_NS_24const_host_device_scalarIT6_EEPKT1_S9_PKS3_PKT3_PKT4_PT5_21rocsparse_index_base_b, .Lfunc_end350-_ZN9rocsparseL21csrmvt_general_kernelILj256ELj32Elid21rocsparse_complex_numIdES2_S2_EEvbbT2_NS_24const_host_device_scalarIT6_EEPKT1_S9_PKS3_PKT3_PKT4_PT5_21rocsparse_index_base_b
                                        ; -- End function
	.section	.AMDGPU.csdata,"",@progbits
; Kernel info:
; codeLenInByte = 1300
; NumSgprs: 34
; NumVgprs: 35
; NumAgprs: 0
; TotalNumVgprs: 35
; ScratchSize: 0
; MemoryBound: 0
; FloatMode: 240
; IeeeMode: 1
; LDSByteSize: 2048 bytes/workgroup (compile time only)
; SGPRBlocks: 4
; VGPRBlocks: 4
; NumSGPRsForWavesPerEU: 34
; NumVGPRsForWavesPerEU: 35
; AccumOffset: 36
; Occupancy: 8
; WaveLimiterHint : 1
; COMPUTE_PGM_RSRC2:SCRATCH_EN: 0
; COMPUTE_PGM_RSRC2:USER_SGPR: 8
; COMPUTE_PGM_RSRC2:TRAP_HANDLER: 0
; COMPUTE_PGM_RSRC2:TGID_X_EN: 1
; COMPUTE_PGM_RSRC2:TGID_Y_EN: 0
; COMPUTE_PGM_RSRC2:TGID_Z_EN: 0
; COMPUTE_PGM_RSRC2:TIDIG_COMP_CNT: 2
; COMPUTE_PGM_RSRC3_GFX90A:ACCUM_OFFSET: 8
; COMPUTE_PGM_RSRC3_GFX90A:TG_SPLIT: 0
	.section	.text._ZN9rocsparseL21csrmvt_general_kernelILj256ELj64Elid21rocsparse_complex_numIdES2_S2_EEvbbT2_NS_24const_host_device_scalarIT6_EEPKT1_S9_PKS3_PKT3_PKT4_PT5_21rocsparse_index_base_b,"axG",@progbits,_ZN9rocsparseL21csrmvt_general_kernelILj256ELj64Elid21rocsparse_complex_numIdES2_S2_EEvbbT2_NS_24const_host_device_scalarIT6_EEPKT1_S9_PKS3_PKT3_PKT4_PT5_21rocsparse_index_base_b,comdat
	.globl	_ZN9rocsparseL21csrmvt_general_kernelILj256ELj64Elid21rocsparse_complex_numIdES2_S2_EEvbbT2_NS_24const_host_device_scalarIT6_EEPKT1_S9_PKS3_PKT3_PKT4_PT5_21rocsparse_index_base_b ; -- Begin function _ZN9rocsparseL21csrmvt_general_kernelILj256ELj64Elid21rocsparse_complex_numIdES2_S2_EEvbbT2_NS_24const_host_device_scalarIT6_EEPKT1_S9_PKS3_PKT3_PKT4_PT5_21rocsparse_index_base_b
	.p2align	8
	.type	_ZN9rocsparseL21csrmvt_general_kernelILj256ELj64Elid21rocsparse_complex_numIdES2_S2_EEvbbT2_NS_24const_host_device_scalarIT6_EEPKT1_S9_PKS3_PKT3_PKT4_PT5_21rocsparse_index_base_b,@function
_ZN9rocsparseL21csrmvt_general_kernelILj256ELj64Elid21rocsparse_complex_numIdES2_S2_EEvbbT2_NS_24const_host_device_scalarIT6_EEPKT1_S9_PKS3_PKT3_PKT4_PT5_21rocsparse_index_base_b: ; @_ZN9rocsparseL21csrmvt_general_kernelILj256ELj64Elid21rocsparse_complex_numIdES2_S2_EEvbbT2_NS_24const_host_device_scalarIT6_EEPKT1_S9_PKS3_PKT3_PKT4_PT5_21rocsparse_index_base_b
; %bb.0:
	s_load_dwordx2 s[2:3], s[6:7], 0x48
	s_load_dwordx2 s[0:1], s[4:5], 0x4
	s_load_dwordx8 s[12:19], s[6:7], 0x8
	v_and_b32_e32 v1, 0x3ff, v0
	v_bfe_u32 v3, v0, 10, 10
	s_waitcnt lgkmcnt(0)
	s_and_b32 s3, 1, s3
	s_lshr_b32 s0, s0, 16
	s_mul_i32 s0, s0, s1
	v_mul_lo_u32 v2, s0, v1
	s_cmp_eq_u32 s3, 1
	v_mad_u32_u24 v2, v3, s1, v2
	v_bfe_u32 v0, v0, 20, 10
	v_add_lshl_u32 v0, v2, v0, 3
	v_pk_mov_b32 v[2:3], s[12:13], s[12:13] op_sel:[0,1]
	s_cselect_b64 vcc, -1, 0
	ds_write_b64 v0, v[2:3]
	s_mov_b64 s[0:1], src_shared_base
	v_cndmask_b32_e32 v2, v2, v0, vcc
	s_and_b64 vcc, vcc, exec
	s_cselect_b32 s0, s1, s13
	v_mov_b32_e32 v3, s0
	flat_load_dwordx2 v[4:5], v[2:3]
	v_pk_mov_b32 v[6:7], s[14:15], s[14:15] op_sel:[0,1]
	s_cbranch_vccnz .LBB351_2
; %bb.1:
	v_pk_mov_b32 v[2:3], s[12:13], s[12:13] op_sel:[0,1]
	flat_load_dwordx2 v[6:7], v[2:3] offset:8
.LBB351_2:
	s_waitcnt vmcnt(0) lgkmcnt(0)
	v_cmp_neq_f64_e32 vcc, 0, v[4:5]
	v_cmp_neq_f64_e64 s[0:1], 0, v[6:7]
	s_or_b64 s[0:1], vcc, s[0:1]
	s_and_saveexec_b64 s[4:5], s[0:1]
	s_cbranch_execz .LBB351_27
; %bb.3:
	s_load_dwordx2 s[4:5], s[6:7], 0x0
	s_load_dword s0, s[6:7], 0x50
	s_load_dwordx8 s[20:27], s[6:7], 0x28
	v_lshl_or_b32 v0, s8, 8, v1
	v_lshrrev_b32_e32 v8, 6, v0
	s_waitcnt lgkmcnt(0)
	s_and_b32 s1, s4, 1
	s_lshl_b32 s3, s0, 2
	v_and_b32_e32 v9, 63, v1
	s_cmp_eq_u32 s1, 0
	v_cmp_gt_i32_e64 s[0:1], s5, v8
	s_mov_b64 s[6:7], -1
	s_cbranch_scc0 .LBB351_15
; %bb.4:
	s_and_saveexec_b64 s[6:7], s[0:1]
	s_cbranch_execz .LBB351_14
; %bb.5:
	v_subrev_co_u32_e32 v30, vcc, s2, v9
	s_mov_b32 s4, 0
	v_subb_co_u32_e64 v31, s[8:9], 0, 0, vcc
	s_mov_b32 s10, 0
	s_mov_b64 s[8:9], 0
	v_mov_b32_e32 v32, s17
	v_mov_b32_e32 v33, s19
	v_mov_b32_e32 v34, s4
	s_brev_b32 s11, 1
	v_mov_b32_e32 v10, v8
	s_branch .LBB351_7
.LBB351_6:                              ;   in Loop: Header=BB351_7 Depth=1
	s_or_b64 exec, exec, s[12:13]
	v_add_u32_e32 v10, s3, v10
	v_cmp_le_i32_e32 vcc, s5, v10
	s_or_b64 s[8:9], vcc, s[8:9]
	s_andn2_b64 exec, exec, s[8:9]
	s_cbranch_execz .LBB351_14
.LBB351_7:                              ; =>This Loop Header: Depth=1
                                        ;     Child Loop BB351_9 Depth 2
                                        ;       Child Loop BB351_10 Depth 3
                                        ;       Child Loop BB351_12 Depth 3
	v_ashrrev_i32_e32 v11, 31, v10
	v_lshlrev_b64 v[0:1], 3, v[10:11]
	v_add_co_u32_e32 v2, vcc, s18, v0
	v_addc_co_u32_e32 v3, vcc, v33, v1, vcc
	global_load_dwordx2 v[2:3], v[2:3], off
	v_add_co_u32_e32 v0, vcc, s16, v0
	v_addc_co_u32_e32 v1, vcc, v32, v1, vcc
	global_load_dwordx2 v[0:1], v[0:1], off
	s_waitcnt vmcnt(1)
	v_subrev_co_u32_e32 v12, vcc, s2, v2
	v_subb_co_u32_e32 v13, vcc, v3, v34, vcc
	s_waitcnt vmcnt(0)
	v_add_co_u32_e32 v14, vcc, v0, v30
	v_addc_co_u32_e32 v15, vcc, v1, v31, vcc
	v_cmp_lt_i64_e32 vcc, v[14:15], v[12:13]
	s_and_saveexec_b64 s[12:13], vcc
	s_cbranch_execz .LBB351_6
; %bb.8:                                ;   in Loop: Header=BB351_7 Depth=1
	v_lshlrev_b64 v[0:1], 4, v[10:11]
	v_mov_b32_e32 v2, s25
	v_add_co_u32_e32 v0, vcc, s24, v0
	v_addc_co_u32_e32 v1, vcc, v2, v1, vcc
	global_load_dwordx4 v[0:3], v[0:1], off
	s_mov_b64 s[14:15], 0
	s_waitcnt vmcnt(0)
	v_mul_f64 v[16:17], v[2:3], -v[6:7]
	v_mul_f64 v[18:19], v[4:5], v[2:3]
	v_fmac_f64_e32 v[16:17], v[4:5], v[0:1]
	v_fmac_f64_e32 v[18:19], v[6:7], v[0:1]
	v_mul_f64 v[20:21], v[18:19], s[10:11]
	v_mul_f64 v[22:23], v[16:17], 0
.LBB351_9:                              ;   Parent Loop BB351_7 Depth=1
                                        ; =>  This Loop Header: Depth=2
                                        ;       Child Loop BB351_10 Depth 3
                                        ;       Child Loop BB351_12 Depth 3
	v_lshlrev_b64 v[0:1], 2, v[14:15]
	v_mov_b32_e32 v2, s21
	v_add_co_u32_e32 v0, vcc, s20, v0
	v_addc_co_u32_e32 v1, vcc, v2, v1, vcc
	global_load_dword v2, v[0:1], off
	v_lshlrev_b64 v[0:1], 3, v[14:15]
	v_mov_b32_e32 v3, s23
	v_add_co_u32_e32 v0, vcc, s22, v0
	v_addc_co_u32_e32 v1, vcc, v3, v1, vcc
	global_load_dwordx2 v[26:27], v[0:1], off
	v_mov_b32_e32 v11, s27
	s_mov_b64 s[28:29], 0
	s_waitcnt vmcnt(1)
	v_subrev_u32_e32 v0, s2, v2
	v_ashrrev_i32_e32 v1, 31, v0
	v_lshlrev_b64 v[0:1], 4, v[0:1]
	v_add_co_u32_e32 v24, vcc, s26, v0
	v_addc_co_u32_e32 v25, vcc, v11, v1, vcc
	global_load_dwordx2 v[2:3], v[24:25], off
	s_waitcnt vmcnt(1)
	v_fma_f64 v[28:29], v[16:17], v[26:27], v[20:21]
.LBB351_10:                             ;   Parent Loop BB351_7 Depth=1
                                        ;     Parent Loop BB351_9 Depth=2
                                        ; =>    This Inner Loop Header: Depth=3
	s_waitcnt vmcnt(0)
	v_add_f64 v[0:1], v[2:3], v[28:29]
	global_atomic_cmpswap_x2 v[0:1], v[24:25], v[0:3], off glc
	s_waitcnt vmcnt(0)
	v_cmp_eq_u64_e32 vcc, v[0:1], v[2:3]
	s_or_b64 s[28:29], vcc, s[28:29]
	v_pk_mov_b32 v[2:3], v[0:1], v[0:1] op_sel:[0,1]
	s_andn2_b64 exec, exec, s[28:29]
	s_cbranch_execnz .LBB351_10
; %bb.11:                               ;   in Loop: Header=BB351_9 Depth=2
	s_or_b64 exec, exec, s[28:29]
	global_load_dwordx2 v[2:3], v[24:25], off offset:8
	v_fma_f64 v[26:27], v[18:19], v[26:27], v[22:23]
	s_mov_b64 s[28:29], 0
.LBB351_12:                             ;   Parent Loop BB351_7 Depth=1
                                        ;     Parent Loop BB351_9 Depth=2
                                        ; =>    This Inner Loop Header: Depth=3
	s_waitcnt vmcnt(0)
	v_add_f64 v[0:1], v[2:3], v[26:27]
	global_atomic_cmpswap_x2 v[0:1], v[24:25], v[0:3], off offset:8 glc
	s_waitcnt vmcnt(0)
	v_cmp_eq_u64_e32 vcc, v[0:1], v[2:3]
	s_or_b64 s[28:29], vcc, s[28:29]
	v_pk_mov_b32 v[2:3], v[0:1], v[0:1] op_sel:[0,1]
	s_andn2_b64 exec, exec, s[28:29]
	s_cbranch_execnz .LBB351_12
; %bb.13:                               ;   in Loop: Header=BB351_9 Depth=2
	s_or_b64 exec, exec, s[28:29]
	v_add_co_u32_e32 v14, vcc, 64, v14
	v_addc_co_u32_e32 v15, vcc, 0, v15, vcc
	v_cmp_ge_i64_e32 vcc, v[14:15], v[12:13]
	s_or_b64 s[14:15], vcc, s[14:15]
	s_andn2_b64 exec, exec, s[14:15]
	s_cbranch_execnz .LBB351_9
	s_branch .LBB351_6
.LBB351_14:
	s_or_b64 exec, exec, s[6:7]
	s_mov_b64 s[6:7], 0
.LBB351_15:
	s_andn2_b64 vcc, exec, s[6:7]
	s_cbranch_vccnz .LBB351_27
; %bb.16:
	s_and_b64 exec, exec, s[0:1]
	s_cbranch_execz .LBB351_27
; %bb.17:
	v_subrev_co_u32_e32 v28, vcc, s2, v9
	s_mov_b32 s4, 0
	v_subb_co_u32_e64 v29, s[0:1], 0, 0, vcc
	s_mov_b32 s6, 0
	s_mov_b64 s[0:1], 0
	v_mov_b32_e32 v30, s17
	v_mov_b32_e32 v31, s19
	v_mov_b32_e32 v32, s4
	s_brev_b32 s7, 1
	s_branch .LBB351_19
.LBB351_18:                             ;   in Loop: Header=BB351_19 Depth=1
	s_or_b64 exec, exec, s[8:9]
	v_add_u32_e32 v8, s3, v8
	v_cmp_le_i32_e32 vcc, s5, v8
	s_or_b64 s[0:1], vcc, s[0:1]
	s_andn2_b64 exec, exec, s[0:1]
	s_cbranch_execz .LBB351_27
.LBB351_19:                             ; =>This Loop Header: Depth=1
                                        ;     Child Loop BB351_22 Depth 2
                                        ;       Child Loop BB351_24 Depth 3
                                        ;       Child Loop BB351_26 Depth 3
	v_ashrrev_i32_e32 v9, 31, v8
	v_lshlrev_b64 v[0:1], 3, v[8:9]
	v_add_co_u32_e32 v2, vcc, s18, v0
	v_addc_co_u32_e32 v3, vcc, v31, v1, vcc
	global_load_dwordx2 v[2:3], v[2:3], off
	v_add_co_u32_e32 v0, vcc, s16, v0
	v_addc_co_u32_e32 v1, vcc, v30, v1, vcc
	global_load_dwordx2 v[0:1], v[0:1], off
	s_waitcnt vmcnt(1)
	v_subrev_co_u32_e32 v10, vcc, s2, v2
	v_subb_co_u32_e32 v11, vcc, v3, v32, vcc
	s_waitcnt vmcnt(0)
	v_add_co_u32_e32 v12, vcc, v0, v28
	v_addc_co_u32_e32 v13, vcc, v1, v29, vcc
	v_cmp_lt_i64_e32 vcc, v[12:13], v[10:11]
	s_and_saveexec_b64 s[8:9], vcc
	s_cbranch_execz .LBB351_18
; %bb.20:                               ;   in Loop: Header=BB351_19 Depth=1
	v_lshlrev_b64 v[0:1], 4, v[8:9]
	v_mov_b32_e32 v2, s25
	v_add_co_u32_e32 v0, vcc, s24, v0
	v_addc_co_u32_e32 v1, vcc, v2, v1, vcc
	global_load_dwordx4 v[0:3], v[0:1], off
	s_mov_b64 s[10:11], 0
	s_waitcnt vmcnt(0)
	v_mul_f64 v[14:15], v[2:3], -v[6:7]
	v_mul_f64 v[16:17], v[4:5], v[2:3]
	v_fmac_f64_e32 v[14:15], v[4:5], v[0:1]
	v_fmac_f64_e32 v[16:17], v[6:7], v[0:1]
	v_mul_f64 v[18:19], v[16:17], s[6:7]
	v_mul_f64 v[20:21], v[14:15], 0
	s_branch .LBB351_22
.LBB351_21:                             ;   in Loop: Header=BB351_22 Depth=2
	s_or_b64 exec, exec, s[12:13]
	v_add_co_u32_e32 v12, vcc, 64, v12
	v_addc_co_u32_e32 v13, vcc, 0, v13, vcc
	v_cmp_ge_i64_e32 vcc, v[12:13], v[10:11]
	s_or_b64 s[10:11], vcc, s[10:11]
	s_andn2_b64 exec, exec, s[10:11]
	s_cbranch_execz .LBB351_18
.LBB351_22:                             ;   Parent Loop BB351_19 Depth=1
                                        ; =>  This Loop Header: Depth=2
                                        ;       Child Loop BB351_24 Depth 3
                                        ;       Child Loop BB351_26 Depth 3
	v_lshlrev_b64 v[0:1], 2, v[12:13]
	v_mov_b32_e32 v2, s21
	v_add_co_u32_e32 v0, vcc, s20, v0
	v_addc_co_u32_e32 v1, vcc, v2, v1, vcc
	global_load_dword v0, v[0:1], off
	s_waitcnt vmcnt(0)
	v_subrev_u32_e32 v0, s2, v0
	v_cmp_ne_u32_e32 vcc, v0, v8
	s_and_saveexec_b64 s[12:13], vcc
	s_cbranch_execz .LBB351_21
; %bb.23:                               ;   in Loop: Header=BB351_22 Depth=2
	v_lshlrev_b64 v[2:3], 3, v[12:13]
	v_mov_b32_e32 v1, s23
	v_add_co_u32_e32 v2, vcc, s22, v2
	v_addc_co_u32_e32 v3, vcc, v1, v3, vcc
	v_ashrrev_i32_e32 v1, 31, v0
	v_lshlrev_b64 v[0:1], 4, v[0:1]
	global_load_dwordx2 v[24:25], v[2:3], off
	v_mov_b32_e32 v2, s27
	v_add_co_u32_e32 v22, vcc, s26, v0
	v_addc_co_u32_e32 v23, vcc, v2, v1, vcc
	global_load_dwordx2 v[2:3], v[22:23], off
	s_mov_b64 s[14:15], 0
	s_waitcnt vmcnt(1)
	v_fma_f64 v[26:27], v[14:15], v[24:25], v[18:19]
.LBB351_24:                             ;   Parent Loop BB351_19 Depth=1
                                        ;     Parent Loop BB351_22 Depth=2
                                        ; =>    This Inner Loop Header: Depth=3
	s_waitcnt vmcnt(0)
	v_add_f64 v[0:1], v[2:3], v[26:27]
	global_atomic_cmpswap_x2 v[0:1], v[22:23], v[0:3], off glc
	s_waitcnt vmcnt(0)
	v_cmp_eq_u64_e32 vcc, v[0:1], v[2:3]
	s_or_b64 s[14:15], vcc, s[14:15]
	v_pk_mov_b32 v[2:3], v[0:1], v[0:1] op_sel:[0,1]
	s_andn2_b64 exec, exec, s[14:15]
	s_cbranch_execnz .LBB351_24
; %bb.25:                               ;   in Loop: Header=BB351_22 Depth=2
	s_or_b64 exec, exec, s[14:15]
	global_load_dwordx2 v[2:3], v[22:23], off offset:8
	v_fma_f64 v[24:25], v[16:17], v[24:25], v[20:21]
	s_mov_b64 s[14:15], 0
.LBB351_26:                             ;   Parent Loop BB351_19 Depth=1
                                        ;     Parent Loop BB351_22 Depth=2
                                        ; =>    This Inner Loop Header: Depth=3
	s_waitcnt vmcnt(0)
	v_add_f64 v[0:1], v[2:3], v[24:25]
	global_atomic_cmpswap_x2 v[0:1], v[22:23], v[0:3], off offset:8 glc
	s_waitcnt vmcnt(0)
	v_cmp_eq_u64_e32 vcc, v[0:1], v[2:3]
	s_or_b64 s[14:15], vcc, s[14:15]
	v_pk_mov_b32 v[2:3], v[0:1], v[0:1] op_sel:[0,1]
	s_andn2_b64 exec, exec, s[14:15]
	s_cbranch_execnz .LBB351_26
	s_branch .LBB351_21
.LBB351_27:
	s_endpgm
	.section	.rodata,"a",@progbits
	.p2align	6, 0x0
	.amdhsa_kernel _ZN9rocsparseL21csrmvt_general_kernelILj256ELj64Elid21rocsparse_complex_numIdES2_S2_EEvbbT2_NS_24const_host_device_scalarIT6_EEPKT1_S9_PKS3_PKT3_PKT4_PT5_21rocsparse_index_base_b
		.amdhsa_group_segment_fixed_size 2048
		.amdhsa_private_segment_fixed_size 0
		.amdhsa_kernarg_size 336
		.amdhsa_user_sgpr_count 8
		.amdhsa_user_sgpr_private_segment_buffer 1
		.amdhsa_user_sgpr_dispatch_ptr 1
		.amdhsa_user_sgpr_queue_ptr 0
		.amdhsa_user_sgpr_kernarg_segment_ptr 1
		.amdhsa_user_sgpr_dispatch_id 0
		.amdhsa_user_sgpr_flat_scratch_init 0
		.amdhsa_user_sgpr_kernarg_preload_length 0
		.amdhsa_user_sgpr_kernarg_preload_offset 0
		.amdhsa_user_sgpr_private_segment_size 0
		.amdhsa_uses_dynamic_stack 0
		.amdhsa_system_sgpr_private_segment_wavefront_offset 0
		.amdhsa_system_sgpr_workgroup_id_x 1
		.amdhsa_system_sgpr_workgroup_id_y 0
		.amdhsa_system_sgpr_workgroup_id_z 0
		.amdhsa_system_sgpr_workgroup_info 0
		.amdhsa_system_vgpr_workitem_id 2
		.amdhsa_next_free_vgpr 35
		.amdhsa_next_free_sgpr 30
		.amdhsa_accum_offset 36
		.amdhsa_reserve_vcc 1
		.amdhsa_reserve_flat_scratch 0
		.amdhsa_float_round_mode_32 0
		.amdhsa_float_round_mode_16_64 0
		.amdhsa_float_denorm_mode_32 3
		.amdhsa_float_denorm_mode_16_64 3
		.amdhsa_dx10_clamp 1
		.amdhsa_ieee_mode 1
		.amdhsa_fp16_overflow 0
		.amdhsa_tg_split 0
		.amdhsa_exception_fp_ieee_invalid_op 0
		.amdhsa_exception_fp_denorm_src 0
		.amdhsa_exception_fp_ieee_div_zero 0
		.amdhsa_exception_fp_ieee_overflow 0
		.amdhsa_exception_fp_ieee_underflow 0
		.amdhsa_exception_fp_ieee_inexact 0
		.amdhsa_exception_int_div_zero 0
	.end_amdhsa_kernel
	.section	.text._ZN9rocsparseL21csrmvt_general_kernelILj256ELj64Elid21rocsparse_complex_numIdES2_S2_EEvbbT2_NS_24const_host_device_scalarIT6_EEPKT1_S9_PKS3_PKT3_PKT4_PT5_21rocsparse_index_base_b,"axG",@progbits,_ZN9rocsparseL21csrmvt_general_kernelILj256ELj64Elid21rocsparse_complex_numIdES2_S2_EEvbbT2_NS_24const_host_device_scalarIT6_EEPKT1_S9_PKS3_PKT3_PKT4_PT5_21rocsparse_index_base_b,comdat
.Lfunc_end351:
	.size	_ZN9rocsparseL21csrmvt_general_kernelILj256ELj64Elid21rocsparse_complex_numIdES2_S2_EEvbbT2_NS_24const_host_device_scalarIT6_EEPKT1_S9_PKS3_PKT3_PKT4_PT5_21rocsparse_index_base_b, .Lfunc_end351-_ZN9rocsparseL21csrmvt_general_kernelILj256ELj64Elid21rocsparse_complex_numIdES2_S2_EEvbbT2_NS_24const_host_device_scalarIT6_EEPKT1_S9_PKS3_PKT3_PKT4_PT5_21rocsparse_index_base_b
                                        ; -- End function
	.section	.AMDGPU.csdata,"",@progbits
; Kernel info:
; codeLenInByte = 1300
; NumSgprs: 34
; NumVgprs: 35
; NumAgprs: 0
; TotalNumVgprs: 35
; ScratchSize: 0
; MemoryBound: 0
; FloatMode: 240
; IeeeMode: 1
; LDSByteSize: 2048 bytes/workgroup (compile time only)
; SGPRBlocks: 4
; VGPRBlocks: 4
; NumSGPRsForWavesPerEU: 34
; NumVGPRsForWavesPerEU: 35
; AccumOffset: 36
; Occupancy: 8
; WaveLimiterHint : 1
; COMPUTE_PGM_RSRC2:SCRATCH_EN: 0
; COMPUTE_PGM_RSRC2:USER_SGPR: 8
; COMPUTE_PGM_RSRC2:TRAP_HANDLER: 0
; COMPUTE_PGM_RSRC2:TGID_X_EN: 1
; COMPUTE_PGM_RSRC2:TGID_Y_EN: 0
; COMPUTE_PGM_RSRC2:TGID_Z_EN: 0
; COMPUTE_PGM_RSRC2:TIDIG_COMP_CNT: 2
; COMPUTE_PGM_RSRC3_GFX90A:ACCUM_OFFSET: 8
; COMPUTE_PGM_RSRC3_GFX90A:TG_SPLIT: 0
	.section	.text._ZN9rocsparseL21csrmvn_general_kernelILj256ELj2Elld21rocsparse_complex_numIdES2_S2_EEvbT2_NS_24const_host_device_scalarIT6_EEPKT1_S9_PKS3_PKT3_PKT4_S6_PT5_21rocsparse_index_base_b,"axG",@progbits,_ZN9rocsparseL21csrmvn_general_kernelILj256ELj2Elld21rocsparse_complex_numIdES2_S2_EEvbT2_NS_24const_host_device_scalarIT6_EEPKT1_S9_PKS3_PKT3_PKT4_S6_PT5_21rocsparse_index_base_b,comdat
	.globl	_ZN9rocsparseL21csrmvn_general_kernelILj256ELj2Elld21rocsparse_complex_numIdES2_S2_EEvbT2_NS_24const_host_device_scalarIT6_EEPKT1_S9_PKS3_PKT3_PKT4_S6_PT5_21rocsparse_index_base_b ; -- Begin function _ZN9rocsparseL21csrmvn_general_kernelILj256ELj2Elld21rocsparse_complex_numIdES2_S2_EEvbT2_NS_24const_host_device_scalarIT6_EEPKT1_S9_PKS3_PKT3_PKT4_S6_PT5_21rocsparse_index_base_b
	.p2align	8
	.type	_ZN9rocsparseL21csrmvn_general_kernelILj256ELj2Elld21rocsparse_complex_numIdES2_S2_EEvbT2_NS_24const_host_device_scalarIT6_EEPKT1_S9_PKS3_PKT3_PKT4_S6_PT5_21rocsparse_index_base_b,@function
_ZN9rocsparseL21csrmvn_general_kernelILj256ELj2Elld21rocsparse_complex_numIdES2_S2_EEvbT2_NS_24const_host_device_scalarIT6_EEPKT1_S9_PKS3_PKT3_PKT4_S6_PT5_21rocsparse_index_base_b: ; @_ZN9rocsparseL21csrmvn_general_kernelILj256ELj2Elld21rocsparse_complex_numIdES2_S2_EEvbT2_NS_24const_host_device_scalarIT6_EEPKT1_S9_PKS3_PKT3_PKT4_S6_PT5_21rocsparse_index_base_b
; %bb.0:
	s_load_dwordx2 s[24:25], s[6:7], 0x60
	s_load_dwordx8 s[12:19], s[6:7], 0x8
	s_load_dwordx4 s[20:23], s[6:7], 0x48
	s_mov_b64 s[2:3], src_shared_base
	s_load_dwordx2 s[4:5], s[4:5], 0x4
	s_waitcnt lgkmcnt(0)
	s_bitcmp1_b32 s25, 0
	s_cselect_b64 s[0:1], -1, 0
	s_and_b64 vcc, s[0:1], exec
	s_cselect_b32 s2, s3, s15
	s_lshr_b32 s4, s4, 16
	v_and_b32_e32 v1, 0x3ff, v0
	s_mul_i32 s4, s4, s5
	v_mul_lo_u32 v2, s4, v1
	v_bfe_u32 v3, v0, 10, 10
	v_mad_u32_u24 v2, v3, s5, v2
	v_bfe_u32 v0, v0, 20, 10
	v_add_lshl_u32 v0, v2, v0, 3
	v_mov_b32_e32 v6, s14
	v_add_u32_e32 v7, 0x800, v0
	v_pk_mov_b32 v[2:3], s[14:15], s[14:15] op_sel:[0,1]
	v_pk_mov_b32 v[4:5], s[20:21], s[20:21] op_sel:[0,1]
	ds_write2st64_b64 v0, v[4:5], v[2:3] offset1:4
	v_cndmask_b32_e64 v2, v6, v7, s[0:1]
	v_mov_b32_e32 v3, s2
	flat_load_dwordx2 v[4:5], v[2:3]
	s_xor_b64 s[4:5], s[0:1], -1
	v_pk_mov_b32 v[6:7], s[16:17], s[16:17] op_sel:[0,1]
	s_cbranch_vccnz .LBB352_2
; %bb.1:
	v_pk_mov_b32 v[2:3], s[14:15], s[14:15] op_sel:[0,1]
	flat_load_dwordx2 v[6:7], v[2:3] offset:8
.LBB352_2:
	s_and_b64 s[10:11], s[0:1], exec
	s_cselect_b32 s2, s3, s21
	v_mov_b32_e32 v2, s20
	v_cndmask_b32_e64 v2, v2, v0, s[0:1]
	v_mov_b32_e32 v3, s2
	flat_load_dwordx2 v[8:9], v[2:3]
	s_andn2_b64 vcc, exec, s[4:5]
	v_pk_mov_b32 v[10:11], s[22:23], s[22:23] op_sel:[0,1]
	s_cbranch_vccnz .LBB352_4
; %bb.3:
	v_pk_mov_b32 v[2:3], s[20:21], s[20:21] op_sel:[0,1]
	flat_load_dwordx2 v[10:11], v[2:3] offset:8
.LBB352_4:
	s_waitcnt vmcnt(0) lgkmcnt(0)
	v_cmp_eq_f64_e32 vcc, 0, v[4:5]
	v_cmp_eq_f64_e64 s[0:1], 0, v[6:7]
	s_and_b64 s[4:5], vcc, s[0:1]
	s_mov_b64 s[0:1], -1
	s_and_saveexec_b64 s[2:3], s[4:5]
; %bb.5:
	v_cmp_neq_f64_e32 vcc, 1.0, v[8:9]
	v_cmp_neq_f64_e64 s[0:1], 0, v[10:11]
	s_or_b64 s[0:1], vcc, s[0:1]
	s_orn2_b64 s[0:1], s[0:1], exec
; %bb.6:
	s_or_b64 exec, exec, s[2:3]
	s_and_saveexec_b64 s[2:3], s[0:1]
	s_cbranch_execz .LBB352_18
; %bb.7:
	s_load_dwordx2 s[4:5], s[6:7], 0x28
	v_lshl_or_b32 v0, s8, 8, v1
	v_lshrrev_b32_e32 v12, 1, v0
	v_mov_b32_e32 v13, 0
	v_cmp_gt_i64_e32 vcc, s[12:13], v[12:13]
	s_and_b64 exec, exec, vcc
	s_cbranch_execz .LBB352_18
; %bb.8:
	s_load_dword s2, s[6:7], 0x68
	s_load_dwordx2 s[14:15], s[6:7], 0x58
	s_load_dwordx4 s[8:11], s[6:7], 0x30
	s_load_dwordx2 s[0:1], s[6:7], 0x40
	v_and_b32_e32 v0, 1, v1
	v_subrev_co_u32_e32 v26, vcc, s24, v0
	s_waitcnt lgkmcnt(0)
	s_lshl_b32 s23, s2, 7
	v_subb_co_u32_e64 v27, s[2:3], 0, 0, vcc
	s_mov_b32 s2, 0
	s_brev_b32 s3, 1
	v_mul_f64 v[14:15], v[6:7], s[2:3]
	s_ashr_i32 s3, s24, 31
	s_mov_b32 s2, s24
	s_lshl_b64 s[2:3], s[2:3], 4
	s_sub_u32 s25, s0, s2
	s_mov_b32 s22, 0
	s_subb_u32 s17, s1, s3
	v_cmp_neq_f64_e64 s[0:1], 0, v[8:9]
	v_cmp_neq_f64_e64 s[2:3], 0, v[10:11]
	s_mov_b64 s[6:7], 0
	v_mul_f64 v[16:17], v[4:5], 0
	v_cmp_eq_u32_e32 vcc, 1, v0
	s_or_b64 s[2:3], s[0:1], s[2:3]
	v_mov_b32_e32 v28, s19
	v_mov_b32_e32 v29, s5
	;; [unrolled: 1-line block ×4, first 2 shown]
	s_mov_b32 s16, s22
	s_branch .LBB352_11
.LBB352_9:                              ;   in Loop: Header=BB352_11 Depth=1
	s_or_b64 exec, exec, s[0:1]
	global_store_dwordx4 v[18:19], v[0:3], off
.LBB352_10:                             ;   in Loop: Header=BB352_11 Depth=1
	s_or_b64 exec, exec, s[16:17]
	v_mov_b32_e32 v0, s22
	v_add_co_u32_e64 v12, s[0:1], s23, v12
	v_addc_co_u32_e64 v13, s[0:1], v13, v0, s[0:1]
	v_cmp_le_i64_e64 s[0:1], s[12:13], v[12:13]
	s_or_b64 s[6:7], s[0:1], s[6:7]
	s_andn2_b64 exec, exec, s[6:7]
	s_cbranch_execz .LBB352_18
.LBB352_11:                             ; =>This Loop Header: Depth=1
                                        ;     Child Loop BB352_13 Depth 2
	v_lshlrev_b64 v[0:1], 3, v[12:13]
	v_add_co_u32_e64 v2, s[0:1], s4, v0
	v_addc_co_u32_e64 v3, s[0:1], v29, v1, s[0:1]
	global_load_dwordx2 v[18:19], v[2:3], off
	v_add_co_u32_e64 v0, s[0:1], s18, v0
	v_addc_co_u32_e64 v1, s[0:1], v28, v1, s[0:1]
	global_load_dwordx2 v[20:21], v[0:1], off
	v_pk_mov_b32 v[2:3], 0, 0
	s_waitcnt vmcnt(1)
	v_subrev_co_u32_e64 v0, s[0:1], s24, v18
	v_subb_co_u32_e64 v1, s[0:1], v19, v30, s[0:1]
	s_waitcnt vmcnt(0)
	v_add_co_u32_e64 v18, s[0:1], v20, v26
	v_addc_co_u32_e64 v19, s[0:1], v21, v27, s[0:1]
	v_cmp_lt_i64_e64 s[0:1], v[18:19], v[0:1]
	v_pk_mov_b32 v[20:21], v[2:3], v[2:3] op_sel:[0,1]
	s_and_saveexec_b64 s[16:17], s[0:1]
	s_cbranch_execz .LBB352_15
; %bb.12:                               ;   in Loop: Header=BB352_11 Depth=1
	v_lshlrev_b64 v[2:3], 3, v[18:19]
	v_mov_b32_e32 v20, s11
	v_add_co_u32_e64 v22, s[0:1], s10, v2
	v_addc_co_u32_e64 v23, s[0:1], v20, v3, s[0:1]
	v_mov_b32_e32 v20, s9
	v_add_co_u32_e64 v24, s[0:1], s8, v2
	v_addc_co_u32_e64 v25, s[0:1], v20, v3, s[0:1]
	v_pk_mov_b32 v[2:3], 0, 0
	s_mov_b64 s[20:21], 0
	v_pk_mov_b32 v[20:21], v[2:3], v[2:3] op_sel:[0,1]
.LBB352_13:                             ;   Parent Loop BB352_11 Depth=1
                                        ; =>  This Inner Loop Header: Depth=2
	global_load_dwordx2 v[32:33], v[24:25], off
	global_load_dwordx2 v[36:37], v[22:23], off
	s_waitcnt vmcnt(1)
	v_lshlrev_b64 v[32:33], 4, v[32:33]
	v_add_co_u32_e64 v32, s[0:1], s25, v32
	v_addc_co_u32_e64 v33, s[0:1], v31, v33, s[0:1]
	global_load_dwordx4 v[32:35], v[32:33], off
	v_add_co_u32_e64 v18, s[0:1], 2, v18
	v_addc_co_u32_e64 v19, s[0:1], 0, v19, s[0:1]
	v_add_co_u32_e64 v22, s[0:1], 16, v22
	v_addc_co_u32_e64 v23, s[0:1], 0, v23, s[0:1]
	;; [unrolled: 2-line block ×3, first 2 shown]
	s_waitcnt vmcnt(1)
	v_fma_f64 v[38:39], v[4:5], v[36:37], v[14:15]
	v_fma_f64 v[36:37], v[6:7], v[36:37], v[16:17]
	v_cmp_ge_i64_e64 s[0:1], v[18:19], v[0:1]
	s_or_b64 s[20:21], s[0:1], s[20:21]
	s_waitcnt vmcnt(0)
	v_fmac_f64_e32 v[20:21], v[38:39], v[32:33]
	v_fmac_f64_e32 v[2:3], v[36:37], v[32:33]
	v_fma_f64 v[20:21], -v[36:37], v[34:35], v[20:21]
	v_fmac_f64_e32 v[2:3], v[38:39], v[34:35]
	s_andn2_b64 exec, exec, s[20:21]
	s_cbranch_execnz .LBB352_13
; %bb.14:                               ;   in Loop: Header=BB352_11 Depth=1
	s_or_b64 exec, exec, s[20:21]
.LBB352_15:                             ;   in Loop: Header=BB352_11 Depth=1
	s_or_b64 exec, exec, s[16:17]
	v_mov_b32_dpp v0, v20 row_shr:1 row_mask:0xf bank_mask:0xf
	v_mov_b32_dpp v1, v21 row_shr:1 row_mask:0xf bank_mask:0xf
	;; [unrolled: 1-line block ×4, first 2 shown]
	s_and_saveexec_b64 s[16:17], vcc
	s_cbranch_execz .LBB352_10
; %bb.16:                               ;   in Loop: Header=BB352_11 Depth=1
	v_add_f64 v[2:3], v[2:3], v[18:19]
	v_lshlrev_b64 v[18:19], 4, v[12:13]
	v_add_f64 v[0:1], v[20:21], v[0:1]
	v_mov_b32_e32 v20, s15
	v_add_co_u32_e64 v18, s[0:1], s14, v18
	v_addc_co_u32_e64 v19, s[0:1], v20, v19, s[0:1]
	s_and_saveexec_b64 s[0:1], s[2:3]
	s_cbranch_execz .LBB352_9
; %bb.17:                               ;   in Loop: Header=BB352_11 Depth=1
	global_load_dwordx4 v[20:23], v[18:19], off
	s_waitcnt vmcnt(0)
	v_fmac_f64_e32 v[0:1], v[8:9], v[20:21]
	v_fmac_f64_e32 v[2:3], v[10:11], v[20:21]
	v_fma_f64 v[0:1], -v[10:11], v[22:23], v[0:1]
	v_fmac_f64_e32 v[2:3], v[8:9], v[22:23]
	s_branch .LBB352_9
.LBB352_18:
	s_endpgm
	.section	.rodata,"a",@progbits
	.p2align	6, 0x0
	.amdhsa_kernel _ZN9rocsparseL21csrmvn_general_kernelILj256ELj2Elld21rocsparse_complex_numIdES2_S2_EEvbT2_NS_24const_host_device_scalarIT6_EEPKT1_S9_PKS3_PKT3_PKT4_S6_PT5_21rocsparse_index_base_b
		.amdhsa_group_segment_fixed_size 4096
		.amdhsa_private_segment_fixed_size 0
		.amdhsa_kernarg_size 360
		.amdhsa_user_sgpr_count 8
		.amdhsa_user_sgpr_private_segment_buffer 1
		.amdhsa_user_sgpr_dispatch_ptr 1
		.amdhsa_user_sgpr_queue_ptr 0
		.amdhsa_user_sgpr_kernarg_segment_ptr 1
		.amdhsa_user_sgpr_dispatch_id 0
		.amdhsa_user_sgpr_flat_scratch_init 0
		.amdhsa_user_sgpr_kernarg_preload_length 0
		.amdhsa_user_sgpr_kernarg_preload_offset 0
		.amdhsa_user_sgpr_private_segment_size 0
		.amdhsa_uses_dynamic_stack 0
		.amdhsa_system_sgpr_private_segment_wavefront_offset 0
		.amdhsa_system_sgpr_workgroup_id_x 1
		.amdhsa_system_sgpr_workgroup_id_y 0
		.amdhsa_system_sgpr_workgroup_id_z 0
		.amdhsa_system_sgpr_workgroup_info 0
		.amdhsa_system_vgpr_workitem_id 2
		.amdhsa_next_free_vgpr 40
		.amdhsa_next_free_sgpr 26
		.amdhsa_accum_offset 40
		.amdhsa_reserve_vcc 1
		.amdhsa_reserve_flat_scratch 0
		.amdhsa_float_round_mode_32 0
		.amdhsa_float_round_mode_16_64 0
		.amdhsa_float_denorm_mode_32 3
		.amdhsa_float_denorm_mode_16_64 3
		.amdhsa_dx10_clamp 1
		.amdhsa_ieee_mode 1
		.amdhsa_fp16_overflow 0
		.amdhsa_tg_split 0
		.amdhsa_exception_fp_ieee_invalid_op 0
		.amdhsa_exception_fp_denorm_src 0
		.amdhsa_exception_fp_ieee_div_zero 0
		.amdhsa_exception_fp_ieee_overflow 0
		.amdhsa_exception_fp_ieee_underflow 0
		.amdhsa_exception_fp_ieee_inexact 0
		.amdhsa_exception_int_div_zero 0
	.end_amdhsa_kernel
	.section	.text._ZN9rocsparseL21csrmvn_general_kernelILj256ELj2Elld21rocsparse_complex_numIdES2_S2_EEvbT2_NS_24const_host_device_scalarIT6_EEPKT1_S9_PKS3_PKT3_PKT4_S6_PT5_21rocsparse_index_base_b,"axG",@progbits,_ZN9rocsparseL21csrmvn_general_kernelILj256ELj2Elld21rocsparse_complex_numIdES2_S2_EEvbT2_NS_24const_host_device_scalarIT6_EEPKT1_S9_PKS3_PKT3_PKT4_S6_PT5_21rocsparse_index_base_b,comdat
.Lfunc_end352:
	.size	_ZN9rocsparseL21csrmvn_general_kernelILj256ELj2Elld21rocsparse_complex_numIdES2_S2_EEvbT2_NS_24const_host_device_scalarIT6_EEPKT1_S9_PKS3_PKT3_PKT4_S6_PT5_21rocsparse_index_base_b, .Lfunc_end352-_ZN9rocsparseL21csrmvn_general_kernelILj256ELj2Elld21rocsparse_complex_numIdES2_S2_EEvbT2_NS_24const_host_device_scalarIT6_EEPKT1_S9_PKS3_PKT3_PKT4_S6_PT5_21rocsparse_index_base_b
                                        ; -- End function
	.section	.AMDGPU.csdata,"",@progbits
; Kernel info:
; codeLenInByte = 1072
; NumSgprs: 30
; NumVgprs: 40
; NumAgprs: 0
; TotalNumVgprs: 40
; ScratchSize: 0
; MemoryBound: 0
; FloatMode: 240
; IeeeMode: 1
; LDSByteSize: 4096 bytes/workgroup (compile time only)
; SGPRBlocks: 3
; VGPRBlocks: 4
; NumSGPRsForWavesPerEU: 30
; NumVGPRsForWavesPerEU: 40
; AccumOffset: 40
; Occupancy: 8
; WaveLimiterHint : 1
; COMPUTE_PGM_RSRC2:SCRATCH_EN: 0
; COMPUTE_PGM_RSRC2:USER_SGPR: 8
; COMPUTE_PGM_RSRC2:TRAP_HANDLER: 0
; COMPUTE_PGM_RSRC2:TGID_X_EN: 1
; COMPUTE_PGM_RSRC2:TGID_Y_EN: 0
; COMPUTE_PGM_RSRC2:TGID_Z_EN: 0
; COMPUTE_PGM_RSRC2:TIDIG_COMP_CNT: 2
; COMPUTE_PGM_RSRC3_GFX90A:ACCUM_OFFSET: 9
; COMPUTE_PGM_RSRC3_GFX90A:TG_SPLIT: 0
	.section	.text._ZN9rocsparseL21csrmvn_general_kernelILj256ELj4Elld21rocsparse_complex_numIdES2_S2_EEvbT2_NS_24const_host_device_scalarIT6_EEPKT1_S9_PKS3_PKT3_PKT4_S6_PT5_21rocsparse_index_base_b,"axG",@progbits,_ZN9rocsparseL21csrmvn_general_kernelILj256ELj4Elld21rocsparse_complex_numIdES2_S2_EEvbT2_NS_24const_host_device_scalarIT6_EEPKT1_S9_PKS3_PKT3_PKT4_S6_PT5_21rocsparse_index_base_b,comdat
	.globl	_ZN9rocsparseL21csrmvn_general_kernelILj256ELj4Elld21rocsparse_complex_numIdES2_S2_EEvbT2_NS_24const_host_device_scalarIT6_EEPKT1_S9_PKS3_PKT3_PKT4_S6_PT5_21rocsparse_index_base_b ; -- Begin function _ZN9rocsparseL21csrmvn_general_kernelILj256ELj4Elld21rocsparse_complex_numIdES2_S2_EEvbT2_NS_24const_host_device_scalarIT6_EEPKT1_S9_PKS3_PKT3_PKT4_S6_PT5_21rocsparse_index_base_b
	.p2align	8
	.type	_ZN9rocsparseL21csrmvn_general_kernelILj256ELj4Elld21rocsparse_complex_numIdES2_S2_EEvbT2_NS_24const_host_device_scalarIT6_EEPKT1_S9_PKS3_PKT3_PKT4_S6_PT5_21rocsparse_index_base_b,@function
_ZN9rocsparseL21csrmvn_general_kernelILj256ELj4Elld21rocsparse_complex_numIdES2_S2_EEvbT2_NS_24const_host_device_scalarIT6_EEPKT1_S9_PKS3_PKT3_PKT4_S6_PT5_21rocsparse_index_base_b: ; @_ZN9rocsparseL21csrmvn_general_kernelILj256ELj4Elld21rocsparse_complex_numIdES2_S2_EEvbT2_NS_24const_host_device_scalarIT6_EEPKT1_S9_PKS3_PKT3_PKT4_S6_PT5_21rocsparse_index_base_b
; %bb.0:
	s_load_dwordx2 s[24:25], s[6:7], 0x60
	s_load_dwordx8 s[12:19], s[6:7], 0x8
	s_load_dwordx4 s[20:23], s[6:7], 0x48
	s_mov_b64 s[2:3], src_shared_base
	s_load_dwordx2 s[4:5], s[4:5], 0x4
	s_waitcnt lgkmcnt(0)
	s_bitcmp1_b32 s25, 0
	s_cselect_b64 s[0:1], -1, 0
	s_and_b64 vcc, s[0:1], exec
	s_cselect_b32 s2, s3, s15
	s_lshr_b32 s4, s4, 16
	v_and_b32_e32 v1, 0x3ff, v0
	s_mul_i32 s4, s4, s5
	v_mul_lo_u32 v2, s4, v1
	v_bfe_u32 v3, v0, 10, 10
	v_mad_u32_u24 v2, v3, s5, v2
	v_bfe_u32 v0, v0, 20, 10
	v_add_lshl_u32 v0, v2, v0, 3
	v_mov_b32_e32 v6, s14
	v_add_u32_e32 v7, 0x800, v0
	v_pk_mov_b32 v[2:3], s[14:15], s[14:15] op_sel:[0,1]
	v_pk_mov_b32 v[4:5], s[20:21], s[20:21] op_sel:[0,1]
	ds_write2st64_b64 v0, v[4:5], v[2:3] offset1:4
	v_cndmask_b32_e64 v2, v6, v7, s[0:1]
	v_mov_b32_e32 v3, s2
	flat_load_dwordx2 v[4:5], v[2:3]
	s_xor_b64 s[4:5], s[0:1], -1
	v_pk_mov_b32 v[6:7], s[16:17], s[16:17] op_sel:[0,1]
	s_cbranch_vccnz .LBB353_2
; %bb.1:
	v_pk_mov_b32 v[2:3], s[14:15], s[14:15] op_sel:[0,1]
	flat_load_dwordx2 v[6:7], v[2:3] offset:8
.LBB353_2:
	s_and_b64 s[10:11], s[0:1], exec
	s_cselect_b32 s2, s3, s21
	v_mov_b32_e32 v2, s20
	v_cndmask_b32_e64 v2, v2, v0, s[0:1]
	v_mov_b32_e32 v3, s2
	flat_load_dwordx2 v[8:9], v[2:3]
	s_andn2_b64 vcc, exec, s[4:5]
	v_pk_mov_b32 v[10:11], s[22:23], s[22:23] op_sel:[0,1]
	s_cbranch_vccnz .LBB353_4
; %bb.3:
	v_pk_mov_b32 v[2:3], s[20:21], s[20:21] op_sel:[0,1]
	flat_load_dwordx2 v[10:11], v[2:3] offset:8
.LBB353_4:
	s_waitcnt vmcnt(0) lgkmcnt(0)
	v_cmp_eq_f64_e32 vcc, 0, v[4:5]
	v_cmp_eq_f64_e64 s[0:1], 0, v[6:7]
	s_and_b64 s[4:5], vcc, s[0:1]
	s_mov_b64 s[0:1], -1
	s_and_saveexec_b64 s[2:3], s[4:5]
; %bb.5:
	v_cmp_neq_f64_e32 vcc, 1.0, v[8:9]
	v_cmp_neq_f64_e64 s[0:1], 0, v[10:11]
	s_or_b64 s[0:1], vcc, s[0:1]
	s_orn2_b64 s[0:1], s[0:1], exec
; %bb.6:
	s_or_b64 exec, exec, s[2:3]
	s_and_saveexec_b64 s[2:3], s[0:1]
	s_cbranch_execz .LBB353_18
; %bb.7:
	s_load_dwordx2 s[4:5], s[6:7], 0x28
	v_lshl_or_b32 v0, s8, 8, v1
	v_lshrrev_b32_e32 v12, 2, v0
	v_mov_b32_e32 v13, 0
	v_cmp_gt_i64_e32 vcc, s[12:13], v[12:13]
	s_and_b64 exec, exec, vcc
	s_cbranch_execz .LBB353_18
; %bb.8:
	s_load_dword s2, s[6:7], 0x68
	s_load_dwordx2 s[14:15], s[6:7], 0x58
	s_load_dwordx4 s[8:11], s[6:7], 0x30
	s_load_dwordx2 s[0:1], s[6:7], 0x40
	v_and_b32_e32 v0, 3, v1
	v_subrev_co_u32_e32 v26, vcc, s24, v0
	s_waitcnt lgkmcnt(0)
	s_lshl_b32 s23, s2, 6
	v_subb_co_u32_e64 v27, s[2:3], 0, 0, vcc
	s_mov_b32 s2, 0
	s_brev_b32 s3, 1
	v_mul_f64 v[14:15], v[6:7], s[2:3]
	s_ashr_i32 s3, s24, 31
	s_mov_b32 s2, s24
	s_lshl_b64 s[2:3], s[2:3], 4
	s_sub_u32 s25, s0, s2
	s_mov_b32 s22, 0
	s_subb_u32 s17, s1, s3
	v_cmp_neq_f64_e64 s[0:1], 0, v[8:9]
	v_cmp_neq_f64_e64 s[2:3], 0, v[10:11]
	s_mov_b64 s[6:7], 0
	v_mul_f64 v[16:17], v[4:5], 0
	v_cmp_eq_u32_e32 vcc, 3, v0
	s_or_b64 s[2:3], s[0:1], s[2:3]
	v_mov_b32_e32 v28, s19
	v_mov_b32_e32 v29, s5
	;; [unrolled: 1-line block ×4, first 2 shown]
	s_mov_b32 s16, s22
	s_branch .LBB353_11
.LBB353_9:                              ;   in Loop: Header=BB353_11 Depth=1
	s_or_b64 exec, exec, s[0:1]
	global_store_dwordx4 v[18:19], v[0:3], off
.LBB353_10:                             ;   in Loop: Header=BB353_11 Depth=1
	s_or_b64 exec, exec, s[16:17]
	v_mov_b32_e32 v0, s22
	v_add_co_u32_e64 v12, s[0:1], s23, v12
	v_addc_co_u32_e64 v13, s[0:1], v13, v0, s[0:1]
	v_cmp_le_i64_e64 s[0:1], s[12:13], v[12:13]
	s_or_b64 s[6:7], s[0:1], s[6:7]
	s_andn2_b64 exec, exec, s[6:7]
	s_cbranch_execz .LBB353_18
.LBB353_11:                             ; =>This Loop Header: Depth=1
                                        ;     Child Loop BB353_13 Depth 2
	v_lshlrev_b64 v[0:1], 3, v[12:13]
	v_add_co_u32_e64 v2, s[0:1], s4, v0
	v_addc_co_u32_e64 v3, s[0:1], v29, v1, s[0:1]
	global_load_dwordx2 v[2:3], v[2:3], off
	v_add_co_u32_e64 v0, s[0:1], s18, v0
	v_addc_co_u32_e64 v1, s[0:1], v28, v1, s[0:1]
	global_load_dwordx2 v[18:19], v[0:1], off
	v_pk_mov_b32 v[0:1], 0, 0
	v_pk_mov_b32 v[20:21], v[0:1], v[0:1] op_sel:[0,1]
	s_waitcnt vmcnt(1)
	v_subrev_co_u32_e64 v2, s[0:1], s24, v2
	v_subb_co_u32_e64 v3, s[0:1], v3, v30, s[0:1]
	s_waitcnt vmcnt(0)
	v_add_co_u32_e64 v18, s[0:1], v18, v26
	v_addc_co_u32_e64 v19, s[0:1], v19, v27, s[0:1]
	v_cmp_lt_i64_e64 s[0:1], v[18:19], v[2:3]
	s_and_saveexec_b64 s[16:17], s[0:1]
	s_cbranch_execz .LBB353_15
; %bb.12:                               ;   in Loop: Header=BB353_11 Depth=1
	v_lshlrev_b64 v[0:1], 3, v[18:19]
	v_mov_b32_e32 v20, s11
	v_add_co_u32_e64 v22, s[0:1], s10, v0
	v_addc_co_u32_e64 v23, s[0:1], v20, v1, s[0:1]
	v_mov_b32_e32 v20, s9
	v_add_co_u32_e64 v24, s[0:1], s8, v0
	v_addc_co_u32_e64 v25, s[0:1], v20, v1, s[0:1]
	v_pk_mov_b32 v[0:1], 0, 0
	s_mov_b64 s[20:21], 0
	v_pk_mov_b32 v[20:21], v[0:1], v[0:1] op_sel:[0,1]
.LBB353_13:                             ;   Parent Loop BB353_11 Depth=1
                                        ; =>  This Inner Loop Header: Depth=2
	global_load_dwordx2 v[32:33], v[24:25], off
	global_load_dwordx2 v[36:37], v[22:23], off
	s_waitcnt vmcnt(1)
	v_lshlrev_b64 v[32:33], 4, v[32:33]
	v_add_co_u32_e64 v32, s[0:1], s25, v32
	v_addc_co_u32_e64 v33, s[0:1], v31, v33, s[0:1]
	global_load_dwordx4 v[32:35], v[32:33], off
	v_add_co_u32_e64 v18, s[0:1], 4, v18
	v_addc_co_u32_e64 v19, s[0:1], 0, v19, s[0:1]
	v_add_co_u32_e64 v22, s[0:1], 32, v22
	v_addc_co_u32_e64 v23, s[0:1], 0, v23, s[0:1]
	v_add_co_u32_e64 v24, s[0:1], 32, v24
	v_addc_co_u32_e64 v25, s[0:1], 0, v25, s[0:1]
	s_waitcnt vmcnt(1)
	v_fma_f64 v[38:39], v[4:5], v[36:37], v[14:15]
	v_fma_f64 v[36:37], v[6:7], v[36:37], v[16:17]
	v_cmp_ge_i64_e64 s[0:1], v[18:19], v[2:3]
	s_or_b64 s[20:21], s[0:1], s[20:21]
	s_waitcnt vmcnt(0)
	v_fmac_f64_e32 v[20:21], v[38:39], v[32:33]
	v_fmac_f64_e32 v[0:1], v[36:37], v[32:33]
	v_fma_f64 v[20:21], -v[36:37], v[34:35], v[20:21]
	v_fmac_f64_e32 v[0:1], v[38:39], v[34:35]
	s_andn2_b64 exec, exec, s[20:21]
	s_cbranch_execnz .LBB353_13
; %bb.14:                               ;   in Loop: Header=BB353_11 Depth=1
	s_or_b64 exec, exec, s[20:21]
.LBB353_15:                             ;   in Loop: Header=BB353_11 Depth=1
	s_or_b64 exec, exec, s[16:17]
	v_mov_b32_dpp v2, v20 row_shr:1 row_mask:0xf bank_mask:0xf
	v_mov_b32_dpp v3, v21 row_shr:1 row_mask:0xf bank_mask:0xf
	v_add_f64 v[2:3], v[20:21], v[2:3]
	v_mov_b32_dpp v20, v0 row_shr:1 row_mask:0xf bank_mask:0xf
	v_mov_b32_dpp v21, v1 row_shr:1 row_mask:0xf bank_mask:0xf
	v_add_f64 v[20:21], v[0:1], v[20:21]
	v_mov_b32_dpp v18, v2 row_shr:2 row_mask:0xf bank_mask:0xf
	v_mov_b32_dpp v19, v3 row_shr:2 row_mask:0xf bank_mask:0xf
	v_mov_b32_dpp v22, v20 row_shr:2 row_mask:0xf bank_mask:0xf
	v_mov_b32_dpp v23, v21 row_shr:2 row_mask:0xf bank_mask:0xf
	s_and_saveexec_b64 s[16:17], vcc
	s_cbranch_execz .LBB353_10
; %bb.16:                               ;   in Loop: Header=BB353_11 Depth=1
	v_add_f64 v[0:1], v[2:3], v[18:19]
	v_lshlrev_b64 v[18:19], 4, v[12:13]
	v_add_f64 v[2:3], v[20:21], v[22:23]
	v_mov_b32_e32 v20, s15
	v_add_co_u32_e64 v18, s[0:1], s14, v18
	v_addc_co_u32_e64 v19, s[0:1], v20, v19, s[0:1]
	s_and_saveexec_b64 s[0:1], s[2:3]
	s_cbranch_execz .LBB353_9
; %bb.17:                               ;   in Loop: Header=BB353_11 Depth=1
	global_load_dwordx4 v[20:23], v[18:19], off
	s_waitcnt vmcnt(0)
	v_fmac_f64_e32 v[0:1], v[8:9], v[20:21]
	v_fmac_f64_e32 v[2:3], v[10:11], v[20:21]
	v_fma_f64 v[0:1], -v[10:11], v[22:23], v[0:1]
	v_fmac_f64_e32 v[2:3], v[8:9], v[22:23]
	s_branch .LBB353_9
.LBB353_18:
	s_endpgm
	.section	.rodata,"a",@progbits
	.p2align	6, 0x0
	.amdhsa_kernel _ZN9rocsparseL21csrmvn_general_kernelILj256ELj4Elld21rocsparse_complex_numIdES2_S2_EEvbT2_NS_24const_host_device_scalarIT6_EEPKT1_S9_PKS3_PKT3_PKT4_S6_PT5_21rocsparse_index_base_b
		.amdhsa_group_segment_fixed_size 4096
		.amdhsa_private_segment_fixed_size 0
		.amdhsa_kernarg_size 360
		.amdhsa_user_sgpr_count 8
		.amdhsa_user_sgpr_private_segment_buffer 1
		.amdhsa_user_sgpr_dispatch_ptr 1
		.amdhsa_user_sgpr_queue_ptr 0
		.amdhsa_user_sgpr_kernarg_segment_ptr 1
		.amdhsa_user_sgpr_dispatch_id 0
		.amdhsa_user_sgpr_flat_scratch_init 0
		.amdhsa_user_sgpr_kernarg_preload_length 0
		.amdhsa_user_sgpr_kernarg_preload_offset 0
		.amdhsa_user_sgpr_private_segment_size 0
		.amdhsa_uses_dynamic_stack 0
		.amdhsa_system_sgpr_private_segment_wavefront_offset 0
		.amdhsa_system_sgpr_workgroup_id_x 1
		.amdhsa_system_sgpr_workgroup_id_y 0
		.amdhsa_system_sgpr_workgroup_id_z 0
		.amdhsa_system_sgpr_workgroup_info 0
		.amdhsa_system_vgpr_workitem_id 2
		.amdhsa_next_free_vgpr 40
		.amdhsa_next_free_sgpr 26
		.amdhsa_accum_offset 40
		.amdhsa_reserve_vcc 1
		.amdhsa_reserve_flat_scratch 0
		.amdhsa_float_round_mode_32 0
		.amdhsa_float_round_mode_16_64 0
		.amdhsa_float_denorm_mode_32 3
		.amdhsa_float_denorm_mode_16_64 3
		.amdhsa_dx10_clamp 1
		.amdhsa_ieee_mode 1
		.amdhsa_fp16_overflow 0
		.amdhsa_tg_split 0
		.amdhsa_exception_fp_ieee_invalid_op 0
		.amdhsa_exception_fp_denorm_src 0
		.amdhsa_exception_fp_ieee_div_zero 0
		.amdhsa_exception_fp_ieee_overflow 0
		.amdhsa_exception_fp_ieee_underflow 0
		.amdhsa_exception_fp_ieee_inexact 0
		.amdhsa_exception_int_div_zero 0
	.end_amdhsa_kernel
	.section	.text._ZN9rocsparseL21csrmvn_general_kernelILj256ELj4Elld21rocsparse_complex_numIdES2_S2_EEvbT2_NS_24const_host_device_scalarIT6_EEPKT1_S9_PKS3_PKT3_PKT4_S6_PT5_21rocsparse_index_base_b,"axG",@progbits,_ZN9rocsparseL21csrmvn_general_kernelILj256ELj4Elld21rocsparse_complex_numIdES2_S2_EEvbT2_NS_24const_host_device_scalarIT6_EEPKT1_S9_PKS3_PKT3_PKT4_S6_PT5_21rocsparse_index_base_b,comdat
.Lfunc_end353:
	.size	_ZN9rocsparseL21csrmvn_general_kernelILj256ELj4Elld21rocsparse_complex_numIdES2_S2_EEvbT2_NS_24const_host_device_scalarIT6_EEPKT1_S9_PKS3_PKT3_PKT4_S6_PT5_21rocsparse_index_base_b, .Lfunc_end353-_ZN9rocsparseL21csrmvn_general_kernelILj256ELj4Elld21rocsparse_complex_numIdES2_S2_EEvbT2_NS_24const_host_device_scalarIT6_EEPKT1_S9_PKS3_PKT3_PKT4_S6_PT5_21rocsparse_index_base_b
                                        ; -- End function
	.section	.AMDGPU.csdata,"",@progbits
; Kernel info:
; codeLenInByte = 1120
; NumSgprs: 30
; NumVgprs: 40
; NumAgprs: 0
; TotalNumVgprs: 40
; ScratchSize: 0
; MemoryBound: 0
; FloatMode: 240
; IeeeMode: 1
; LDSByteSize: 4096 bytes/workgroup (compile time only)
; SGPRBlocks: 3
; VGPRBlocks: 4
; NumSGPRsForWavesPerEU: 30
; NumVGPRsForWavesPerEU: 40
; AccumOffset: 40
; Occupancy: 8
; WaveLimiterHint : 1
; COMPUTE_PGM_RSRC2:SCRATCH_EN: 0
; COMPUTE_PGM_RSRC2:USER_SGPR: 8
; COMPUTE_PGM_RSRC2:TRAP_HANDLER: 0
; COMPUTE_PGM_RSRC2:TGID_X_EN: 1
; COMPUTE_PGM_RSRC2:TGID_Y_EN: 0
; COMPUTE_PGM_RSRC2:TGID_Z_EN: 0
; COMPUTE_PGM_RSRC2:TIDIG_COMP_CNT: 2
; COMPUTE_PGM_RSRC3_GFX90A:ACCUM_OFFSET: 9
; COMPUTE_PGM_RSRC3_GFX90A:TG_SPLIT: 0
	.section	.text._ZN9rocsparseL21csrmvn_general_kernelILj256ELj8Elld21rocsparse_complex_numIdES2_S2_EEvbT2_NS_24const_host_device_scalarIT6_EEPKT1_S9_PKS3_PKT3_PKT4_S6_PT5_21rocsparse_index_base_b,"axG",@progbits,_ZN9rocsparseL21csrmvn_general_kernelILj256ELj8Elld21rocsparse_complex_numIdES2_S2_EEvbT2_NS_24const_host_device_scalarIT6_EEPKT1_S9_PKS3_PKT3_PKT4_S6_PT5_21rocsparse_index_base_b,comdat
	.globl	_ZN9rocsparseL21csrmvn_general_kernelILj256ELj8Elld21rocsparse_complex_numIdES2_S2_EEvbT2_NS_24const_host_device_scalarIT6_EEPKT1_S9_PKS3_PKT3_PKT4_S6_PT5_21rocsparse_index_base_b ; -- Begin function _ZN9rocsparseL21csrmvn_general_kernelILj256ELj8Elld21rocsparse_complex_numIdES2_S2_EEvbT2_NS_24const_host_device_scalarIT6_EEPKT1_S9_PKS3_PKT3_PKT4_S6_PT5_21rocsparse_index_base_b
	.p2align	8
	.type	_ZN9rocsparseL21csrmvn_general_kernelILj256ELj8Elld21rocsparse_complex_numIdES2_S2_EEvbT2_NS_24const_host_device_scalarIT6_EEPKT1_S9_PKS3_PKT3_PKT4_S6_PT5_21rocsparse_index_base_b,@function
_ZN9rocsparseL21csrmvn_general_kernelILj256ELj8Elld21rocsparse_complex_numIdES2_S2_EEvbT2_NS_24const_host_device_scalarIT6_EEPKT1_S9_PKS3_PKT3_PKT4_S6_PT5_21rocsparse_index_base_b: ; @_ZN9rocsparseL21csrmvn_general_kernelILj256ELj8Elld21rocsparse_complex_numIdES2_S2_EEvbT2_NS_24const_host_device_scalarIT6_EEPKT1_S9_PKS3_PKT3_PKT4_S6_PT5_21rocsparse_index_base_b
; %bb.0:
	s_load_dwordx2 s[24:25], s[6:7], 0x60
	s_load_dwordx8 s[12:19], s[6:7], 0x8
	s_load_dwordx4 s[20:23], s[6:7], 0x48
	s_mov_b64 s[2:3], src_shared_base
	s_load_dwordx2 s[4:5], s[4:5], 0x4
	s_waitcnt lgkmcnt(0)
	s_bitcmp1_b32 s25, 0
	s_cselect_b64 s[0:1], -1, 0
	s_and_b64 vcc, s[0:1], exec
	s_cselect_b32 s2, s3, s15
	s_lshr_b32 s4, s4, 16
	v_and_b32_e32 v1, 0x3ff, v0
	s_mul_i32 s4, s4, s5
	v_mul_lo_u32 v2, s4, v1
	v_bfe_u32 v3, v0, 10, 10
	v_mad_u32_u24 v2, v3, s5, v2
	v_bfe_u32 v0, v0, 20, 10
	v_add_lshl_u32 v0, v2, v0, 3
	v_mov_b32_e32 v6, s14
	v_add_u32_e32 v7, 0x800, v0
	v_pk_mov_b32 v[2:3], s[14:15], s[14:15] op_sel:[0,1]
	v_pk_mov_b32 v[4:5], s[20:21], s[20:21] op_sel:[0,1]
	ds_write2st64_b64 v0, v[4:5], v[2:3] offset1:4
	v_cndmask_b32_e64 v2, v6, v7, s[0:1]
	v_mov_b32_e32 v3, s2
	flat_load_dwordx2 v[4:5], v[2:3]
	s_xor_b64 s[4:5], s[0:1], -1
	v_pk_mov_b32 v[6:7], s[16:17], s[16:17] op_sel:[0,1]
	s_cbranch_vccnz .LBB354_2
; %bb.1:
	v_pk_mov_b32 v[2:3], s[14:15], s[14:15] op_sel:[0,1]
	flat_load_dwordx2 v[6:7], v[2:3] offset:8
.LBB354_2:
	s_and_b64 s[10:11], s[0:1], exec
	s_cselect_b32 s2, s3, s21
	v_mov_b32_e32 v2, s20
	v_cndmask_b32_e64 v2, v2, v0, s[0:1]
	v_mov_b32_e32 v3, s2
	flat_load_dwordx2 v[8:9], v[2:3]
	s_andn2_b64 vcc, exec, s[4:5]
	v_pk_mov_b32 v[10:11], s[22:23], s[22:23] op_sel:[0,1]
	s_cbranch_vccnz .LBB354_4
; %bb.3:
	v_pk_mov_b32 v[2:3], s[20:21], s[20:21] op_sel:[0,1]
	flat_load_dwordx2 v[10:11], v[2:3] offset:8
.LBB354_4:
	s_waitcnt vmcnt(0) lgkmcnt(0)
	v_cmp_eq_f64_e32 vcc, 0, v[4:5]
	v_cmp_eq_f64_e64 s[0:1], 0, v[6:7]
	s_and_b64 s[4:5], vcc, s[0:1]
	s_mov_b64 s[0:1], -1
	s_and_saveexec_b64 s[2:3], s[4:5]
; %bb.5:
	v_cmp_neq_f64_e32 vcc, 1.0, v[8:9]
	v_cmp_neq_f64_e64 s[0:1], 0, v[10:11]
	s_or_b64 s[0:1], vcc, s[0:1]
	s_orn2_b64 s[0:1], s[0:1], exec
; %bb.6:
	s_or_b64 exec, exec, s[2:3]
	s_and_saveexec_b64 s[2:3], s[0:1]
	s_cbranch_execz .LBB354_18
; %bb.7:
	s_load_dwordx2 s[4:5], s[6:7], 0x28
	v_lshl_or_b32 v0, s8, 8, v1
	v_lshrrev_b32_e32 v12, 3, v0
	v_mov_b32_e32 v13, 0
	v_cmp_gt_i64_e32 vcc, s[12:13], v[12:13]
	s_and_b64 exec, exec, vcc
	s_cbranch_execz .LBB354_18
; %bb.8:
	s_load_dword s2, s[6:7], 0x68
	s_load_dwordx2 s[14:15], s[6:7], 0x58
	s_load_dwordx4 s[8:11], s[6:7], 0x30
	s_load_dwordx2 s[0:1], s[6:7], 0x40
	v_and_b32_e32 v0, 7, v1
	v_subrev_co_u32_e32 v26, vcc, s24, v0
	s_waitcnt lgkmcnt(0)
	s_lshl_b32 s23, s2, 5
	v_subb_co_u32_e64 v27, s[2:3], 0, 0, vcc
	s_mov_b32 s2, 0
	s_brev_b32 s3, 1
	v_mul_f64 v[14:15], v[6:7], s[2:3]
	s_ashr_i32 s3, s24, 31
	s_mov_b32 s2, s24
	s_lshl_b64 s[2:3], s[2:3], 4
	s_sub_u32 s25, s0, s2
	s_mov_b32 s22, 0
	s_subb_u32 s17, s1, s3
	v_cmp_neq_f64_e64 s[0:1], 0, v[8:9]
	v_cmp_neq_f64_e64 s[2:3], 0, v[10:11]
	s_mov_b64 s[6:7], 0
	v_mul_f64 v[16:17], v[4:5], 0
	v_cmp_eq_u32_e32 vcc, 7, v0
	s_or_b64 s[2:3], s[0:1], s[2:3]
	v_mov_b32_e32 v28, s19
	v_mov_b32_e32 v29, s5
	;; [unrolled: 1-line block ×4, first 2 shown]
	s_mov_b32 s16, s22
	s_branch .LBB354_11
.LBB354_9:                              ;   in Loop: Header=BB354_11 Depth=1
	s_or_b64 exec, exec, s[0:1]
	global_store_dwordx4 v[18:19], v[0:3], off
.LBB354_10:                             ;   in Loop: Header=BB354_11 Depth=1
	s_or_b64 exec, exec, s[16:17]
	v_mov_b32_e32 v0, s22
	v_add_co_u32_e64 v12, s[0:1], s23, v12
	v_addc_co_u32_e64 v13, s[0:1], v13, v0, s[0:1]
	v_cmp_le_i64_e64 s[0:1], s[12:13], v[12:13]
	s_or_b64 s[6:7], s[0:1], s[6:7]
	s_andn2_b64 exec, exec, s[6:7]
	s_cbranch_execz .LBB354_18
.LBB354_11:                             ; =>This Loop Header: Depth=1
                                        ;     Child Loop BB354_13 Depth 2
	v_lshlrev_b64 v[0:1], 3, v[12:13]
	v_add_co_u32_e64 v2, s[0:1], s4, v0
	v_addc_co_u32_e64 v3, s[0:1], v29, v1, s[0:1]
	global_load_dwordx2 v[2:3], v[2:3], off
	v_add_co_u32_e64 v0, s[0:1], s18, v0
	v_addc_co_u32_e64 v1, s[0:1], v28, v1, s[0:1]
	global_load_dwordx2 v[18:19], v[0:1], off
	v_pk_mov_b32 v[0:1], 0, 0
	v_pk_mov_b32 v[20:21], v[0:1], v[0:1] op_sel:[0,1]
	s_waitcnt vmcnt(1)
	v_subrev_co_u32_e64 v2, s[0:1], s24, v2
	v_subb_co_u32_e64 v3, s[0:1], v3, v30, s[0:1]
	s_waitcnt vmcnt(0)
	v_add_co_u32_e64 v18, s[0:1], v18, v26
	v_addc_co_u32_e64 v19, s[0:1], v19, v27, s[0:1]
	v_cmp_lt_i64_e64 s[0:1], v[18:19], v[2:3]
	s_and_saveexec_b64 s[16:17], s[0:1]
	s_cbranch_execz .LBB354_15
; %bb.12:                               ;   in Loop: Header=BB354_11 Depth=1
	v_lshlrev_b64 v[0:1], 3, v[18:19]
	v_mov_b32_e32 v20, s11
	v_add_co_u32_e64 v22, s[0:1], s10, v0
	v_addc_co_u32_e64 v23, s[0:1], v20, v1, s[0:1]
	v_mov_b32_e32 v20, s9
	v_add_co_u32_e64 v24, s[0:1], s8, v0
	v_addc_co_u32_e64 v25, s[0:1], v20, v1, s[0:1]
	v_pk_mov_b32 v[0:1], 0, 0
	s_mov_b64 s[20:21], 0
	v_pk_mov_b32 v[20:21], v[0:1], v[0:1] op_sel:[0,1]
.LBB354_13:                             ;   Parent Loop BB354_11 Depth=1
                                        ; =>  This Inner Loop Header: Depth=2
	global_load_dwordx2 v[32:33], v[24:25], off
	global_load_dwordx2 v[36:37], v[22:23], off
	s_waitcnt vmcnt(1)
	v_lshlrev_b64 v[32:33], 4, v[32:33]
	v_add_co_u32_e64 v32, s[0:1], s25, v32
	v_addc_co_u32_e64 v33, s[0:1], v31, v33, s[0:1]
	global_load_dwordx4 v[32:35], v[32:33], off
	v_add_co_u32_e64 v18, s[0:1], 8, v18
	v_addc_co_u32_e64 v19, s[0:1], 0, v19, s[0:1]
	v_add_co_u32_e64 v22, s[0:1], 64, v22
	v_addc_co_u32_e64 v23, s[0:1], 0, v23, s[0:1]
	;; [unrolled: 2-line block ×3, first 2 shown]
	s_waitcnt vmcnt(1)
	v_fma_f64 v[38:39], v[4:5], v[36:37], v[14:15]
	v_fma_f64 v[36:37], v[6:7], v[36:37], v[16:17]
	v_cmp_ge_i64_e64 s[0:1], v[18:19], v[2:3]
	s_or_b64 s[20:21], s[0:1], s[20:21]
	s_waitcnt vmcnt(0)
	v_fmac_f64_e32 v[20:21], v[38:39], v[32:33]
	v_fmac_f64_e32 v[0:1], v[36:37], v[32:33]
	v_fma_f64 v[20:21], -v[36:37], v[34:35], v[20:21]
	v_fmac_f64_e32 v[0:1], v[38:39], v[34:35]
	s_andn2_b64 exec, exec, s[20:21]
	s_cbranch_execnz .LBB354_13
; %bb.14:                               ;   in Loop: Header=BB354_11 Depth=1
	s_or_b64 exec, exec, s[20:21]
.LBB354_15:                             ;   in Loop: Header=BB354_11 Depth=1
	s_or_b64 exec, exec, s[16:17]
	v_mov_b32_dpp v2, v20 row_shr:1 row_mask:0xf bank_mask:0xf
	v_mov_b32_dpp v3, v21 row_shr:1 row_mask:0xf bank_mask:0xf
	v_add_f64 v[2:3], v[20:21], v[2:3]
	v_mov_b32_dpp v20, v0 row_shr:1 row_mask:0xf bank_mask:0xf
	v_mov_b32_dpp v21, v1 row_shr:1 row_mask:0xf bank_mask:0xf
	v_add_f64 v[0:1], v[0:1], v[20:21]
	v_mov_b32_dpp v18, v2 row_shr:2 row_mask:0xf bank_mask:0xf
	v_mov_b32_dpp v19, v3 row_shr:2 row_mask:0xf bank_mask:0xf
	;; [unrolled: 1-line block ×4, first 2 shown]
	v_add_f64 v[2:3], v[2:3], v[18:19]
	v_add_f64 v[20:21], v[0:1], v[20:21]
	s_nop 0
	v_mov_b32_dpp v18, v2 row_shr:4 row_mask:0xf bank_mask:0xe
	v_mov_b32_dpp v19, v3 row_shr:4 row_mask:0xf bank_mask:0xe
	;; [unrolled: 1-line block ×4, first 2 shown]
	s_and_saveexec_b64 s[16:17], vcc
	s_cbranch_execz .LBB354_10
; %bb.16:                               ;   in Loop: Header=BB354_11 Depth=1
	v_add_f64 v[0:1], v[2:3], v[18:19]
	v_lshlrev_b64 v[18:19], 4, v[12:13]
	v_add_f64 v[2:3], v[20:21], v[22:23]
	v_mov_b32_e32 v20, s15
	v_add_co_u32_e64 v18, s[0:1], s14, v18
	v_addc_co_u32_e64 v19, s[0:1], v20, v19, s[0:1]
	s_and_saveexec_b64 s[0:1], s[2:3]
	s_cbranch_execz .LBB354_9
; %bb.17:                               ;   in Loop: Header=BB354_11 Depth=1
	global_load_dwordx4 v[20:23], v[18:19], off
	s_waitcnt vmcnt(0)
	v_fmac_f64_e32 v[0:1], v[8:9], v[20:21]
	v_fmac_f64_e32 v[2:3], v[10:11], v[20:21]
	v_fma_f64 v[0:1], -v[10:11], v[22:23], v[0:1]
	v_fmac_f64_e32 v[2:3], v[8:9], v[22:23]
	s_branch .LBB354_9
.LBB354_18:
	s_endpgm
	.section	.rodata,"a",@progbits
	.p2align	6, 0x0
	.amdhsa_kernel _ZN9rocsparseL21csrmvn_general_kernelILj256ELj8Elld21rocsparse_complex_numIdES2_S2_EEvbT2_NS_24const_host_device_scalarIT6_EEPKT1_S9_PKS3_PKT3_PKT4_S6_PT5_21rocsparse_index_base_b
		.amdhsa_group_segment_fixed_size 4096
		.amdhsa_private_segment_fixed_size 0
		.amdhsa_kernarg_size 360
		.amdhsa_user_sgpr_count 8
		.amdhsa_user_sgpr_private_segment_buffer 1
		.amdhsa_user_sgpr_dispatch_ptr 1
		.amdhsa_user_sgpr_queue_ptr 0
		.amdhsa_user_sgpr_kernarg_segment_ptr 1
		.amdhsa_user_sgpr_dispatch_id 0
		.amdhsa_user_sgpr_flat_scratch_init 0
		.amdhsa_user_sgpr_kernarg_preload_length 0
		.amdhsa_user_sgpr_kernarg_preload_offset 0
		.amdhsa_user_sgpr_private_segment_size 0
		.amdhsa_uses_dynamic_stack 0
		.amdhsa_system_sgpr_private_segment_wavefront_offset 0
		.amdhsa_system_sgpr_workgroup_id_x 1
		.amdhsa_system_sgpr_workgroup_id_y 0
		.amdhsa_system_sgpr_workgroup_id_z 0
		.amdhsa_system_sgpr_workgroup_info 0
		.amdhsa_system_vgpr_workitem_id 2
		.amdhsa_next_free_vgpr 40
		.amdhsa_next_free_sgpr 26
		.amdhsa_accum_offset 40
		.amdhsa_reserve_vcc 1
		.amdhsa_reserve_flat_scratch 0
		.amdhsa_float_round_mode_32 0
		.amdhsa_float_round_mode_16_64 0
		.amdhsa_float_denorm_mode_32 3
		.amdhsa_float_denorm_mode_16_64 3
		.amdhsa_dx10_clamp 1
		.amdhsa_ieee_mode 1
		.amdhsa_fp16_overflow 0
		.amdhsa_tg_split 0
		.amdhsa_exception_fp_ieee_invalid_op 0
		.amdhsa_exception_fp_denorm_src 0
		.amdhsa_exception_fp_ieee_div_zero 0
		.amdhsa_exception_fp_ieee_overflow 0
		.amdhsa_exception_fp_ieee_underflow 0
		.amdhsa_exception_fp_ieee_inexact 0
		.amdhsa_exception_int_div_zero 0
	.end_amdhsa_kernel
	.section	.text._ZN9rocsparseL21csrmvn_general_kernelILj256ELj8Elld21rocsparse_complex_numIdES2_S2_EEvbT2_NS_24const_host_device_scalarIT6_EEPKT1_S9_PKS3_PKT3_PKT4_S6_PT5_21rocsparse_index_base_b,"axG",@progbits,_ZN9rocsparseL21csrmvn_general_kernelILj256ELj8Elld21rocsparse_complex_numIdES2_S2_EEvbT2_NS_24const_host_device_scalarIT6_EEPKT1_S9_PKS3_PKT3_PKT4_S6_PT5_21rocsparse_index_base_b,comdat
.Lfunc_end354:
	.size	_ZN9rocsparseL21csrmvn_general_kernelILj256ELj8Elld21rocsparse_complex_numIdES2_S2_EEvbT2_NS_24const_host_device_scalarIT6_EEPKT1_S9_PKS3_PKT3_PKT4_S6_PT5_21rocsparse_index_base_b, .Lfunc_end354-_ZN9rocsparseL21csrmvn_general_kernelILj256ELj8Elld21rocsparse_complex_numIdES2_S2_EEvbT2_NS_24const_host_device_scalarIT6_EEPKT1_S9_PKS3_PKT3_PKT4_S6_PT5_21rocsparse_index_base_b
                                        ; -- End function
	.section	.AMDGPU.csdata,"",@progbits
; Kernel info:
; codeLenInByte = 1172
; NumSgprs: 30
; NumVgprs: 40
; NumAgprs: 0
; TotalNumVgprs: 40
; ScratchSize: 0
; MemoryBound: 0
; FloatMode: 240
; IeeeMode: 1
; LDSByteSize: 4096 bytes/workgroup (compile time only)
; SGPRBlocks: 3
; VGPRBlocks: 4
; NumSGPRsForWavesPerEU: 30
; NumVGPRsForWavesPerEU: 40
; AccumOffset: 40
; Occupancy: 8
; WaveLimiterHint : 1
; COMPUTE_PGM_RSRC2:SCRATCH_EN: 0
; COMPUTE_PGM_RSRC2:USER_SGPR: 8
; COMPUTE_PGM_RSRC2:TRAP_HANDLER: 0
; COMPUTE_PGM_RSRC2:TGID_X_EN: 1
; COMPUTE_PGM_RSRC2:TGID_Y_EN: 0
; COMPUTE_PGM_RSRC2:TGID_Z_EN: 0
; COMPUTE_PGM_RSRC2:TIDIG_COMP_CNT: 2
; COMPUTE_PGM_RSRC3_GFX90A:ACCUM_OFFSET: 9
; COMPUTE_PGM_RSRC3_GFX90A:TG_SPLIT: 0
	.section	.text._ZN9rocsparseL21csrmvn_general_kernelILj256ELj16Elld21rocsparse_complex_numIdES2_S2_EEvbT2_NS_24const_host_device_scalarIT6_EEPKT1_S9_PKS3_PKT3_PKT4_S6_PT5_21rocsparse_index_base_b,"axG",@progbits,_ZN9rocsparseL21csrmvn_general_kernelILj256ELj16Elld21rocsparse_complex_numIdES2_S2_EEvbT2_NS_24const_host_device_scalarIT6_EEPKT1_S9_PKS3_PKT3_PKT4_S6_PT5_21rocsparse_index_base_b,comdat
	.globl	_ZN9rocsparseL21csrmvn_general_kernelILj256ELj16Elld21rocsparse_complex_numIdES2_S2_EEvbT2_NS_24const_host_device_scalarIT6_EEPKT1_S9_PKS3_PKT3_PKT4_S6_PT5_21rocsparse_index_base_b ; -- Begin function _ZN9rocsparseL21csrmvn_general_kernelILj256ELj16Elld21rocsparse_complex_numIdES2_S2_EEvbT2_NS_24const_host_device_scalarIT6_EEPKT1_S9_PKS3_PKT3_PKT4_S6_PT5_21rocsparse_index_base_b
	.p2align	8
	.type	_ZN9rocsparseL21csrmvn_general_kernelILj256ELj16Elld21rocsparse_complex_numIdES2_S2_EEvbT2_NS_24const_host_device_scalarIT6_EEPKT1_S9_PKS3_PKT3_PKT4_S6_PT5_21rocsparse_index_base_b,@function
_ZN9rocsparseL21csrmvn_general_kernelILj256ELj16Elld21rocsparse_complex_numIdES2_S2_EEvbT2_NS_24const_host_device_scalarIT6_EEPKT1_S9_PKS3_PKT3_PKT4_S6_PT5_21rocsparse_index_base_b: ; @_ZN9rocsparseL21csrmvn_general_kernelILj256ELj16Elld21rocsparse_complex_numIdES2_S2_EEvbT2_NS_24const_host_device_scalarIT6_EEPKT1_S9_PKS3_PKT3_PKT4_S6_PT5_21rocsparse_index_base_b
; %bb.0:
	s_load_dwordx2 s[24:25], s[6:7], 0x60
	s_load_dwordx8 s[12:19], s[6:7], 0x8
	s_load_dwordx4 s[20:23], s[6:7], 0x48
	s_mov_b64 s[2:3], src_shared_base
	s_load_dwordx2 s[4:5], s[4:5], 0x4
	s_waitcnt lgkmcnt(0)
	s_bitcmp1_b32 s25, 0
	s_cselect_b64 s[0:1], -1, 0
	s_and_b64 vcc, s[0:1], exec
	s_cselect_b32 s2, s3, s15
	s_lshr_b32 s4, s4, 16
	v_and_b32_e32 v1, 0x3ff, v0
	s_mul_i32 s4, s4, s5
	v_mul_lo_u32 v2, s4, v1
	v_bfe_u32 v3, v0, 10, 10
	v_mad_u32_u24 v2, v3, s5, v2
	v_bfe_u32 v0, v0, 20, 10
	v_add_lshl_u32 v0, v2, v0, 3
	v_mov_b32_e32 v6, s14
	v_add_u32_e32 v7, 0x800, v0
	v_pk_mov_b32 v[2:3], s[14:15], s[14:15] op_sel:[0,1]
	v_pk_mov_b32 v[4:5], s[20:21], s[20:21] op_sel:[0,1]
	ds_write2st64_b64 v0, v[4:5], v[2:3] offset1:4
	v_cndmask_b32_e64 v2, v6, v7, s[0:1]
	v_mov_b32_e32 v3, s2
	flat_load_dwordx2 v[4:5], v[2:3]
	s_xor_b64 s[4:5], s[0:1], -1
	v_pk_mov_b32 v[6:7], s[16:17], s[16:17] op_sel:[0,1]
	s_cbranch_vccnz .LBB355_2
; %bb.1:
	v_pk_mov_b32 v[2:3], s[14:15], s[14:15] op_sel:[0,1]
	flat_load_dwordx2 v[6:7], v[2:3] offset:8
.LBB355_2:
	s_and_b64 s[10:11], s[0:1], exec
	s_cselect_b32 s2, s3, s21
	v_mov_b32_e32 v2, s20
	v_cndmask_b32_e64 v2, v2, v0, s[0:1]
	v_mov_b32_e32 v3, s2
	flat_load_dwordx2 v[8:9], v[2:3]
	s_andn2_b64 vcc, exec, s[4:5]
	v_pk_mov_b32 v[10:11], s[22:23], s[22:23] op_sel:[0,1]
	s_cbranch_vccnz .LBB355_4
; %bb.3:
	v_pk_mov_b32 v[2:3], s[20:21], s[20:21] op_sel:[0,1]
	flat_load_dwordx2 v[10:11], v[2:3] offset:8
.LBB355_4:
	s_waitcnt vmcnt(0) lgkmcnt(0)
	v_cmp_eq_f64_e32 vcc, 0, v[4:5]
	v_cmp_eq_f64_e64 s[0:1], 0, v[6:7]
	s_and_b64 s[4:5], vcc, s[0:1]
	s_mov_b64 s[0:1], -1
	s_and_saveexec_b64 s[2:3], s[4:5]
; %bb.5:
	v_cmp_neq_f64_e32 vcc, 1.0, v[8:9]
	v_cmp_neq_f64_e64 s[0:1], 0, v[10:11]
	s_or_b64 s[0:1], vcc, s[0:1]
	s_orn2_b64 s[0:1], s[0:1], exec
; %bb.6:
	s_or_b64 exec, exec, s[2:3]
	s_and_saveexec_b64 s[2:3], s[0:1]
	s_cbranch_execz .LBB355_18
; %bb.7:
	s_load_dwordx2 s[4:5], s[6:7], 0x28
	v_lshl_or_b32 v0, s8, 8, v1
	v_lshrrev_b32_e32 v12, 4, v0
	v_mov_b32_e32 v13, 0
	v_cmp_gt_i64_e32 vcc, s[12:13], v[12:13]
	s_and_b64 exec, exec, vcc
	s_cbranch_execz .LBB355_18
; %bb.8:
	s_load_dword s2, s[6:7], 0x68
	s_load_dwordx2 s[14:15], s[6:7], 0x58
	s_load_dwordx4 s[8:11], s[6:7], 0x30
	s_load_dwordx2 s[0:1], s[6:7], 0x40
	v_and_b32_e32 v0, 15, v1
	v_subrev_co_u32_e32 v26, vcc, s24, v0
	s_waitcnt lgkmcnt(0)
	s_lshl_b32 s26, s2, 4
	v_subb_co_u32_e64 v27, s[2:3], 0, 0, vcc
	s_mov_b32 s2, 0
	s_brev_b32 s3, 1
	v_mul_f64 v[14:15], v[6:7], s[2:3]
	s_ashr_i32 s3, s24, 31
	s_mov_b32 s2, s24
	s_lshl_b64 s[2:3], s[2:3], 4
	s_sub_u32 s27, s0, s2
	s_mov_b32 s25, 0
	s_subb_u32 s21, s1, s3
	v_cmp_neq_f64_e32 vcc, 0, v[8:9]
	v_cmp_neq_f64_e64 s[2:3], 0, v[10:11]
	s_mov_b64 s[6:7], 0
	v_mul_f64 v[16:17], v[4:5], 0
	v_cmp_eq_u32_e64 s[0:1], 15, v0
	s_or_b64 s[16:17], vcc, s[2:3]
	v_mov_b32_e32 v28, s19
	v_mov_b32_e32 v29, s5
	;; [unrolled: 1-line block ×4, first 2 shown]
	s_branch .LBB355_11
.LBB355_9:                              ;   in Loop: Header=BB355_11 Depth=1
	s_or_b64 exec, exec, s[20:21]
	global_store_dwordx4 v[18:19], v[0:3], off
.LBB355_10:                             ;   in Loop: Header=BB355_11 Depth=1
	s_or_b64 exec, exec, s[2:3]
	v_mov_b32_e32 v0, s25
	v_add_co_u32_e32 v12, vcc, s26, v12
	v_addc_co_u32_e32 v13, vcc, v13, v0, vcc
	v_cmp_le_i64_e32 vcc, s[12:13], v[12:13]
	s_or_b64 s[6:7], vcc, s[6:7]
	s_andn2_b64 exec, exec, s[6:7]
	s_cbranch_execz .LBB355_18
.LBB355_11:                             ; =>This Loop Header: Depth=1
                                        ;     Child Loop BB355_13 Depth 2
	v_lshlrev_b64 v[0:1], 3, v[12:13]
	v_add_co_u32_e32 v2, vcc, s4, v0
	v_addc_co_u32_e32 v3, vcc, v29, v1, vcc
	global_load_dwordx2 v[2:3], v[2:3], off
	v_add_co_u32_e32 v0, vcc, s18, v0
	v_addc_co_u32_e32 v1, vcc, v28, v1, vcc
	global_load_dwordx2 v[18:19], v[0:1], off
	v_pk_mov_b32 v[0:1], 0, 0
	v_pk_mov_b32 v[20:21], v[0:1], v[0:1] op_sel:[0,1]
	s_waitcnt vmcnt(1)
	v_subrev_co_u32_e32 v2, vcc, s24, v2
	v_subb_co_u32_e32 v3, vcc, v3, v30, vcc
	s_waitcnt vmcnt(0)
	v_add_co_u32_e32 v18, vcc, v18, v26
	v_addc_co_u32_e32 v19, vcc, v19, v27, vcc
	v_cmp_lt_i64_e32 vcc, v[18:19], v[2:3]
	s_and_saveexec_b64 s[20:21], vcc
	s_cbranch_execz .LBB355_15
; %bb.12:                               ;   in Loop: Header=BB355_11 Depth=1
	v_lshlrev_b64 v[0:1], 3, v[18:19]
	v_mov_b32_e32 v20, s11
	v_add_co_u32_e32 v22, vcc, s10, v0
	v_addc_co_u32_e32 v23, vcc, v20, v1, vcc
	v_mov_b32_e32 v20, s9
	v_add_co_u32_e32 v24, vcc, s8, v0
	v_addc_co_u32_e32 v25, vcc, v20, v1, vcc
	v_pk_mov_b32 v[0:1], 0, 0
	s_mov_b64 s[22:23], 0
	v_pk_mov_b32 v[20:21], v[0:1], v[0:1] op_sel:[0,1]
.LBB355_13:                             ;   Parent Loop BB355_11 Depth=1
                                        ; =>  This Inner Loop Header: Depth=2
	global_load_dwordx2 v[32:33], v[24:25], off
	global_load_dwordx2 v[36:37], v[22:23], off
	s_waitcnt vmcnt(1)
	v_lshlrev_b64 v[32:33], 4, v[32:33]
	v_add_co_u32_e32 v32, vcc, s27, v32
	v_addc_co_u32_e32 v33, vcc, v31, v33, vcc
	global_load_dwordx4 v[32:35], v[32:33], off
	v_add_co_u32_e32 v18, vcc, 16, v18
	v_addc_co_u32_e32 v19, vcc, 0, v19, vcc
	v_add_co_u32_e32 v22, vcc, 0x80, v22
	v_addc_co_u32_e32 v23, vcc, 0, v23, vcc
	s_waitcnt vmcnt(1)
	v_fma_f64 v[38:39], v[4:5], v[36:37], v[14:15]
	v_fma_f64 v[36:37], v[6:7], v[36:37], v[16:17]
	v_add_co_u32_e32 v24, vcc, 0x80, v24
	v_cmp_ge_i64_e64 s[2:3], v[18:19], v[2:3]
	v_addc_co_u32_e32 v25, vcc, 0, v25, vcc
	s_or_b64 s[22:23], s[2:3], s[22:23]
	s_waitcnt vmcnt(0)
	v_fmac_f64_e32 v[20:21], v[38:39], v[32:33]
	v_fmac_f64_e32 v[0:1], v[36:37], v[32:33]
	v_fma_f64 v[20:21], -v[36:37], v[34:35], v[20:21]
	v_fmac_f64_e32 v[0:1], v[38:39], v[34:35]
	s_andn2_b64 exec, exec, s[22:23]
	s_cbranch_execnz .LBB355_13
; %bb.14:                               ;   in Loop: Header=BB355_11 Depth=1
	s_or_b64 exec, exec, s[22:23]
.LBB355_15:                             ;   in Loop: Header=BB355_11 Depth=1
	s_or_b64 exec, exec, s[20:21]
	v_mov_b32_dpp v2, v20 row_shr:1 row_mask:0xf bank_mask:0xf
	v_mov_b32_dpp v3, v21 row_shr:1 row_mask:0xf bank_mask:0xf
	v_add_f64 v[2:3], v[20:21], v[2:3]
	v_mov_b32_dpp v20, v0 row_shr:1 row_mask:0xf bank_mask:0xf
	v_mov_b32_dpp v21, v1 row_shr:1 row_mask:0xf bank_mask:0xf
	v_add_f64 v[0:1], v[0:1], v[20:21]
	v_mov_b32_dpp v18, v2 row_shr:2 row_mask:0xf bank_mask:0xf
	v_mov_b32_dpp v19, v3 row_shr:2 row_mask:0xf bank_mask:0xf
	;; [unrolled: 1-line block ×4, first 2 shown]
	v_add_f64 v[2:3], v[2:3], v[18:19]
	v_add_f64 v[0:1], v[0:1], v[20:21]
	s_nop 0
	v_mov_b32_dpp v18, v2 row_shr:4 row_mask:0xf bank_mask:0xe
	v_mov_b32_dpp v19, v3 row_shr:4 row_mask:0xf bank_mask:0xe
	v_mov_b32_dpp v20, v0 row_shr:4 row_mask:0xf bank_mask:0xe
	v_mov_b32_dpp v21, v1 row_shr:4 row_mask:0xf bank_mask:0xe
	v_add_f64 v[2:3], v[2:3], v[18:19]
	v_add_f64 v[20:21], v[0:1], v[20:21]
	s_nop 0
	v_mov_b32_dpp v18, v2 row_shr:8 row_mask:0xf bank_mask:0xc
	v_mov_b32_dpp v19, v3 row_shr:8 row_mask:0xf bank_mask:0xc
	;; [unrolled: 1-line block ×4, first 2 shown]
	s_and_saveexec_b64 s[2:3], s[0:1]
	s_cbranch_execz .LBB355_10
; %bb.16:                               ;   in Loop: Header=BB355_11 Depth=1
	v_add_f64 v[0:1], v[2:3], v[18:19]
	v_lshlrev_b64 v[18:19], 4, v[12:13]
	v_add_f64 v[2:3], v[20:21], v[22:23]
	v_mov_b32_e32 v20, s15
	v_add_co_u32_e32 v18, vcc, s14, v18
	v_addc_co_u32_e32 v19, vcc, v20, v19, vcc
	s_and_saveexec_b64 s[20:21], s[16:17]
	s_cbranch_execz .LBB355_9
; %bb.17:                               ;   in Loop: Header=BB355_11 Depth=1
	global_load_dwordx4 v[20:23], v[18:19], off
	s_waitcnt vmcnt(0)
	v_fmac_f64_e32 v[0:1], v[8:9], v[20:21]
	v_fmac_f64_e32 v[2:3], v[10:11], v[20:21]
	v_fma_f64 v[0:1], -v[10:11], v[22:23], v[0:1]
	v_fmac_f64_e32 v[2:3], v[8:9], v[22:23]
	s_branch .LBB355_9
.LBB355_18:
	s_endpgm
	.section	.rodata,"a",@progbits
	.p2align	6, 0x0
	.amdhsa_kernel _ZN9rocsparseL21csrmvn_general_kernelILj256ELj16Elld21rocsparse_complex_numIdES2_S2_EEvbT2_NS_24const_host_device_scalarIT6_EEPKT1_S9_PKS3_PKT3_PKT4_S6_PT5_21rocsparse_index_base_b
		.amdhsa_group_segment_fixed_size 4096
		.amdhsa_private_segment_fixed_size 0
		.amdhsa_kernarg_size 360
		.amdhsa_user_sgpr_count 8
		.amdhsa_user_sgpr_private_segment_buffer 1
		.amdhsa_user_sgpr_dispatch_ptr 1
		.amdhsa_user_sgpr_queue_ptr 0
		.amdhsa_user_sgpr_kernarg_segment_ptr 1
		.amdhsa_user_sgpr_dispatch_id 0
		.amdhsa_user_sgpr_flat_scratch_init 0
		.amdhsa_user_sgpr_kernarg_preload_length 0
		.amdhsa_user_sgpr_kernarg_preload_offset 0
		.amdhsa_user_sgpr_private_segment_size 0
		.amdhsa_uses_dynamic_stack 0
		.amdhsa_system_sgpr_private_segment_wavefront_offset 0
		.amdhsa_system_sgpr_workgroup_id_x 1
		.amdhsa_system_sgpr_workgroup_id_y 0
		.amdhsa_system_sgpr_workgroup_id_z 0
		.amdhsa_system_sgpr_workgroup_info 0
		.amdhsa_system_vgpr_workitem_id 2
		.amdhsa_next_free_vgpr 40
		.amdhsa_next_free_sgpr 28
		.amdhsa_accum_offset 40
		.amdhsa_reserve_vcc 1
		.amdhsa_reserve_flat_scratch 0
		.amdhsa_float_round_mode_32 0
		.amdhsa_float_round_mode_16_64 0
		.amdhsa_float_denorm_mode_32 3
		.amdhsa_float_denorm_mode_16_64 3
		.amdhsa_dx10_clamp 1
		.amdhsa_ieee_mode 1
		.amdhsa_fp16_overflow 0
		.amdhsa_tg_split 0
		.amdhsa_exception_fp_ieee_invalid_op 0
		.amdhsa_exception_fp_denorm_src 0
		.amdhsa_exception_fp_ieee_div_zero 0
		.amdhsa_exception_fp_ieee_overflow 0
		.amdhsa_exception_fp_ieee_underflow 0
		.amdhsa_exception_fp_ieee_inexact 0
		.amdhsa_exception_int_div_zero 0
	.end_amdhsa_kernel
	.section	.text._ZN9rocsparseL21csrmvn_general_kernelILj256ELj16Elld21rocsparse_complex_numIdES2_S2_EEvbT2_NS_24const_host_device_scalarIT6_EEPKT1_S9_PKS3_PKT3_PKT4_S6_PT5_21rocsparse_index_base_b,"axG",@progbits,_ZN9rocsparseL21csrmvn_general_kernelILj256ELj16Elld21rocsparse_complex_numIdES2_S2_EEvbT2_NS_24const_host_device_scalarIT6_EEPKT1_S9_PKS3_PKT3_PKT4_S6_PT5_21rocsparse_index_base_b,comdat
.Lfunc_end355:
	.size	_ZN9rocsparseL21csrmvn_general_kernelILj256ELj16Elld21rocsparse_complex_numIdES2_S2_EEvbT2_NS_24const_host_device_scalarIT6_EEPKT1_S9_PKS3_PKT3_PKT4_S6_PT5_21rocsparse_index_base_b, .Lfunc_end355-_ZN9rocsparseL21csrmvn_general_kernelILj256ELj16Elld21rocsparse_complex_numIdES2_S2_EEvbT2_NS_24const_host_device_scalarIT6_EEPKT1_S9_PKS3_PKT3_PKT4_S6_PT5_21rocsparse_index_base_b
                                        ; -- End function
	.section	.AMDGPU.csdata,"",@progbits
; Kernel info:
; codeLenInByte = 1124
; NumSgprs: 32
; NumVgprs: 40
; NumAgprs: 0
; TotalNumVgprs: 40
; ScratchSize: 0
; MemoryBound: 0
; FloatMode: 240
; IeeeMode: 1
; LDSByteSize: 4096 bytes/workgroup (compile time only)
; SGPRBlocks: 3
; VGPRBlocks: 4
; NumSGPRsForWavesPerEU: 32
; NumVGPRsForWavesPerEU: 40
; AccumOffset: 40
; Occupancy: 8
; WaveLimiterHint : 1
; COMPUTE_PGM_RSRC2:SCRATCH_EN: 0
; COMPUTE_PGM_RSRC2:USER_SGPR: 8
; COMPUTE_PGM_RSRC2:TRAP_HANDLER: 0
; COMPUTE_PGM_RSRC2:TGID_X_EN: 1
; COMPUTE_PGM_RSRC2:TGID_Y_EN: 0
; COMPUTE_PGM_RSRC2:TGID_Z_EN: 0
; COMPUTE_PGM_RSRC2:TIDIG_COMP_CNT: 2
; COMPUTE_PGM_RSRC3_GFX90A:ACCUM_OFFSET: 9
; COMPUTE_PGM_RSRC3_GFX90A:TG_SPLIT: 0
	.section	.text._ZN9rocsparseL21csrmvn_general_kernelILj256ELj32Elld21rocsparse_complex_numIdES2_S2_EEvbT2_NS_24const_host_device_scalarIT6_EEPKT1_S9_PKS3_PKT3_PKT4_S6_PT5_21rocsparse_index_base_b,"axG",@progbits,_ZN9rocsparseL21csrmvn_general_kernelILj256ELj32Elld21rocsparse_complex_numIdES2_S2_EEvbT2_NS_24const_host_device_scalarIT6_EEPKT1_S9_PKS3_PKT3_PKT4_S6_PT5_21rocsparse_index_base_b,comdat
	.globl	_ZN9rocsparseL21csrmvn_general_kernelILj256ELj32Elld21rocsparse_complex_numIdES2_S2_EEvbT2_NS_24const_host_device_scalarIT6_EEPKT1_S9_PKS3_PKT3_PKT4_S6_PT5_21rocsparse_index_base_b ; -- Begin function _ZN9rocsparseL21csrmvn_general_kernelILj256ELj32Elld21rocsparse_complex_numIdES2_S2_EEvbT2_NS_24const_host_device_scalarIT6_EEPKT1_S9_PKS3_PKT3_PKT4_S6_PT5_21rocsparse_index_base_b
	.p2align	8
	.type	_ZN9rocsparseL21csrmvn_general_kernelILj256ELj32Elld21rocsparse_complex_numIdES2_S2_EEvbT2_NS_24const_host_device_scalarIT6_EEPKT1_S9_PKS3_PKT3_PKT4_S6_PT5_21rocsparse_index_base_b,@function
_ZN9rocsparseL21csrmvn_general_kernelILj256ELj32Elld21rocsparse_complex_numIdES2_S2_EEvbT2_NS_24const_host_device_scalarIT6_EEPKT1_S9_PKS3_PKT3_PKT4_S6_PT5_21rocsparse_index_base_b: ; @_ZN9rocsparseL21csrmvn_general_kernelILj256ELj32Elld21rocsparse_complex_numIdES2_S2_EEvbT2_NS_24const_host_device_scalarIT6_EEPKT1_S9_PKS3_PKT3_PKT4_S6_PT5_21rocsparse_index_base_b
; %bb.0:
	s_load_dwordx2 s[24:25], s[6:7], 0x60
	s_load_dwordx8 s[12:19], s[6:7], 0x8
	s_load_dwordx4 s[20:23], s[6:7], 0x48
	s_mov_b64 s[2:3], src_shared_base
	s_load_dwordx2 s[4:5], s[4:5], 0x4
	s_waitcnt lgkmcnt(0)
	s_bitcmp1_b32 s25, 0
	s_cselect_b64 s[0:1], -1, 0
	s_and_b64 vcc, s[0:1], exec
	s_cselect_b32 s2, s3, s15
	s_lshr_b32 s4, s4, 16
	v_and_b32_e32 v1, 0x3ff, v0
	s_mul_i32 s4, s4, s5
	v_mul_lo_u32 v2, s4, v1
	v_bfe_u32 v3, v0, 10, 10
	v_mad_u32_u24 v2, v3, s5, v2
	v_bfe_u32 v0, v0, 20, 10
	v_add_lshl_u32 v0, v2, v0, 3
	v_mov_b32_e32 v6, s14
	v_add_u32_e32 v7, 0x800, v0
	v_pk_mov_b32 v[2:3], s[14:15], s[14:15] op_sel:[0,1]
	v_pk_mov_b32 v[4:5], s[20:21], s[20:21] op_sel:[0,1]
	ds_write2st64_b64 v0, v[4:5], v[2:3] offset1:4
	v_cndmask_b32_e64 v2, v6, v7, s[0:1]
	v_mov_b32_e32 v3, s2
	flat_load_dwordx2 v[4:5], v[2:3]
	s_xor_b64 s[4:5], s[0:1], -1
	v_pk_mov_b32 v[6:7], s[16:17], s[16:17] op_sel:[0,1]
	s_cbranch_vccnz .LBB356_2
; %bb.1:
	v_pk_mov_b32 v[2:3], s[14:15], s[14:15] op_sel:[0,1]
	flat_load_dwordx2 v[6:7], v[2:3] offset:8
.LBB356_2:
	s_and_b64 s[10:11], s[0:1], exec
	s_cselect_b32 s2, s3, s21
	v_mov_b32_e32 v2, s20
	v_cndmask_b32_e64 v2, v2, v0, s[0:1]
	v_mov_b32_e32 v3, s2
	flat_load_dwordx2 v[8:9], v[2:3]
	s_andn2_b64 vcc, exec, s[4:5]
	v_pk_mov_b32 v[10:11], s[22:23], s[22:23] op_sel:[0,1]
	s_cbranch_vccnz .LBB356_4
; %bb.3:
	v_pk_mov_b32 v[2:3], s[20:21], s[20:21] op_sel:[0,1]
	flat_load_dwordx2 v[10:11], v[2:3] offset:8
.LBB356_4:
	s_waitcnt vmcnt(0) lgkmcnt(0)
	v_cmp_eq_f64_e32 vcc, 0, v[4:5]
	v_cmp_eq_f64_e64 s[0:1], 0, v[6:7]
	s_and_b64 s[4:5], vcc, s[0:1]
	s_mov_b64 s[0:1], -1
	s_and_saveexec_b64 s[2:3], s[4:5]
; %bb.5:
	v_cmp_neq_f64_e32 vcc, 1.0, v[8:9]
	v_cmp_neq_f64_e64 s[0:1], 0, v[10:11]
	s_or_b64 s[0:1], vcc, s[0:1]
	s_orn2_b64 s[0:1], s[0:1], exec
; %bb.6:
	s_or_b64 exec, exec, s[2:3]
	s_and_saveexec_b64 s[2:3], s[0:1]
	s_cbranch_execz .LBB356_18
; %bb.7:
	s_load_dwordx2 s[4:5], s[6:7], 0x28
	v_lshl_or_b32 v0, s8, 8, v1
	v_lshrrev_b32_e32 v12, 5, v0
	v_mov_b32_e32 v13, 0
	v_cmp_gt_i64_e32 vcc, s[12:13], v[12:13]
	s_and_b64 exec, exec, vcc
	s_cbranch_execz .LBB356_18
; %bb.8:
	s_load_dword s2, s[6:7], 0x68
	s_load_dwordx2 s[14:15], s[6:7], 0x58
	s_load_dwordx4 s[8:11], s[6:7], 0x30
	s_load_dwordx2 s[0:1], s[6:7], 0x40
	v_and_b32_e32 v0, 31, v1
	v_subrev_co_u32_e32 v26, vcc, s24, v0
	s_waitcnt lgkmcnt(0)
	s_lshl_b32 s26, s2, 3
	v_subb_co_u32_e64 v27, s[2:3], 0, 0, vcc
	s_mov_b32 s2, 0
	s_brev_b32 s3, 1
	v_mul_f64 v[14:15], v[6:7], s[2:3]
	s_ashr_i32 s3, s24, 31
	s_mov_b32 s2, s24
	s_lshl_b64 s[2:3], s[2:3], 4
	s_sub_u32 s27, s0, s2
	s_mov_b32 s25, 0
	s_subb_u32 s21, s1, s3
	v_cmp_neq_f64_e32 vcc, 0, v[8:9]
	v_cmp_neq_f64_e64 s[2:3], 0, v[10:11]
	s_mov_b64 s[6:7], 0
	v_mul_f64 v[16:17], v[4:5], 0
	v_cmp_eq_u32_e64 s[0:1], 31, v0
	s_or_b64 s[16:17], vcc, s[2:3]
	v_mov_b32_e32 v28, s19
	v_mov_b32_e32 v29, s5
	v_mov_b32_e32 v30, s25
	v_mov_b32_e32 v31, s21
	s_branch .LBB356_11
.LBB356_9:                              ;   in Loop: Header=BB356_11 Depth=1
	s_or_b64 exec, exec, s[20:21]
	global_store_dwordx4 v[18:19], v[0:3], off
.LBB356_10:                             ;   in Loop: Header=BB356_11 Depth=1
	s_or_b64 exec, exec, s[2:3]
	v_mov_b32_e32 v0, s25
	v_add_co_u32_e32 v12, vcc, s26, v12
	v_addc_co_u32_e32 v13, vcc, v13, v0, vcc
	v_cmp_le_i64_e32 vcc, s[12:13], v[12:13]
	s_or_b64 s[6:7], vcc, s[6:7]
	s_andn2_b64 exec, exec, s[6:7]
	s_cbranch_execz .LBB356_18
.LBB356_11:                             ; =>This Loop Header: Depth=1
                                        ;     Child Loop BB356_13 Depth 2
	v_lshlrev_b64 v[0:1], 3, v[12:13]
	v_add_co_u32_e32 v2, vcc, s4, v0
	v_addc_co_u32_e32 v3, vcc, v29, v1, vcc
	global_load_dwordx2 v[2:3], v[2:3], off
	v_add_co_u32_e32 v0, vcc, s18, v0
	v_addc_co_u32_e32 v1, vcc, v28, v1, vcc
	global_load_dwordx2 v[18:19], v[0:1], off
	v_pk_mov_b32 v[0:1], 0, 0
	v_pk_mov_b32 v[20:21], v[0:1], v[0:1] op_sel:[0,1]
	s_waitcnt vmcnt(1)
	v_subrev_co_u32_e32 v2, vcc, s24, v2
	v_subb_co_u32_e32 v3, vcc, v3, v30, vcc
	s_waitcnt vmcnt(0)
	v_add_co_u32_e32 v18, vcc, v18, v26
	v_addc_co_u32_e32 v19, vcc, v19, v27, vcc
	v_cmp_lt_i64_e32 vcc, v[18:19], v[2:3]
	s_and_saveexec_b64 s[20:21], vcc
	s_cbranch_execz .LBB356_15
; %bb.12:                               ;   in Loop: Header=BB356_11 Depth=1
	v_lshlrev_b64 v[0:1], 3, v[18:19]
	v_mov_b32_e32 v20, s11
	v_add_co_u32_e32 v22, vcc, s10, v0
	v_addc_co_u32_e32 v23, vcc, v20, v1, vcc
	v_mov_b32_e32 v20, s9
	v_add_co_u32_e32 v24, vcc, s8, v0
	v_addc_co_u32_e32 v25, vcc, v20, v1, vcc
	v_pk_mov_b32 v[0:1], 0, 0
	s_mov_b64 s[22:23], 0
	v_pk_mov_b32 v[20:21], v[0:1], v[0:1] op_sel:[0,1]
.LBB356_13:                             ;   Parent Loop BB356_11 Depth=1
                                        ; =>  This Inner Loop Header: Depth=2
	global_load_dwordx2 v[32:33], v[24:25], off
	global_load_dwordx2 v[36:37], v[22:23], off
	s_waitcnt vmcnt(1)
	v_lshlrev_b64 v[32:33], 4, v[32:33]
	v_add_co_u32_e32 v32, vcc, s27, v32
	v_addc_co_u32_e32 v33, vcc, v31, v33, vcc
	global_load_dwordx4 v[32:35], v[32:33], off
	v_add_co_u32_e32 v18, vcc, 32, v18
	v_addc_co_u32_e32 v19, vcc, 0, v19, vcc
	v_add_co_u32_e32 v22, vcc, 0x100, v22
	v_addc_co_u32_e32 v23, vcc, 0, v23, vcc
	s_waitcnt vmcnt(1)
	v_fma_f64 v[38:39], v[4:5], v[36:37], v[14:15]
	v_fma_f64 v[36:37], v[6:7], v[36:37], v[16:17]
	v_add_co_u32_e32 v24, vcc, 0x100, v24
	v_cmp_ge_i64_e64 s[2:3], v[18:19], v[2:3]
	v_addc_co_u32_e32 v25, vcc, 0, v25, vcc
	s_or_b64 s[22:23], s[2:3], s[22:23]
	s_waitcnt vmcnt(0)
	v_fmac_f64_e32 v[20:21], v[38:39], v[32:33]
	v_fmac_f64_e32 v[0:1], v[36:37], v[32:33]
	v_fma_f64 v[20:21], -v[36:37], v[34:35], v[20:21]
	v_fmac_f64_e32 v[0:1], v[38:39], v[34:35]
	s_andn2_b64 exec, exec, s[22:23]
	s_cbranch_execnz .LBB356_13
; %bb.14:                               ;   in Loop: Header=BB356_11 Depth=1
	s_or_b64 exec, exec, s[22:23]
.LBB356_15:                             ;   in Loop: Header=BB356_11 Depth=1
	s_or_b64 exec, exec, s[20:21]
	v_mov_b32_dpp v2, v20 row_shr:1 row_mask:0xf bank_mask:0xf
	v_mov_b32_dpp v3, v21 row_shr:1 row_mask:0xf bank_mask:0xf
	v_add_f64 v[2:3], v[20:21], v[2:3]
	v_mov_b32_dpp v20, v0 row_shr:1 row_mask:0xf bank_mask:0xf
	v_mov_b32_dpp v21, v1 row_shr:1 row_mask:0xf bank_mask:0xf
	v_add_f64 v[0:1], v[0:1], v[20:21]
	v_mov_b32_dpp v18, v2 row_shr:2 row_mask:0xf bank_mask:0xf
	v_mov_b32_dpp v19, v3 row_shr:2 row_mask:0xf bank_mask:0xf
	v_mov_b32_dpp v20, v0 row_shr:2 row_mask:0xf bank_mask:0xf
	v_mov_b32_dpp v21, v1 row_shr:2 row_mask:0xf bank_mask:0xf
	v_add_f64 v[2:3], v[2:3], v[18:19]
	v_add_f64 v[0:1], v[0:1], v[20:21]
	s_nop 0
	v_mov_b32_dpp v18, v2 row_shr:4 row_mask:0xf bank_mask:0xe
	v_mov_b32_dpp v19, v3 row_shr:4 row_mask:0xf bank_mask:0xe
	v_mov_b32_dpp v20, v0 row_shr:4 row_mask:0xf bank_mask:0xe
	v_mov_b32_dpp v21, v1 row_shr:4 row_mask:0xf bank_mask:0xe
	v_add_f64 v[2:3], v[2:3], v[18:19]
	v_add_f64 v[0:1], v[0:1], v[20:21]
	s_nop 0
	;; [unrolled: 7-line block ×3, first 2 shown]
	v_mov_b32_dpp v18, v2 row_bcast:15 row_mask:0xa bank_mask:0xf
	v_mov_b32_dpp v19, v3 row_bcast:15 row_mask:0xa bank_mask:0xf
	;; [unrolled: 1-line block ×4, first 2 shown]
	s_and_saveexec_b64 s[2:3], s[0:1]
	s_cbranch_execz .LBB356_10
; %bb.16:                               ;   in Loop: Header=BB356_11 Depth=1
	v_add_f64 v[0:1], v[2:3], v[18:19]
	v_lshlrev_b64 v[18:19], 4, v[12:13]
	v_add_f64 v[2:3], v[20:21], v[22:23]
	v_mov_b32_e32 v20, s15
	v_add_co_u32_e32 v18, vcc, s14, v18
	v_addc_co_u32_e32 v19, vcc, v20, v19, vcc
	s_and_saveexec_b64 s[20:21], s[16:17]
	s_cbranch_execz .LBB356_9
; %bb.17:                               ;   in Loop: Header=BB356_11 Depth=1
	global_load_dwordx4 v[20:23], v[18:19], off
	s_waitcnt vmcnt(0)
	v_fmac_f64_e32 v[0:1], v[8:9], v[20:21]
	v_fmac_f64_e32 v[2:3], v[10:11], v[20:21]
	v_fma_f64 v[0:1], -v[10:11], v[22:23], v[0:1]
	v_fmac_f64_e32 v[2:3], v[8:9], v[22:23]
	s_branch .LBB356_9
.LBB356_18:
	s_endpgm
	.section	.rodata,"a",@progbits
	.p2align	6, 0x0
	.amdhsa_kernel _ZN9rocsparseL21csrmvn_general_kernelILj256ELj32Elld21rocsparse_complex_numIdES2_S2_EEvbT2_NS_24const_host_device_scalarIT6_EEPKT1_S9_PKS3_PKT3_PKT4_S6_PT5_21rocsparse_index_base_b
		.amdhsa_group_segment_fixed_size 4096
		.amdhsa_private_segment_fixed_size 0
		.amdhsa_kernarg_size 360
		.amdhsa_user_sgpr_count 8
		.amdhsa_user_sgpr_private_segment_buffer 1
		.amdhsa_user_sgpr_dispatch_ptr 1
		.amdhsa_user_sgpr_queue_ptr 0
		.amdhsa_user_sgpr_kernarg_segment_ptr 1
		.amdhsa_user_sgpr_dispatch_id 0
		.amdhsa_user_sgpr_flat_scratch_init 0
		.amdhsa_user_sgpr_kernarg_preload_length 0
		.amdhsa_user_sgpr_kernarg_preload_offset 0
		.amdhsa_user_sgpr_private_segment_size 0
		.amdhsa_uses_dynamic_stack 0
		.amdhsa_system_sgpr_private_segment_wavefront_offset 0
		.amdhsa_system_sgpr_workgroup_id_x 1
		.amdhsa_system_sgpr_workgroup_id_y 0
		.amdhsa_system_sgpr_workgroup_id_z 0
		.amdhsa_system_sgpr_workgroup_info 0
		.amdhsa_system_vgpr_workitem_id 2
		.amdhsa_next_free_vgpr 40
		.amdhsa_next_free_sgpr 28
		.amdhsa_accum_offset 40
		.amdhsa_reserve_vcc 1
		.amdhsa_reserve_flat_scratch 0
		.amdhsa_float_round_mode_32 0
		.amdhsa_float_round_mode_16_64 0
		.amdhsa_float_denorm_mode_32 3
		.amdhsa_float_denorm_mode_16_64 3
		.amdhsa_dx10_clamp 1
		.amdhsa_ieee_mode 1
		.amdhsa_fp16_overflow 0
		.amdhsa_tg_split 0
		.amdhsa_exception_fp_ieee_invalid_op 0
		.amdhsa_exception_fp_denorm_src 0
		.amdhsa_exception_fp_ieee_div_zero 0
		.amdhsa_exception_fp_ieee_overflow 0
		.amdhsa_exception_fp_ieee_underflow 0
		.amdhsa_exception_fp_ieee_inexact 0
		.amdhsa_exception_int_div_zero 0
	.end_amdhsa_kernel
	.section	.text._ZN9rocsparseL21csrmvn_general_kernelILj256ELj32Elld21rocsparse_complex_numIdES2_S2_EEvbT2_NS_24const_host_device_scalarIT6_EEPKT1_S9_PKS3_PKT3_PKT4_S6_PT5_21rocsparse_index_base_b,"axG",@progbits,_ZN9rocsparseL21csrmvn_general_kernelILj256ELj32Elld21rocsparse_complex_numIdES2_S2_EEvbT2_NS_24const_host_device_scalarIT6_EEPKT1_S9_PKS3_PKT3_PKT4_S6_PT5_21rocsparse_index_base_b,comdat
.Lfunc_end356:
	.size	_ZN9rocsparseL21csrmvn_general_kernelILj256ELj32Elld21rocsparse_complex_numIdES2_S2_EEvbT2_NS_24const_host_device_scalarIT6_EEPKT1_S9_PKS3_PKT3_PKT4_S6_PT5_21rocsparse_index_base_b, .Lfunc_end356-_ZN9rocsparseL21csrmvn_general_kernelILj256ELj32Elld21rocsparse_complex_numIdES2_S2_EEvbT2_NS_24const_host_device_scalarIT6_EEPKT1_S9_PKS3_PKT3_PKT4_S6_PT5_21rocsparse_index_base_b
                                        ; -- End function
	.section	.AMDGPU.csdata,"",@progbits
; Kernel info:
; codeLenInByte = 1176
; NumSgprs: 32
; NumVgprs: 40
; NumAgprs: 0
; TotalNumVgprs: 40
; ScratchSize: 0
; MemoryBound: 0
; FloatMode: 240
; IeeeMode: 1
; LDSByteSize: 4096 bytes/workgroup (compile time only)
; SGPRBlocks: 3
; VGPRBlocks: 4
; NumSGPRsForWavesPerEU: 32
; NumVGPRsForWavesPerEU: 40
; AccumOffset: 40
; Occupancy: 8
; WaveLimiterHint : 1
; COMPUTE_PGM_RSRC2:SCRATCH_EN: 0
; COMPUTE_PGM_RSRC2:USER_SGPR: 8
; COMPUTE_PGM_RSRC2:TRAP_HANDLER: 0
; COMPUTE_PGM_RSRC2:TGID_X_EN: 1
; COMPUTE_PGM_RSRC2:TGID_Y_EN: 0
; COMPUTE_PGM_RSRC2:TGID_Z_EN: 0
; COMPUTE_PGM_RSRC2:TIDIG_COMP_CNT: 2
; COMPUTE_PGM_RSRC3_GFX90A:ACCUM_OFFSET: 9
; COMPUTE_PGM_RSRC3_GFX90A:TG_SPLIT: 0
	.section	.text._ZN9rocsparseL21csrmvn_general_kernelILj256ELj64Elld21rocsparse_complex_numIdES2_S2_EEvbT2_NS_24const_host_device_scalarIT6_EEPKT1_S9_PKS3_PKT3_PKT4_S6_PT5_21rocsparse_index_base_b,"axG",@progbits,_ZN9rocsparseL21csrmvn_general_kernelILj256ELj64Elld21rocsparse_complex_numIdES2_S2_EEvbT2_NS_24const_host_device_scalarIT6_EEPKT1_S9_PKS3_PKT3_PKT4_S6_PT5_21rocsparse_index_base_b,comdat
	.globl	_ZN9rocsparseL21csrmvn_general_kernelILj256ELj64Elld21rocsparse_complex_numIdES2_S2_EEvbT2_NS_24const_host_device_scalarIT6_EEPKT1_S9_PKS3_PKT3_PKT4_S6_PT5_21rocsparse_index_base_b ; -- Begin function _ZN9rocsparseL21csrmvn_general_kernelILj256ELj64Elld21rocsparse_complex_numIdES2_S2_EEvbT2_NS_24const_host_device_scalarIT6_EEPKT1_S9_PKS3_PKT3_PKT4_S6_PT5_21rocsparse_index_base_b
	.p2align	8
	.type	_ZN9rocsparseL21csrmvn_general_kernelILj256ELj64Elld21rocsparse_complex_numIdES2_S2_EEvbT2_NS_24const_host_device_scalarIT6_EEPKT1_S9_PKS3_PKT3_PKT4_S6_PT5_21rocsparse_index_base_b,@function
_ZN9rocsparseL21csrmvn_general_kernelILj256ELj64Elld21rocsparse_complex_numIdES2_S2_EEvbT2_NS_24const_host_device_scalarIT6_EEPKT1_S9_PKS3_PKT3_PKT4_S6_PT5_21rocsparse_index_base_b: ; @_ZN9rocsparseL21csrmvn_general_kernelILj256ELj64Elld21rocsparse_complex_numIdES2_S2_EEvbT2_NS_24const_host_device_scalarIT6_EEPKT1_S9_PKS3_PKT3_PKT4_S6_PT5_21rocsparse_index_base_b
; %bb.0:
	s_load_dwordx2 s[24:25], s[6:7], 0x60
	s_load_dwordx8 s[12:19], s[6:7], 0x8
	s_load_dwordx4 s[20:23], s[6:7], 0x48
	s_mov_b64 s[2:3], src_shared_base
	s_load_dwordx2 s[4:5], s[4:5], 0x4
	s_waitcnt lgkmcnt(0)
	s_bitcmp1_b32 s25, 0
	s_cselect_b64 s[0:1], -1, 0
	s_and_b64 vcc, s[0:1], exec
	s_cselect_b32 s2, s3, s15
	s_lshr_b32 s4, s4, 16
	v_and_b32_e32 v1, 0x3ff, v0
	s_mul_i32 s4, s4, s5
	v_mul_lo_u32 v2, s4, v1
	v_bfe_u32 v3, v0, 10, 10
	v_mad_u32_u24 v2, v3, s5, v2
	v_bfe_u32 v0, v0, 20, 10
	v_add_lshl_u32 v0, v2, v0, 3
	v_mov_b32_e32 v6, s14
	v_add_u32_e32 v7, 0x800, v0
	v_pk_mov_b32 v[2:3], s[14:15], s[14:15] op_sel:[0,1]
	v_pk_mov_b32 v[4:5], s[20:21], s[20:21] op_sel:[0,1]
	ds_write2st64_b64 v0, v[4:5], v[2:3] offset1:4
	v_cndmask_b32_e64 v2, v6, v7, s[0:1]
	v_mov_b32_e32 v3, s2
	flat_load_dwordx2 v[4:5], v[2:3]
	s_xor_b64 s[4:5], s[0:1], -1
	v_pk_mov_b32 v[6:7], s[16:17], s[16:17] op_sel:[0,1]
	s_cbranch_vccnz .LBB357_2
; %bb.1:
	v_pk_mov_b32 v[2:3], s[14:15], s[14:15] op_sel:[0,1]
	flat_load_dwordx2 v[6:7], v[2:3] offset:8
.LBB357_2:
	s_and_b64 s[10:11], s[0:1], exec
	s_cselect_b32 s2, s3, s21
	v_mov_b32_e32 v2, s20
	v_cndmask_b32_e64 v2, v2, v0, s[0:1]
	v_mov_b32_e32 v3, s2
	flat_load_dwordx2 v[8:9], v[2:3]
	s_andn2_b64 vcc, exec, s[4:5]
	v_pk_mov_b32 v[10:11], s[22:23], s[22:23] op_sel:[0,1]
	s_cbranch_vccnz .LBB357_4
; %bb.3:
	v_pk_mov_b32 v[2:3], s[20:21], s[20:21] op_sel:[0,1]
	flat_load_dwordx2 v[10:11], v[2:3] offset:8
.LBB357_4:
	s_waitcnt vmcnt(0) lgkmcnt(0)
	v_cmp_eq_f64_e32 vcc, 0, v[4:5]
	v_cmp_eq_f64_e64 s[0:1], 0, v[6:7]
	s_and_b64 s[4:5], vcc, s[0:1]
	s_mov_b64 s[0:1], -1
	s_and_saveexec_b64 s[2:3], s[4:5]
; %bb.5:
	v_cmp_neq_f64_e32 vcc, 1.0, v[8:9]
	v_cmp_neq_f64_e64 s[0:1], 0, v[10:11]
	s_or_b64 s[0:1], vcc, s[0:1]
	s_orn2_b64 s[0:1], s[0:1], exec
; %bb.6:
	s_or_b64 exec, exec, s[2:3]
	s_and_saveexec_b64 s[2:3], s[0:1]
	s_cbranch_execz .LBB357_18
; %bb.7:
	s_load_dwordx2 s[4:5], s[6:7], 0x28
	v_lshl_or_b32 v0, s8, 8, v1
	v_lshrrev_b32_e32 v12, 6, v0
	v_mov_b32_e32 v13, 0
	v_cmp_gt_i64_e32 vcc, s[12:13], v[12:13]
	s_and_b64 exec, exec, vcc
	s_cbranch_execz .LBB357_18
; %bb.8:
	s_load_dword s2, s[6:7], 0x68
	s_load_dwordx2 s[14:15], s[6:7], 0x58
	s_load_dwordx4 s[8:11], s[6:7], 0x30
	s_load_dwordx2 s[0:1], s[6:7], 0x40
	v_and_b32_e32 v0, 63, v1
	v_subrev_co_u32_e32 v26, vcc, s24, v0
	s_waitcnt lgkmcnt(0)
	s_lshl_b32 s26, s2, 2
	v_subb_co_u32_e64 v27, s[2:3], 0, 0, vcc
	s_mov_b32 s2, 0
	s_brev_b32 s3, 1
	v_mul_f64 v[14:15], v[6:7], s[2:3]
	s_ashr_i32 s3, s24, 31
	s_mov_b32 s2, s24
	s_lshl_b64 s[2:3], s[2:3], 4
	s_sub_u32 s27, s0, s2
	s_mov_b32 s25, 0
	s_subb_u32 s21, s1, s3
	v_cmp_neq_f64_e32 vcc, 0, v[8:9]
	v_cmp_neq_f64_e64 s[2:3], 0, v[10:11]
	s_mov_b64 s[6:7], 0
	v_mul_f64 v[16:17], v[4:5], 0
	v_cmp_eq_u32_e64 s[0:1], 63, v0
	s_or_b64 s[16:17], vcc, s[2:3]
	v_mov_b32_e32 v28, s19
	v_mov_b32_e32 v29, s5
	;; [unrolled: 1-line block ×4, first 2 shown]
	s_branch .LBB357_11
.LBB357_9:                              ;   in Loop: Header=BB357_11 Depth=1
	s_or_b64 exec, exec, s[20:21]
	global_store_dwordx4 v[18:19], v[0:3], off
.LBB357_10:                             ;   in Loop: Header=BB357_11 Depth=1
	s_or_b64 exec, exec, s[2:3]
	v_mov_b32_e32 v0, s25
	v_add_co_u32_e32 v12, vcc, s26, v12
	v_addc_co_u32_e32 v13, vcc, v13, v0, vcc
	v_cmp_le_i64_e32 vcc, s[12:13], v[12:13]
	s_or_b64 s[6:7], vcc, s[6:7]
	s_andn2_b64 exec, exec, s[6:7]
	s_cbranch_execz .LBB357_18
.LBB357_11:                             ; =>This Loop Header: Depth=1
                                        ;     Child Loop BB357_13 Depth 2
	v_lshlrev_b64 v[0:1], 3, v[12:13]
	v_add_co_u32_e32 v2, vcc, s4, v0
	v_addc_co_u32_e32 v3, vcc, v29, v1, vcc
	global_load_dwordx2 v[2:3], v[2:3], off
	v_add_co_u32_e32 v0, vcc, s18, v0
	v_addc_co_u32_e32 v1, vcc, v28, v1, vcc
	global_load_dwordx2 v[18:19], v[0:1], off
	v_pk_mov_b32 v[0:1], 0, 0
	v_pk_mov_b32 v[20:21], v[0:1], v[0:1] op_sel:[0,1]
	s_waitcnt vmcnt(1)
	v_subrev_co_u32_e32 v2, vcc, s24, v2
	v_subb_co_u32_e32 v3, vcc, v3, v30, vcc
	s_waitcnt vmcnt(0)
	v_add_co_u32_e32 v18, vcc, v18, v26
	v_addc_co_u32_e32 v19, vcc, v19, v27, vcc
	v_cmp_lt_i64_e32 vcc, v[18:19], v[2:3]
	s_and_saveexec_b64 s[20:21], vcc
	s_cbranch_execz .LBB357_15
; %bb.12:                               ;   in Loop: Header=BB357_11 Depth=1
	v_lshlrev_b64 v[0:1], 3, v[18:19]
	v_mov_b32_e32 v20, s11
	v_add_co_u32_e32 v22, vcc, s10, v0
	v_addc_co_u32_e32 v23, vcc, v20, v1, vcc
	v_mov_b32_e32 v20, s9
	v_add_co_u32_e32 v24, vcc, s8, v0
	v_addc_co_u32_e32 v25, vcc, v20, v1, vcc
	v_pk_mov_b32 v[0:1], 0, 0
	s_mov_b64 s[22:23], 0
	v_pk_mov_b32 v[20:21], v[0:1], v[0:1] op_sel:[0,1]
.LBB357_13:                             ;   Parent Loop BB357_11 Depth=1
                                        ; =>  This Inner Loop Header: Depth=2
	global_load_dwordx2 v[32:33], v[24:25], off
	global_load_dwordx2 v[36:37], v[22:23], off
	s_waitcnt vmcnt(1)
	v_lshlrev_b64 v[32:33], 4, v[32:33]
	v_add_co_u32_e32 v32, vcc, s27, v32
	v_addc_co_u32_e32 v33, vcc, v31, v33, vcc
	global_load_dwordx4 v[32:35], v[32:33], off
	v_add_co_u32_e32 v18, vcc, 64, v18
	v_addc_co_u32_e32 v19, vcc, 0, v19, vcc
	v_add_co_u32_e32 v22, vcc, 0x200, v22
	v_addc_co_u32_e32 v23, vcc, 0, v23, vcc
	s_waitcnt vmcnt(1)
	v_fma_f64 v[38:39], v[4:5], v[36:37], v[14:15]
	v_fma_f64 v[36:37], v[6:7], v[36:37], v[16:17]
	v_add_co_u32_e32 v24, vcc, 0x200, v24
	v_cmp_ge_i64_e64 s[2:3], v[18:19], v[2:3]
	v_addc_co_u32_e32 v25, vcc, 0, v25, vcc
	s_or_b64 s[22:23], s[2:3], s[22:23]
	s_waitcnt vmcnt(0)
	v_fmac_f64_e32 v[20:21], v[38:39], v[32:33]
	v_fmac_f64_e32 v[0:1], v[36:37], v[32:33]
	v_fma_f64 v[20:21], -v[36:37], v[34:35], v[20:21]
	v_fmac_f64_e32 v[0:1], v[38:39], v[34:35]
	s_andn2_b64 exec, exec, s[22:23]
	s_cbranch_execnz .LBB357_13
; %bb.14:                               ;   in Loop: Header=BB357_11 Depth=1
	s_or_b64 exec, exec, s[22:23]
.LBB357_15:                             ;   in Loop: Header=BB357_11 Depth=1
	s_or_b64 exec, exec, s[20:21]
	v_mov_b32_dpp v2, v20 row_shr:1 row_mask:0xf bank_mask:0xf
	v_mov_b32_dpp v3, v21 row_shr:1 row_mask:0xf bank_mask:0xf
	v_add_f64 v[2:3], v[20:21], v[2:3]
	v_mov_b32_dpp v20, v0 row_shr:1 row_mask:0xf bank_mask:0xf
	v_mov_b32_dpp v21, v1 row_shr:1 row_mask:0xf bank_mask:0xf
	v_add_f64 v[0:1], v[0:1], v[20:21]
	v_mov_b32_dpp v18, v2 row_shr:2 row_mask:0xf bank_mask:0xf
	v_mov_b32_dpp v19, v3 row_shr:2 row_mask:0xf bank_mask:0xf
	v_mov_b32_dpp v20, v0 row_shr:2 row_mask:0xf bank_mask:0xf
	v_mov_b32_dpp v21, v1 row_shr:2 row_mask:0xf bank_mask:0xf
	v_add_f64 v[2:3], v[2:3], v[18:19]
	v_add_f64 v[0:1], v[0:1], v[20:21]
	s_nop 0
	v_mov_b32_dpp v18, v2 row_shr:4 row_mask:0xf bank_mask:0xe
	v_mov_b32_dpp v19, v3 row_shr:4 row_mask:0xf bank_mask:0xe
	v_mov_b32_dpp v20, v0 row_shr:4 row_mask:0xf bank_mask:0xe
	v_mov_b32_dpp v21, v1 row_shr:4 row_mask:0xf bank_mask:0xe
	v_add_f64 v[2:3], v[2:3], v[18:19]
	v_add_f64 v[0:1], v[0:1], v[20:21]
	s_nop 0
	;; [unrolled: 7-line block ×3, first 2 shown]
	v_mov_b32_dpp v18, v2 row_bcast:15 row_mask:0xa bank_mask:0xf
	v_mov_b32_dpp v19, v3 row_bcast:15 row_mask:0xa bank_mask:0xf
	;; [unrolled: 1-line block ×4, first 2 shown]
	v_add_f64 v[2:3], v[2:3], v[18:19]
	v_add_f64 v[20:21], v[0:1], v[20:21]
	s_nop 0
	v_mov_b32_dpp v18, v2 row_bcast:31 row_mask:0xc bank_mask:0xf
	v_mov_b32_dpp v19, v3 row_bcast:31 row_mask:0xc bank_mask:0xf
	;; [unrolled: 1-line block ×4, first 2 shown]
	s_and_saveexec_b64 s[2:3], s[0:1]
	s_cbranch_execz .LBB357_10
; %bb.16:                               ;   in Loop: Header=BB357_11 Depth=1
	v_add_f64 v[0:1], v[2:3], v[18:19]
	v_lshlrev_b64 v[18:19], 4, v[12:13]
	v_add_f64 v[2:3], v[20:21], v[22:23]
	v_mov_b32_e32 v20, s15
	v_add_co_u32_e32 v18, vcc, s14, v18
	v_addc_co_u32_e32 v19, vcc, v20, v19, vcc
	s_and_saveexec_b64 s[20:21], s[16:17]
	s_cbranch_execz .LBB357_9
; %bb.17:                               ;   in Loop: Header=BB357_11 Depth=1
	global_load_dwordx4 v[20:23], v[18:19], off
	s_waitcnt vmcnt(0)
	v_fmac_f64_e32 v[0:1], v[8:9], v[20:21]
	v_fmac_f64_e32 v[2:3], v[10:11], v[20:21]
	v_fma_f64 v[0:1], -v[10:11], v[22:23], v[0:1]
	v_fmac_f64_e32 v[2:3], v[8:9], v[22:23]
	s_branch .LBB357_9
.LBB357_18:
	s_endpgm
	.section	.rodata,"a",@progbits
	.p2align	6, 0x0
	.amdhsa_kernel _ZN9rocsparseL21csrmvn_general_kernelILj256ELj64Elld21rocsparse_complex_numIdES2_S2_EEvbT2_NS_24const_host_device_scalarIT6_EEPKT1_S9_PKS3_PKT3_PKT4_S6_PT5_21rocsparse_index_base_b
		.amdhsa_group_segment_fixed_size 4096
		.amdhsa_private_segment_fixed_size 0
		.amdhsa_kernarg_size 360
		.amdhsa_user_sgpr_count 8
		.amdhsa_user_sgpr_private_segment_buffer 1
		.amdhsa_user_sgpr_dispatch_ptr 1
		.amdhsa_user_sgpr_queue_ptr 0
		.amdhsa_user_sgpr_kernarg_segment_ptr 1
		.amdhsa_user_sgpr_dispatch_id 0
		.amdhsa_user_sgpr_flat_scratch_init 0
		.amdhsa_user_sgpr_kernarg_preload_length 0
		.amdhsa_user_sgpr_kernarg_preload_offset 0
		.amdhsa_user_sgpr_private_segment_size 0
		.amdhsa_uses_dynamic_stack 0
		.amdhsa_system_sgpr_private_segment_wavefront_offset 0
		.amdhsa_system_sgpr_workgroup_id_x 1
		.amdhsa_system_sgpr_workgroup_id_y 0
		.amdhsa_system_sgpr_workgroup_id_z 0
		.amdhsa_system_sgpr_workgroup_info 0
		.amdhsa_system_vgpr_workitem_id 2
		.amdhsa_next_free_vgpr 40
		.amdhsa_next_free_sgpr 28
		.amdhsa_accum_offset 40
		.amdhsa_reserve_vcc 1
		.amdhsa_reserve_flat_scratch 0
		.amdhsa_float_round_mode_32 0
		.amdhsa_float_round_mode_16_64 0
		.amdhsa_float_denorm_mode_32 3
		.amdhsa_float_denorm_mode_16_64 3
		.amdhsa_dx10_clamp 1
		.amdhsa_ieee_mode 1
		.amdhsa_fp16_overflow 0
		.amdhsa_tg_split 0
		.amdhsa_exception_fp_ieee_invalid_op 0
		.amdhsa_exception_fp_denorm_src 0
		.amdhsa_exception_fp_ieee_div_zero 0
		.amdhsa_exception_fp_ieee_overflow 0
		.amdhsa_exception_fp_ieee_underflow 0
		.amdhsa_exception_fp_ieee_inexact 0
		.amdhsa_exception_int_div_zero 0
	.end_amdhsa_kernel
	.section	.text._ZN9rocsparseL21csrmvn_general_kernelILj256ELj64Elld21rocsparse_complex_numIdES2_S2_EEvbT2_NS_24const_host_device_scalarIT6_EEPKT1_S9_PKS3_PKT3_PKT4_S6_PT5_21rocsparse_index_base_b,"axG",@progbits,_ZN9rocsparseL21csrmvn_general_kernelILj256ELj64Elld21rocsparse_complex_numIdES2_S2_EEvbT2_NS_24const_host_device_scalarIT6_EEPKT1_S9_PKS3_PKT3_PKT4_S6_PT5_21rocsparse_index_base_b,comdat
.Lfunc_end357:
	.size	_ZN9rocsparseL21csrmvn_general_kernelILj256ELj64Elld21rocsparse_complex_numIdES2_S2_EEvbT2_NS_24const_host_device_scalarIT6_EEPKT1_S9_PKS3_PKT3_PKT4_S6_PT5_21rocsparse_index_base_b, .Lfunc_end357-_ZN9rocsparseL21csrmvn_general_kernelILj256ELj64Elld21rocsparse_complex_numIdES2_S2_EEvbT2_NS_24const_host_device_scalarIT6_EEPKT1_S9_PKS3_PKT3_PKT4_S6_PT5_21rocsparse_index_base_b
                                        ; -- End function
	.section	.AMDGPU.csdata,"",@progbits
; Kernel info:
; codeLenInByte = 1228
; NumSgprs: 32
; NumVgprs: 40
; NumAgprs: 0
; TotalNumVgprs: 40
; ScratchSize: 0
; MemoryBound: 0
; FloatMode: 240
; IeeeMode: 1
; LDSByteSize: 4096 bytes/workgroup (compile time only)
; SGPRBlocks: 3
; VGPRBlocks: 4
; NumSGPRsForWavesPerEU: 32
; NumVGPRsForWavesPerEU: 40
; AccumOffset: 40
; Occupancy: 8
; WaveLimiterHint : 1
; COMPUTE_PGM_RSRC2:SCRATCH_EN: 0
; COMPUTE_PGM_RSRC2:USER_SGPR: 8
; COMPUTE_PGM_RSRC2:TRAP_HANDLER: 0
; COMPUTE_PGM_RSRC2:TGID_X_EN: 1
; COMPUTE_PGM_RSRC2:TGID_Y_EN: 0
; COMPUTE_PGM_RSRC2:TGID_Z_EN: 0
; COMPUTE_PGM_RSRC2:TIDIG_COMP_CNT: 2
; COMPUTE_PGM_RSRC3_GFX90A:ACCUM_OFFSET: 9
; COMPUTE_PGM_RSRC3_GFX90A:TG_SPLIT: 0
	.section	.text._ZN9rocsparseL21csrmvt_general_kernelILj256ELj4Elld21rocsparse_complex_numIdES2_S2_EEvbbT2_NS_24const_host_device_scalarIT6_EEPKT1_S9_PKS3_PKT3_PKT4_PT5_21rocsparse_index_base_b,"axG",@progbits,_ZN9rocsparseL21csrmvt_general_kernelILj256ELj4Elld21rocsparse_complex_numIdES2_S2_EEvbbT2_NS_24const_host_device_scalarIT6_EEPKT1_S9_PKS3_PKT3_PKT4_PT5_21rocsparse_index_base_b,comdat
	.globl	_ZN9rocsparseL21csrmvt_general_kernelILj256ELj4Elld21rocsparse_complex_numIdES2_S2_EEvbbT2_NS_24const_host_device_scalarIT6_EEPKT1_S9_PKS3_PKT3_PKT4_PT5_21rocsparse_index_base_b ; -- Begin function _ZN9rocsparseL21csrmvt_general_kernelILj256ELj4Elld21rocsparse_complex_numIdES2_S2_EEvbbT2_NS_24const_host_device_scalarIT6_EEPKT1_S9_PKS3_PKT3_PKT4_PT5_21rocsparse_index_base_b
	.p2align	8
	.type	_ZN9rocsparseL21csrmvt_general_kernelILj256ELj4Elld21rocsparse_complex_numIdES2_S2_EEvbbT2_NS_24const_host_device_scalarIT6_EEPKT1_S9_PKS3_PKT3_PKT4_PT5_21rocsparse_index_base_b,@function
_ZN9rocsparseL21csrmvt_general_kernelILj256ELj4Elld21rocsparse_complex_numIdES2_S2_EEvbbT2_NS_24const_host_device_scalarIT6_EEPKT1_S9_PKS3_PKT3_PKT4_PT5_21rocsparse_index_base_b: ; @_ZN9rocsparseL21csrmvt_general_kernelILj256ELj4Elld21rocsparse_complex_numIdES2_S2_EEvbbT2_NS_24const_host_device_scalarIT6_EEPKT1_S9_PKS3_PKT3_PKT4_PT5_21rocsparse_index_base_b
; %bb.0:
	s_load_dwordx2 s[2:3], s[6:7], 0x50
	s_load_dwordx2 s[0:1], s[4:5], 0x4
	s_load_dwordx8 s[12:19], s[6:7], 0x8
	v_and_b32_e32 v1, 0x3ff, v0
	v_bfe_u32 v3, v0, 10, 10
	s_waitcnt lgkmcnt(0)
	s_and_b32 s3, 1, s3
	s_lshr_b32 s0, s0, 16
	s_mul_i32 s0, s0, s1
	v_mul_lo_u32 v2, s0, v1
	s_cmp_eq_u32 s3, 1
	v_mad_u32_u24 v2, v3, s1, v2
	v_bfe_u32 v0, v0, 20, 10
	v_add_lshl_u32 v0, v2, v0, 3
	v_pk_mov_b32 v[2:3], s[14:15], s[14:15] op_sel:[0,1]
	s_cselect_b64 vcc, -1, 0
	ds_write_b64 v0, v[2:3]
	s_mov_b64 s[0:1], src_shared_base
	v_cndmask_b32_e32 v2, v2, v0, vcc
	s_and_b64 vcc, vcc, exec
	s_cselect_b32 s0, s1, s15
	v_mov_b32_e32 v3, s0
	flat_load_dwordx2 v[4:5], v[2:3]
	v_pk_mov_b32 v[6:7], s[16:17], s[16:17] op_sel:[0,1]
	s_cbranch_vccnz .LBB358_2
; %bb.1:
	v_pk_mov_b32 v[2:3], s[14:15], s[14:15] op_sel:[0,1]
	flat_load_dwordx2 v[6:7], v[2:3] offset:8
.LBB358_2:
	s_waitcnt vmcnt(0) lgkmcnt(0)
	v_cmp_neq_f64_e32 vcc, 0, v[4:5]
	v_cmp_neq_f64_e64 s[0:1], 0, v[6:7]
	s_or_b64 s[0:1], vcc, s[0:1]
	s_and_saveexec_b64 s[4:5], s[0:1]
	s_cbranch_execz .LBB358_27
; %bb.3:
	s_load_dword s0, s[6:7], 0x0
	s_load_dword s1, s[6:7], 0x58
	s_load_dwordx2 s[4:5], s[6:7], 0x48
	s_load_dwordx8 s[20:27], s[6:7], 0x28
	v_lshl_or_b32 v0, s8, 8, v1
	s_waitcnt lgkmcnt(0)
	s_and_b32 s0, s0, 1
	s_lshl_b32 s3, s1, 6
	v_lshrrev_b32_e32 v8, 2, v0
	v_mov_b32_e32 v9, 0
	s_cmp_eq_u32 s0, 0
	v_and_b32_e32 v30, 3, v1
	v_cmp_gt_i64_e64 s[0:1], s[12:13], v[8:9]
	s_mov_b64 s[6:7], -1
	s_cbranch_scc0 .LBB358_15
; %bb.4:
	s_and_saveexec_b64 s[6:7], s[0:1]
	s_cbranch_execz .LBB358_14
; %bb.5:
	s_mov_b32 s10, 0
	v_subrev_co_u32_e32 v31, vcc, s2, v30
	v_subb_co_u32_e64 v32, s[8:9], 0, 0, vcc
	v_mov_b32_e32 v35, s10
	s_mov_b32 s10, 0
	s_mov_b64 s[8:9], 0
	v_mov_b32_e32 v33, s19
	v_mov_b32_e32 v34, s21
	s_brev_b32 s11, 1
	v_pk_mov_b32 v[10:11], v[8:9], v[8:9] op_sel:[0,1]
	s_branch .LBB358_7
.LBB358_6:                              ;   in Loop: Header=BB358_7 Depth=1
	s_or_b64 exec, exec, s[14:15]
	v_add_co_u32_e32 v10, vcc, s3, v10
	v_addc_co_u32_e32 v11, vcc, 0, v11, vcc
	v_cmp_le_i64_e32 vcc, s[12:13], v[10:11]
	s_or_b64 s[8:9], vcc, s[8:9]
	s_andn2_b64 exec, exec, s[8:9]
	s_cbranch_execz .LBB358_14
.LBB358_7:                              ; =>This Loop Header: Depth=1
                                        ;     Child Loop BB358_9 Depth 2
                                        ;       Child Loop BB358_10 Depth 3
                                        ;       Child Loop BB358_12 Depth 3
	v_lshlrev_b64 v[0:1], 3, v[10:11]
	v_add_co_u32_e32 v2, vcc, s20, v0
	v_addc_co_u32_e32 v3, vcc, v34, v1, vcc
	global_load_dwordx2 v[2:3], v[2:3], off
	v_add_co_u32_e32 v0, vcc, s18, v0
	v_addc_co_u32_e32 v1, vcc, v33, v1, vcc
	global_load_dwordx2 v[0:1], v[0:1], off
	s_waitcnt vmcnt(1)
	v_subrev_co_u32_e32 v12, vcc, s2, v2
	v_subb_co_u32_e32 v13, vcc, v3, v35, vcc
	s_waitcnt vmcnt(0)
	v_add_co_u32_e32 v14, vcc, v0, v31
	v_addc_co_u32_e32 v15, vcc, v1, v32, vcc
	v_cmp_lt_i64_e32 vcc, v[14:15], v[12:13]
	s_and_saveexec_b64 s[14:15], vcc
	s_cbranch_execz .LBB358_6
; %bb.8:                                ;   in Loop: Header=BB358_7 Depth=1
	v_lshlrev_b64 v[0:1], 4, v[10:11]
	v_mov_b32_e32 v2, s27
	v_add_co_u32_e32 v0, vcc, s26, v0
	v_addc_co_u32_e32 v1, vcc, v2, v1, vcc
	global_load_dwordx4 v[0:3], v[0:1], off
	s_mov_b64 s[16:17], 0
	s_waitcnt vmcnt(0)
	v_mul_f64 v[16:17], v[2:3], -v[6:7]
	v_mul_f64 v[18:19], v[4:5], v[2:3]
	v_fmac_f64_e32 v[16:17], v[4:5], v[0:1]
	v_fmac_f64_e32 v[18:19], v[6:7], v[0:1]
	v_mul_f64 v[20:21], v[18:19], s[10:11]
	v_mul_f64 v[22:23], v[16:17], 0
.LBB358_9:                              ;   Parent Loop BB358_7 Depth=1
                                        ; =>  This Loop Header: Depth=2
                                        ;       Child Loop BB358_10 Depth 3
                                        ;       Child Loop BB358_12 Depth 3
	v_lshlrev_b64 v[0:1], 3, v[14:15]
	v_mov_b32_e32 v3, s23
	v_add_co_u32_e32 v2, vcc, s22, v0
	v_addc_co_u32_e32 v3, vcc, v3, v1, vcc
	global_load_dwordx2 v[2:3], v[2:3], off
	v_mov_b32_e32 v24, s25
	v_add_co_u32_e32 v0, vcc, s24, v0
	v_addc_co_u32_e32 v1, vcc, v24, v1, vcc
	global_load_dwordx2 v[26:27], v[0:1], off
	v_mov_b32_e32 v25, s5
	s_mov_b64 s[28:29], 0
	s_waitcnt vmcnt(1)
	v_subrev_co_u32_e32 v0, vcc, s2, v2
	v_subb_co_u32_e32 v1, vcc, v3, v35, vcc
	v_lshlrev_b64 v[0:1], 4, v[0:1]
	v_add_co_u32_e32 v24, vcc, s4, v0
	v_addc_co_u32_e32 v25, vcc, v25, v1, vcc
	global_load_dwordx2 v[2:3], v[24:25], off
	s_waitcnt vmcnt(1)
	v_fma_f64 v[28:29], v[16:17], v[26:27], v[20:21]
.LBB358_10:                             ;   Parent Loop BB358_7 Depth=1
                                        ;     Parent Loop BB358_9 Depth=2
                                        ; =>    This Inner Loop Header: Depth=3
	s_waitcnt vmcnt(0)
	v_add_f64 v[0:1], v[2:3], v[28:29]
	global_atomic_cmpswap_x2 v[0:1], v[24:25], v[0:3], off glc
	s_waitcnt vmcnt(0)
	v_cmp_eq_u64_e32 vcc, v[0:1], v[2:3]
	s_or_b64 s[28:29], vcc, s[28:29]
	v_pk_mov_b32 v[2:3], v[0:1], v[0:1] op_sel:[0,1]
	s_andn2_b64 exec, exec, s[28:29]
	s_cbranch_execnz .LBB358_10
; %bb.11:                               ;   in Loop: Header=BB358_9 Depth=2
	s_or_b64 exec, exec, s[28:29]
	global_load_dwordx2 v[2:3], v[24:25], off offset:8
	v_fma_f64 v[26:27], v[18:19], v[26:27], v[22:23]
	s_mov_b64 s[28:29], 0
.LBB358_12:                             ;   Parent Loop BB358_7 Depth=1
                                        ;     Parent Loop BB358_9 Depth=2
                                        ; =>    This Inner Loop Header: Depth=3
	s_waitcnt vmcnt(0)
	v_add_f64 v[0:1], v[2:3], v[26:27]
	global_atomic_cmpswap_x2 v[0:1], v[24:25], v[0:3], off offset:8 glc
	s_waitcnt vmcnt(0)
	v_cmp_eq_u64_e32 vcc, v[0:1], v[2:3]
	s_or_b64 s[28:29], vcc, s[28:29]
	v_pk_mov_b32 v[2:3], v[0:1], v[0:1] op_sel:[0,1]
	s_andn2_b64 exec, exec, s[28:29]
	s_cbranch_execnz .LBB358_12
; %bb.13:                               ;   in Loop: Header=BB358_9 Depth=2
	s_or_b64 exec, exec, s[28:29]
	v_add_co_u32_e32 v14, vcc, 4, v14
	v_addc_co_u32_e32 v15, vcc, 0, v15, vcc
	v_cmp_ge_i64_e32 vcc, v[14:15], v[12:13]
	s_or_b64 s[16:17], vcc, s[16:17]
	s_andn2_b64 exec, exec, s[16:17]
	s_cbranch_execnz .LBB358_9
	s_branch .LBB358_6
.LBB358_14:
	s_or_b64 exec, exec, s[6:7]
	s_mov_b64 s[6:7], 0
.LBB358_15:
	s_andn2_b64 vcc, exec, s[6:7]
	s_cbranch_vccnz .LBB358_27
; %bb.16:
	s_and_b64 exec, exec, s[0:1]
	s_cbranch_execz .LBB358_27
; %bb.17:
	s_mov_b32 s6, 0
	v_subrev_co_u32_e32 v28, vcc, s2, v30
	v_subb_co_u32_e64 v29, s[0:1], 0, 0, vcc
	v_mov_b32_e32 v32, s6
	s_mov_b32 s6, 0
	s_mov_b64 s[0:1], 0
	v_mov_b32_e32 v30, s19
	v_mov_b32_e32 v31, s21
	s_brev_b32 s7, 1
	s_branch .LBB358_19
.LBB358_18:                             ;   in Loop: Header=BB358_19 Depth=1
	s_or_b64 exec, exec, s[8:9]
	v_add_co_u32_e32 v8, vcc, s3, v8
	v_addc_co_u32_e32 v9, vcc, 0, v9, vcc
	v_cmp_le_i64_e32 vcc, s[12:13], v[8:9]
	s_or_b64 s[0:1], vcc, s[0:1]
	s_andn2_b64 exec, exec, s[0:1]
	s_cbranch_execz .LBB358_27
.LBB358_19:                             ; =>This Loop Header: Depth=1
                                        ;     Child Loop BB358_22 Depth 2
                                        ;       Child Loop BB358_24 Depth 3
                                        ;       Child Loop BB358_26 Depth 3
	v_lshlrev_b64 v[0:1], 3, v[8:9]
	v_add_co_u32_e32 v2, vcc, s20, v0
	v_addc_co_u32_e32 v3, vcc, v31, v1, vcc
	global_load_dwordx2 v[2:3], v[2:3], off
	v_add_co_u32_e32 v0, vcc, s18, v0
	v_addc_co_u32_e32 v1, vcc, v30, v1, vcc
	global_load_dwordx2 v[0:1], v[0:1], off
	s_waitcnt vmcnt(1)
	v_subrev_co_u32_e32 v10, vcc, s2, v2
	v_subb_co_u32_e32 v11, vcc, v3, v32, vcc
	s_waitcnt vmcnt(0)
	v_add_co_u32_e32 v12, vcc, v0, v28
	v_addc_co_u32_e32 v13, vcc, v1, v29, vcc
	v_cmp_lt_i64_e32 vcc, v[12:13], v[10:11]
	s_and_saveexec_b64 s[8:9], vcc
	s_cbranch_execz .LBB358_18
; %bb.20:                               ;   in Loop: Header=BB358_19 Depth=1
	v_lshlrev_b64 v[0:1], 4, v[8:9]
	v_mov_b32_e32 v2, s27
	v_add_co_u32_e32 v0, vcc, s26, v0
	v_addc_co_u32_e32 v1, vcc, v2, v1, vcc
	global_load_dwordx4 v[0:3], v[0:1], off
	s_mov_b64 s[10:11], 0
	s_waitcnt vmcnt(0)
	v_mul_f64 v[14:15], v[2:3], -v[6:7]
	v_mul_f64 v[16:17], v[4:5], v[2:3]
	v_fmac_f64_e32 v[14:15], v[4:5], v[0:1]
	v_fmac_f64_e32 v[16:17], v[6:7], v[0:1]
	v_mul_f64 v[18:19], v[16:17], s[6:7]
	v_mul_f64 v[20:21], v[14:15], 0
	s_branch .LBB358_22
.LBB358_21:                             ;   in Loop: Header=BB358_22 Depth=2
	s_or_b64 exec, exec, s[14:15]
	v_add_co_u32_e32 v12, vcc, 4, v12
	v_addc_co_u32_e32 v13, vcc, 0, v13, vcc
	v_cmp_ge_i64_e32 vcc, v[12:13], v[10:11]
	s_or_b64 s[10:11], vcc, s[10:11]
	s_andn2_b64 exec, exec, s[10:11]
	s_cbranch_execz .LBB358_18
.LBB358_22:                             ;   Parent Loop BB358_19 Depth=1
                                        ; =>  This Loop Header: Depth=2
                                        ;       Child Loop BB358_24 Depth 3
                                        ;       Child Loop BB358_26 Depth 3
	v_lshlrev_b64 v[0:1], 3, v[12:13]
	v_mov_b32_e32 v3, s23
	v_add_co_u32_e32 v2, vcc, s22, v0
	v_addc_co_u32_e32 v3, vcc, v3, v1, vcc
	global_load_dwordx2 v[2:3], v[2:3], off
	s_waitcnt vmcnt(0)
	v_subrev_co_u32_e32 v2, vcc, s2, v2
	v_subb_co_u32_e32 v3, vcc, v3, v32, vcc
	v_cmp_ne_u64_e32 vcc, v[2:3], v[8:9]
	s_and_saveexec_b64 s[14:15], vcc
	s_cbranch_execz .LBB358_21
; %bb.23:                               ;   in Loop: Header=BB358_22 Depth=2
	v_mov_b32_e32 v22, s25
	v_add_co_u32_e32 v0, vcc, s24, v0
	v_addc_co_u32_e32 v1, vcc, v22, v1, vcc
	global_load_dwordx2 v[24:25], v[0:1], off
	v_lshlrev_b64 v[0:1], 4, v[2:3]
	v_mov_b32_e32 v2, s5
	v_add_co_u32_e32 v22, vcc, s4, v0
	v_addc_co_u32_e32 v23, vcc, v2, v1, vcc
	global_load_dwordx2 v[2:3], v[22:23], off
	s_mov_b64 s[16:17], 0
	s_waitcnt vmcnt(1)
	v_fma_f64 v[26:27], v[14:15], v[24:25], v[18:19]
.LBB358_24:                             ;   Parent Loop BB358_19 Depth=1
                                        ;     Parent Loop BB358_22 Depth=2
                                        ; =>    This Inner Loop Header: Depth=3
	s_waitcnt vmcnt(0)
	v_add_f64 v[0:1], v[2:3], v[26:27]
	global_atomic_cmpswap_x2 v[0:1], v[22:23], v[0:3], off glc
	s_waitcnt vmcnt(0)
	v_cmp_eq_u64_e32 vcc, v[0:1], v[2:3]
	s_or_b64 s[16:17], vcc, s[16:17]
	v_pk_mov_b32 v[2:3], v[0:1], v[0:1] op_sel:[0,1]
	s_andn2_b64 exec, exec, s[16:17]
	s_cbranch_execnz .LBB358_24
; %bb.25:                               ;   in Loop: Header=BB358_22 Depth=2
	s_or_b64 exec, exec, s[16:17]
	global_load_dwordx2 v[2:3], v[22:23], off offset:8
	v_fma_f64 v[24:25], v[16:17], v[24:25], v[20:21]
	s_mov_b64 s[16:17], 0
.LBB358_26:                             ;   Parent Loop BB358_19 Depth=1
                                        ;     Parent Loop BB358_22 Depth=2
                                        ; =>    This Inner Loop Header: Depth=3
	s_waitcnt vmcnt(0)
	v_add_f64 v[0:1], v[2:3], v[24:25]
	global_atomic_cmpswap_x2 v[0:1], v[22:23], v[0:3], off offset:8 glc
	s_waitcnt vmcnt(0)
	v_cmp_eq_u64_e32 vcc, v[0:1], v[2:3]
	s_or_b64 s[16:17], vcc, s[16:17]
	v_pk_mov_b32 v[2:3], v[0:1], v[0:1] op_sel:[0,1]
	s_andn2_b64 exec, exec, s[16:17]
	s_cbranch_execnz .LBB358_26
	s_branch .LBB358_21
.LBB358_27:
	s_endpgm
	.section	.rodata,"a",@progbits
	.p2align	6, 0x0
	.amdhsa_kernel _ZN9rocsparseL21csrmvt_general_kernelILj256ELj4Elld21rocsparse_complex_numIdES2_S2_EEvbbT2_NS_24const_host_device_scalarIT6_EEPKT1_S9_PKS3_PKT3_PKT4_PT5_21rocsparse_index_base_b
		.amdhsa_group_segment_fixed_size 2048
		.amdhsa_private_segment_fixed_size 0
		.amdhsa_kernarg_size 344
		.amdhsa_user_sgpr_count 8
		.amdhsa_user_sgpr_private_segment_buffer 1
		.amdhsa_user_sgpr_dispatch_ptr 1
		.amdhsa_user_sgpr_queue_ptr 0
		.amdhsa_user_sgpr_kernarg_segment_ptr 1
		.amdhsa_user_sgpr_dispatch_id 0
		.amdhsa_user_sgpr_flat_scratch_init 0
		.amdhsa_user_sgpr_kernarg_preload_length 0
		.amdhsa_user_sgpr_kernarg_preload_offset 0
		.amdhsa_user_sgpr_private_segment_size 0
		.amdhsa_uses_dynamic_stack 0
		.amdhsa_system_sgpr_private_segment_wavefront_offset 0
		.amdhsa_system_sgpr_workgroup_id_x 1
		.amdhsa_system_sgpr_workgroup_id_y 0
		.amdhsa_system_sgpr_workgroup_id_z 0
		.amdhsa_system_sgpr_workgroup_info 0
		.amdhsa_system_vgpr_workitem_id 2
		.amdhsa_next_free_vgpr 36
		.amdhsa_next_free_sgpr 30
		.amdhsa_accum_offset 36
		.amdhsa_reserve_vcc 1
		.amdhsa_reserve_flat_scratch 0
		.amdhsa_float_round_mode_32 0
		.amdhsa_float_round_mode_16_64 0
		.amdhsa_float_denorm_mode_32 3
		.amdhsa_float_denorm_mode_16_64 3
		.amdhsa_dx10_clamp 1
		.amdhsa_ieee_mode 1
		.amdhsa_fp16_overflow 0
		.amdhsa_tg_split 0
		.amdhsa_exception_fp_ieee_invalid_op 0
		.amdhsa_exception_fp_denorm_src 0
		.amdhsa_exception_fp_ieee_div_zero 0
		.amdhsa_exception_fp_ieee_overflow 0
		.amdhsa_exception_fp_ieee_underflow 0
		.amdhsa_exception_fp_ieee_inexact 0
		.amdhsa_exception_int_div_zero 0
	.end_amdhsa_kernel
	.section	.text._ZN9rocsparseL21csrmvt_general_kernelILj256ELj4Elld21rocsparse_complex_numIdES2_S2_EEvbbT2_NS_24const_host_device_scalarIT6_EEPKT1_S9_PKS3_PKT3_PKT4_PT5_21rocsparse_index_base_b,"axG",@progbits,_ZN9rocsparseL21csrmvt_general_kernelILj256ELj4Elld21rocsparse_complex_numIdES2_S2_EEvbbT2_NS_24const_host_device_scalarIT6_EEPKT1_S9_PKS3_PKT3_PKT4_PT5_21rocsparse_index_base_b,comdat
.Lfunc_end358:
	.size	_ZN9rocsparseL21csrmvt_general_kernelILj256ELj4Elld21rocsparse_complex_numIdES2_S2_EEvbbT2_NS_24const_host_device_scalarIT6_EEPKT1_S9_PKS3_PKT3_PKT4_PT5_21rocsparse_index_base_b, .Lfunc_end358-_ZN9rocsparseL21csrmvt_general_kernelILj256ELj4Elld21rocsparse_complex_numIdES2_S2_EEvbbT2_NS_24const_host_device_scalarIT6_EEPKT1_S9_PKS3_PKT3_PKT4_PT5_21rocsparse_index_base_b
                                        ; -- End function
	.section	.AMDGPU.csdata,"",@progbits
; Kernel info:
; codeLenInByte = 1300
; NumSgprs: 34
; NumVgprs: 36
; NumAgprs: 0
; TotalNumVgprs: 36
; ScratchSize: 0
; MemoryBound: 0
; FloatMode: 240
; IeeeMode: 1
; LDSByteSize: 2048 bytes/workgroup (compile time only)
; SGPRBlocks: 4
; VGPRBlocks: 4
; NumSGPRsForWavesPerEU: 34
; NumVGPRsForWavesPerEU: 36
; AccumOffset: 36
; Occupancy: 8
; WaveLimiterHint : 1
; COMPUTE_PGM_RSRC2:SCRATCH_EN: 0
; COMPUTE_PGM_RSRC2:USER_SGPR: 8
; COMPUTE_PGM_RSRC2:TRAP_HANDLER: 0
; COMPUTE_PGM_RSRC2:TGID_X_EN: 1
; COMPUTE_PGM_RSRC2:TGID_Y_EN: 0
; COMPUTE_PGM_RSRC2:TGID_Z_EN: 0
; COMPUTE_PGM_RSRC2:TIDIG_COMP_CNT: 2
; COMPUTE_PGM_RSRC3_GFX90A:ACCUM_OFFSET: 8
; COMPUTE_PGM_RSRC3_GFX90A:TG_SPLIT: 0
	.section	.text._ZN9rocsparseL21csrmvt_general_kernelILj256ELj8Elld21rocsparse_complex_numIdES2_S2_EEvbbT2_NS_24const_host_device_scalarIT6_EEPKT1_S9_PKS3_PKT3_PKT4_PT5_21rocsparse_index_base_b,"axG",@progbits,_ZN9rocsparseL21csrmvt_general_kernelILj256ELj8Elld21rocsparse_complex_numIdES2_S2_EEvbbT2_NS_24const_host_device_scalarIT6_EEPKT1_S9_PKS3_PKT3_PKT4_PT5_21rocsparse_index_base_b,comdat
	.globl	_ZN9rocsparseL21csrmvt_general_kernelILj256ELj8Elld21rocsparse_complex_numIdES2_S2_EEvbbT2_NS_24const_host_device_scalarIT6_EEPKT1_S9_PKS3_PKT3_PKT4_PT5_21rocsparse_index_base_b ; -- Begin function _ZN9rocsparseL21csrmvt_general_kernelILj256ELj8Elld21rocsparse_complex_numIdES2_S2_EEvbbT2_NS_24const_host_device_scalarIT6_EEPKT1_S9_PKS3_PKT3_PKT4_PT5_21rocsparse_index_base_b
	.p2align	8
	.type	_ZN9rocsparseL21csrmvt_general_kernelILj256ELj8Elld21rocsparse_complex_numIdES2_S2_EEvbbT2_NS_24const_host_device_scalarIT6_EEPKT1_S9_PKS3_PKT3_PKT4_PT5_21rocsparse_index_base_b,@function
_ZN9rocsparseL21csrmvt_general_kernelILj256ELj8Elld21rocsparse_complex_numIdES2_S2_EEvbbT2_NS_24const_host_device_scalarIT6_EEPKT1_S9_PKS3_PKT3_PKT4_PT5_21rocsparse_index_base_b: ; @_ZN9rocsparseL21csrmvt_general_kernelILj256ELj8Elld21rocsparse_complex_numIdES2_S2_EEvbbT2_NS_24const_host_device_scalarIT6_EEPKT1_S9_PKS3_PKT3_PKT4_PT5_21rocsparse_index_base_b
; %bb.0:
	s_load_dwordx2 s[2:3], s[6:7], 0x50
	s_load_dwordx2 s[0:1], s[4:5], 0x4
	s_load_dwordx8 s[12:19], s[6:7], 0x8
	v_and_b32_e32 v1, 0x3ff, v0
	v_bfe_u32 v3, v0, 10, 10
	s_waitcnt lgkmcnt(0)
	s_and_b32 s3, 1, s3
	s_lshr_b32 s0, s0, 16
	s_mul_i32 s0, s0, s1
	v_mul_lo_u32 v2, s0, v1
	s_cmp_eq_u32 s3, 1
	v_mad_u32_u24 v2, v3, s1, v2
	v_bfe_u32 v0, v0, 20, 10
	v_add_lshl_u32 v0, v2, v0, 3
	v_pk_mov_b32 v[2:3], s[14:15], s[14:15] op_sel:[0,1]
	s_cselect_b64 vcc, -1, 0
	ds_write_b64 v0, v[2:3]
	s_mov_b64 s[0:1], src_shared_base
	v_cndmask_b32_e32 v2, v2, v0, vcc
	s_and_b64 vcc, vcc, exec
	s_cselect_b32 s0, s1, s15
	v_mov_b32_e32 v3, s0
	flat_load_dwordx2 v[4:5], v[2:3]
	v_pk_mov_b32 v[6:7], s[16:17], s[16:17] op_sel:[0,1]
	s_cbranch_vccnz .LBB359_2
; %bb.1:
	v_pk_mov_b32 v[2:3], s[14:15], s[14:15] op_sel:[0,1]
	flat_load_dwordx2 v[6:7], v[2:3] offset:8
.LBB359_2:
	s_waitcnt vmcnt(0) lgkmcnt(0)
	v_cmp_neq_f64_e32 vcc, 0, v[4:5]
	v_cmp_neq_f64_e64 s[0:1], 0, v[6:7]
	s_or_b64 s[0:1], vcc, s[0:1]
	s_and_saveexec_b64 s[4:5], s[0:1]
	s_cbranch_execz .LBB359_27
; %bb.3:
	s_load_dword s0, s[6:7], 0x0
	s_load_dword s1, s[6:7], 0x58
	s_load_dwordx2 s[4:5], s[6:7], 0x48
	s_load_dwordx8 s[20:27], s[6:7], 0x28
	v_lshl_or_b32 v0, s8, 8, v1
	s_waitcnt lgkmcnt(0)
	s_and_b32 s0, s0, 1
	s_lshl_b32 s3, s1, 5
	v_lshrrev_b32_e32 v8, 3, v0
	v_mov_b32_e32 v9, 0
	s_cmp_eq_u32 s0, 0
	v_and_b32_e32 v30, 7, v1
	v_cmp_gt_i64_e64 s[0:1], s[12:13], v[8:9]
	s_mov_b64 s[6:7], -1
	s_cbranch_scc0 .LBB359_15
; %bb.4:
	s_and_saveexec_b64 s[6:7], s[0:1]
	s_cbranch_execz .LBB359_14
; %bb.5:
	s_mov_b32 s10, 0
	v_subrev_co_u32_e32 v31, vcc, s2, v30
	v_subb_co_u32_e64 v32, s[8:9], 0, 0, vcc
	v_mov_b32_e32 v35, s10
	s_mov_b32 s10, 0
	s_mov_b64 s[8:9], 0
	v_mov_b32_e32 v33, s19
	v_mov_b32_e32 v34, s21
	s_brev_b32 s11, 1
	v_pk_mov_b32 v[10:11], v[8:9], v[8:9] op_sel:[0,1]
	s_branch .LBB359_7
.LBB359_6:                              ;   in Loop: Header=BB359_7 Depth=1
	s_or_b64 exec, exec, s[14:15]
	v_add_co_u32_e32 v10, vcc, s3, v10
	v_addc_co_u32_e32 v11, vcc, 0, v11, vcc
	v_cmp_le_i64_e32 vcc, s[12:13], v[10:11]
	s_or_b64 s[8:9], vcc, s[8:9]
	s_andn2_b64 exec, exec, s[8:9]
	s_cbranch_execz .LBB359_14
.LBB359_7:                              ; =>This Loop Header: Depth=1
                                        ;     Child Loop BB359_9 Depth 2
                                        ;       Child Loop BB359_10 Depth 3
                                        ;       Child Loop BB359_12 Depth 3
	v_lshlrev_b64 v[0:1], 3, v[10:11]
	v_add_co_u32_e32 v2, vcc, s20, v0
	v_addc_co_u32_e32 v3, vcc, v34, v1, vcc
	global_load_dwordx2 v[2:3], v[2:3], off
	v_add_co_u32_e32 v0, vcc, s18, v0
	v_addc_co_u32_e32 v1, vcc, v33, v1, vcc
	global_load_dwordx2 v[0:1], v[0:1], off
	s_waitcnt vmcnt(1)
	v_subrev_co_u32_e32 v12, vcc, s2, v2
	v_subb_co_u32_e32 v13, vcc, v3, v35, vcc
	s_waitcnt vmcnt(0)
	v_add_co_u32_e32 v14, vcc, v0, v31
	v_addc_co_u32_e32 v15, vcc, v1, v32, vcc
	v_cmp_lt_i64_e32 vcc, v[14:15], v[12:13]
	s_and_saveexec_b64 s[14:15], vcc
	s_cbranch_execz .LBB359_6
; %bb.8:                                ;   in Loop: Header=BB359_7 Depth=1
	v_lshlrev_b64 v[0:1], 4, v[10:11]
	v_mov_b32_e32 v2, s27
	v_add_co_u32_e32 v0, vcc, s26, v0
	v_addc_co_u32_e32 v1, vcc, v2, v1, vcc
	global_load_dwordx4 v[0:3], v[0:1], off
	s_mov_b64 s[16:17], 0
	s_waitcnt vmcnt(0)
	v_mul_f64 v[16:17], v[2:3], -v[6:7]
	v_mul_f64 v[18:19], v[4:5], v[2:3]
	v_fmac_f64_e32 v[16:17], v[4:5], v[0:1]
	v_fmac_f64_e32 v[18:19], v[6:7], v[0:1]
	v_mul_f64 v[20:21], v[18:19], s[10:11]
	v_mul_f64 v[22:23], v[16:17], 0
.LBB359_9:                              ;   Parent Loop BB359_7 Depth=1
                                        ; =>  This Loop Header: Depth=2
                                        ;       Child Loop BB359_10 Depth 3
                                        ;       Child Loop BB359_12 Depth 3
	v_lshlrev_b64 v[0:1], 3, v[14:15]
	v_mov_b32_e32 v3, s23
	v_add_co_u32_e32 v2, vcc, s22, v0
	v_addc_co_u32_e32 v3, vcc, v3, v1, vcc
	global_load_dwordx2 v[2:3], v[2:3], off
	v_mov_b32_e32 v24, s25
	v_add_co_u32_e32 v0, vcc, s24, v0
	v_addc_co_u32_e32 v1, vcc, v24, v1, vcc
	global_load_dwordx2 v[26:27], v[0:1], off
	v_mov_b32_e32 v25, s5
	s_mov_b64 s[28:29], 0
	s_waitcnt vmcnt(1)
	v_subrev_co_u32_e32 v0, vcc, s2, v2
	v_subb_co_u32_e32 v1, vcc, v3, v35, vcc
	v_lshlrev_b64 v[0:1], 4, v[0:1]
	v_add_co_u32_e32 v24, vcc, s4, v0
	v_addc_co_u32_e32 v25, vcc, v25, v1, vcc
	global_load_dwordx2 v[2:3], v[24:25], off
	s_waitcnt vmcnt(1)
	v_fma_f64 v[28:29], v[16:17], v[26:27], v[20:21]
.LBB359_10:                             ;   Parent Loop BB359_7 Depth=1
                                        ;     Parent Loop BB359_9 Depth=2
                                        ; =>    This Inner Loop Header: Depth=3
	s_waitcnt vmcnt(0)
	v_add_f64 v[0:1], v[2:3], v[28:29]
	global_atomic_cmpswap_x2 v[0:1], v[24:25], v[0:3], off glc
	s_waitcnt vmcnt(0)
	v_cmp_eq_u64_e32 vcc, v[0:1], v[2:3]
	s_or_b64 s[28:29], vcc, s[28:29]
	v_pk_mov_b32 v[2:3], v[0:1], v[0:1] op_sel:[0,1]
	s_andn2_b64 exec, exec, s[28:29]
	s_cbranch_execnz .LBB359_10
; %bb.11:                               ;   in Loop: Header=BB359_9 Depth=2
	s_or_b64 exec, exec, s[28:29]
	global_load_dwordx2 v[2:3], v[24:25], off offset:8
	v_fma_f64 v[26:27], v[18:19], v[26:27], v[22:23]
	s_mov_b64 s[28:29], 0
.LBB359_12:                             ;   Parent Loop BB359_7 Depth=1
                                        ;     Parent Loop BB359_9 Depth=2
                                        ; =>    This Inner Loop Header: Depth=3
	s_waitcnt vmcnt(0)
	v_add_f64 v[0:1], v[2:3], v[26:27]
	global_atomic_cmpswap_x2 v[0:1], v[24:25], v[0:3], off offset:8 glc
	s_waitcnt vmcnt(0)
	v_cmp_eq_u64_e32 vcc, v[0:1], v[2:3]
	s_or_b64 s[28:29], vcc, s[28:29]
	v_pk_mov_b32 v[2:3], v[0:1], v[0:1] op_sel:[0,1]
	s_andn2_b64 exec, exec, s[28:29]
	s_cbranch_execnz .LBB359_12
; %bb.13:                               ;   in Loop: Header=BB359_9 Depth=2
	s_or_b64 exec, exec, s[28:29]
	v_add_co_u32_e32 v14, vcc, 8, v14
	v_addc_co_u32_e32 v15, vcc, 0, v15, vcc
	v_cmp_ge_i64_e32 vcc, v[14:15], v[12:13]
	s_or_b64 s[16:17], vcc, s[16:17]
	s_andn2_b64 exec, exec, s[16:17]
	s_cbranch_execnz .LBB359_9
	s_branch .LBB359_6
.LBB359_14:
	s_or_b64 exec, exec, s[6:7]
	s_mov_b64 s[6:7], 0
.LBB359_15:
	s_andn2_b64 vcc, exec, s[6:7]
	s_cbranch_vccnz .LBB359_27
; %bb.16:
	s_and_b64 exec, exec, s[0:1]
	s_cbranch_execz .LBB359_27
; %bb.17:
	s_mov_b32 s6, 0
	v_subrev_co_u32_e32 v28, vcc, s2, v30
	v_subb_co_u32_e64 v29, s[0:1], 0, 0, vcc
	v_mov_b32_e32 v32, s6
	s_mov_b32 s6, 0
	s_mov_b64 s[0:1], 0
	v_mov_b32_e32 v30, s19
	v_mov_b32_e32 v31, s21
	s_brev_b32 s7, 1
	s_branch .LBB359_19
.LBB359_18:                             ;   in Loop: Header=BB359_19 Depth=1
	s_or_b64 exec, exec, s[8:9]
	v_add_co_u32_e32 v8, vcc, s3, v8
	v_addc_co_u32_e32 v9, vcc, 0, v9, vcc
	v_cmp_le_i64_e32 vcc, s[12:13], v[8:9]
	s_or_b64 s[0:1], vcc, s[0:1]
	s_andn2_b64 exec, exec, s[0:1]
	s_cbranch_execz .LBB359_27
.LBB359_19:                             ; =>This Loop Header: Depth=1
                                        ;     Child Loop BB359_22 Depth 2
                                        ;       Child Loop BB359_24 Depth 3
                                        ;       Child Loop BB359_26 Depth 3
	v_lshlrev_b64 v[0:1], 3, v[8:9]
	v_add_co_u32_e32 v2, vcc, s20, v0
	v_addc_co_u32_e32 v3, vcc, v31, v1, vcc
	global_load_dwordx2 v[2:3], v[2:3], off
	v_add_co_u32_e32 v0, vcc, s18, v0
	v_addc_co_u32_e32 v1, vcc, v30, v1, vcc
	global_load_dwordx2 v[0:1], v[0:1], off
	s_waitcnt vmcnt(1)
	v_subrev_co_u32_e32 v10, vcc, s2, v2
	v_subb_co_u32_e32 v11, vcc, v3, v32, vcc
	s_waitcnt vmcnt(0)
	v_add_co_u32_e32 v12, vcc, v0, v28
	v_addc_co_u32_e32 v13, vcc, v1, v29, vcc
	v_cmp_lt_i64_e32 vcc, v[12:13], v[10:11]
	s_and_saveexec_b64 s[8:9], vcc
	s_cbranch_execz .LBB359_18
; %bb.20:                               ;   in Loop: Header=BB359_19 Depth=1
	v_lshlrev_b64 v[0:1], 4, v[8:9]
	v_mov_b32_e32 v2, s27
	v_add_co_u32_e32 v0, vcc, s26, v0
	v_addc_co_u32_e32 v1, vcc, v2, v1, vcc
	global_load_dwordx4 v[0:3], v[0:1], off
	s_mov_b64 s[10:11], 0
	s_waitcnt vmcnt(0)
	v_mul_f64 v[14:15], v[2:3], -v[6:7]
	v_mul_f64 v[16:17], v[4:5], v[2:3]
	v_fmac_f64_e32 v[14:15], v[4:5], v[0:1]
	v_fmac_f64_e32 v[16:17], v[6:7], v[0:1]
	v_mul_f64 v[18:19], v[16:17], s[6:7]
	v_mul_f64 v[20:21], v[14:15], 0
	s_branch .LBB359_22
.LBB359_21:                             ;   in Loop: Header=BB359_22 Depth=2
	s_or_b64 exec, exec, s[14:15]
	v_add_co_u32_e32 v12, vcc, 8, v12
	v_addc_co_u32_e32 v13, vcc, 0, v13, vcc
	v_cmp_ge_i64_e32 vcc, v[12:13], v[10:11]
	s_or_b64 s[10:11], vcc, s[10:11]
	s_andn2_b64 exec, exec, s[10:11]
	s_cbranch_execz .LBB359_18
.LBB359_22:                             ;   Parent Loop BB359_19 Depth=1
                                        ; =>  This Loop Header: Depth=2
                                        ;       Child Loop BB359_24 Depth 3
                                        ;       Child Loop BB359_26 Depth 3
	v_lshlrev_b64 v[0:1], 3, v[12:13]
	v_mov_b32_e32 v3, s23
	v_add_co_u32_e32 v2, vcc, s22, v0
	v_addc_co_u32_e32 v3, vcc, v3, v1, vcc
	global_load_dwordx2 v[2:3], v[2:3], off
	s_waitcnt vmcnt(0)
	v_subrev_co_u32_e32 v2, vcc, s2, v2
	v_subb_co_u32_e32 v3, vcc, v3, v32, vcc
	v_cmp_ne_u64_e32 vcc, v[2:3], v[8:9]
	s_and_saveexec_b64 s[14:15], vcc
	s_cbranch_execz .LBB359_21
; %bb.23:                               ;   in Loop: Header=BB359_22 Depth=2
	v_mov_b32_e32 v22, s25
	v_add_co_u32_e32 v0, vcc, s24, v0
	v_addc_co_u32_e32 v1, vcc, v22, v1, vcc
	global_load_dwordx2 v[24:25], v[0:1], off
	v_lshlrev_b64 v[0:1], 4, v[2:3]
	v_mov_b32_e32 v2, s5
	v_add_co_u32_e32 v22, vcc, s4, v0
	v_addc_co_u32_e32 v23, vcc, v2, v1, vcc
	global_load_dwordx2 v[2:3], v[22:23], off
	s_mov_b64 s[16:17], 0
	s_waitcnt vmcnt(1)
	v_fma_f64 v[26:27], v[14:15], v[24:25], v[18:19]
.LBB359_24:                             ;   Parent Loop BB359_19 Depth=1
                                        ;     Parent Loop BB359_22 Depth=2
                                        ; =>    This Inner Loop Header: Depth=3
	s_waitcnt vmcnt(0)
	v_add_f64 v[0:1], v[2:3], v[26:27]
	global_atomic_cmpswap_x2 v[0:1], v[22:23], v[0:3], off glc
	s_waitcnt vmcnt(0)
	v_cmp_eq_u64_e32 vcc, v[0:1], v[2:3]
	s_or_b64 s[16:17], vcc, s[16:17]
	v_pk_mov_b32 v[2:3], v[0:1], v[0:1] op_sel:[0,1]
	s_andn2_b64 exec, exec, s[16:17]
	s_cbranch_execnz .LBB359_24
; %bb.25:                               ;   in Loop: Header=BB359_22 Depth=2
	s_or_b64 exec, exec, s[16:17]
	global_load_dwordx2 v[2:3], v[22:23], off offset:8
	v_fma_f64 v[24:25], v[16:17], v[24:25], v[20:21]
	s_mov_b64 s[16:17], 0
.LBB359_26:                             ;   Parent Loop BB359_19 Depth=1
                                        ;     Parent Loop BB359_22 Depth=2
                                        ; =>    This Inner Loop Header: Depth=3
	s_waitcnt vmcnt(0)
	v_add_f64 v[0:1], v[2:3], v[24:25]
	global_atomic_cmpswap_x2 v[0:1], v[22:23], v[0:3], off offset:8 glc
	s_waitcnt vmcnt(0)
	v_cmp_eq_u64_e32 vcc, v[0:1], v[2:3]
	s_or_b64 s[16:17], vcc, s[16:17]
	v_pk_mov_b32 v[2:3], v[0:1], v[0:1] op_sel:[0,1]
	s_andn2_b64 exec, exec, s[16:17]
	s_cbranch_execnz .LBB359_26
	s_branch .LBB359_21
.LBB359_27:
	s_endpgm
	.section	.rodata,"a",@progbits
	.p2align	6, 0x0
	.amdhsa_kernel _ZN9rocsparseL21csrmvt_general_kernelILj256ELj8Elld21rocsparse_complex_numIdES2_S2_EEvbbT2_NS_24const_host_device_scalarIT6_EEPKT1_S9_PKS3_PKT3_PKT4_PT5_21rocsparse_index_base_b
		.amdhsa_group_segment_fixed_size 2048
		.amdhsa_private_segment_fixed_size 0
		.amdhsa_kernarg_size 344
		.amdhsa_user_sgpr_count 8
		.amdhsa_user_sgpr_private_segment_buffer 1
		.amdhsa_user_sgpr_dispatch_ptr 1
		.amdhsa_user_sgpr_queue_ptr 0
		.amdhsa_user_sgpr_kernarg_segment_ptr 1
		.amdhsa_user_sgpr_dispatch_id 0
		.amdhsa_user_sgpr_flat_scratch_init 0
		.amdhsa_user_sgpr_kernarg_preload_length 0
		.amdhsa_user_sgpr_kernarg_preload_offset 0
		.amdhsa_user_sgpr_private_segment_size 0
		.amdhsa_uses_dynamic_stack 0
		.amdhsa_system_sgpr_private_segment_wavefront_offset 0
		.amdhsa_system_sgpr_workgroup_id_x 1
		.amdhsa_system_sgpr_workgroup_id_y 0
		.amdhsa_system_sgpr_workgroup_id_z 0
		.amdhsa_system_sgpr_workgroup_info 0
		.amdhsa_system_vgpr_workitem_id 2
		.amdhsa_next_free_vgpr 36
		.amdhsa_next_free_sgpr 30
		.amdhsa_accum_offset 36
		.amdhsa_reserve_vcc 1
		.amdhsa_reserve_flat_scratch 0
		.amdhsa_float_round_mode_32 0
		.amdhsa_float_round_mode_16_64 0
		.amdhsa_float_denorm_mode_32 3
		.amdhsa_float_denorm_mode_16_64 3
		.amdhsa_dx10_clamp 1
		.amdhsa_ieee_mode 1
		.amdhsa_fp16_overflow 0
		.amdhsa_tg_split 0
		.amdhsa_exception_fp_ieee_invalid_op 0
		.amdhsa_exception_fp_denorm_src 0
		.amdhsa_exception_fp_ieee_div_zero 0
		.amdhsa_exception_fp_ieee_overflow 0
		.amdhsa_exception_fp_ieee_underflow 0
		.amdhsa_exception_fp_ieee_inexact 0
		.amdhsa_exception_int_div_zero 0
	.end_amdhsa_kernel
	.section	.text._ZN9rocsparseL21csrmvt_general_kernelILj256ELj8Elld21rocsparse_complex_numIdES2_S2_EEvbbT2_NS_24const_host_device_scalarIT6_EEPKT1_S9_PKS3_PKT3_PKT4_PT5_21rocsparse_index_base_b,"axG",@progbits,_ZN9rocsparseL21csrmvt_general_kernelILj256ELj8Elld21rocsparse_complex_numIdES2_S2_EEvbbT2_NS_24const_host_device_scalarIT6_EEPKT1_S9_PKS3_PKT3_PKT4_PT5_21rocsparse_index_base_b,comdat
.Lfunc_end359:
	.size	_ZN9rocsparseL21csrmvt_general_kernelILj256ELj8Elld21rocsparse_complex_numIdES2_S2_EEvbbT2_NS_24const_host_device_scalarIT6_EEPKT1_S9_PKS3_PKT3_PKT4_PT5_21rocsparse_index_base_b, .Lfunc_end359-_ZN9rocsparseL21csrmvt_general_kernelILj256ELj8Elld21rocsparse_complex_numIdES2_S2_EEvbbT2_NS_24const_host_device_scalarIT6_EEPKT1_S9_PKS3_PKT3_PKT4_PT5_21rocsparse_index_base_b
                                        ; -- End function
	.section	.AMDGPU.csdata,"",@progbits
; Kernel info:
; codeLenInByte = 1300
; NumSgprs: 34
; NumVgprs: 36
; NumAgprs: 0
; TotalNumVgprs: 36
; ScratchSize: 0
; MemoryBound: 0
; FloatMode: 240
; IeeeMode: 1
; LDSByteSize: 2048 bytes/workgroup (compile time only)
; SGPRBlocks: 4
; VGPRBlocks: 4
; NumSGPRsForWavesPerEU: 34
; NumVGPRsForWavesPerEU: 36
; AccumOffset: 36
; Occupancy: 8
; WaveLimiterHint : 1
; COMPUTE_PGM_RSRC2:SCRATCH_EN: 0
; COMPUTE_PGM_RSRC2:USER_SGPR: 8
; COMPUTE_PGM_RSRC2:TRAP_HANDLER: 0
; COMPUTE_PGM_RSRC2:TGID_X_EN: 1
; COMPUTE_PGM_RSRC2:TGID_Y_EN: 0
; COMPUTE_PGM_RSRC2:TGID_Z_EN: 0
; COMPUTE_PGM_RSRC2:TIDIG_COMP_CNT: 2
; COMPUTE_PGM_RSRC3_GFX90A:ACCUM_OFFSET: 8
; COMPUTE_PGM_RSRC3_GFX90A:TG_SPLIT: 0
	.section	.text._ZN9rocsparseL21csrmvt_general_kernelILj256ELj16Elld21rocsparse_complex_numIdES2_S2_EEvbbT2_NS_24const_host_device_scalarIT6_EEPKT1_S9_PKS3_PKT3_PKT4_PT5_21rocsparse_index_base_b,"axG",@progbits,_ZN9rocsparseL21csrmvt_general_kernelILj256ELj16Elld21rocsparse_complex_numIdES2_S2_EEvbbT2_NS_24const_host_device_scalarIT6_EEPKT1_S9_PKS3_PKT3_PKT4_PT5_21rocsparse_index_base_b,comdat
	.globl	_ZN9rocsparseL21csrmvt_general_kernelILj256ELj16Elld21rocsparse_complex_numIdES2_S2_EEvbbT2_NS_24const_host_device_scalarIT6_EEPKT1_S9_PKS3_PKT3_PKT4_PT5_21rocsparse_index_base_b ; -- Begin function _ZN9rocsparseL21csrmvt_general_kernelILj256ELj16Elld21rocsparse_complex_numIdES2_S2_EEvbbT2_NS_24const_host_device_scalarIT6_EEPKT1_S9_PKS3_PKT3_PKT4_PT5_21rocsparse_index_base_b
	.p2align	8
	.type	_ZN9rocsparseL21csrmvt_general_kernelILj256ELj16Elld21rocsparse_complex_numIdES2_S2_EEvbbT2_NS_24const_host_device_scalarIT6_EEPKT1_S9_PKS3_PKT3_PKT4_PT5_21rocsparse_index_base_b,@function
_ZN9rocsparseL21csrmvt_general_kernelILj256ELj16Elld21rocsparse_complex_numIdES2_S2_EEvbbT2_NS_24const_host_device_scalarIT6_EEPKT1_S9_PKS3_PKT3_PKT4_PT5_21rocsparse_index_base_b: ; @_ZN9rocsparseL21csrmvt_general_kernelILj256ELj16Elld21rocsparse_complex_numIdES2_S2_EEvbbT2_NS_24const_host_device_scalarIT6_EEPKT1_S9_PKS3_PKT3_PKT4_PT5_21rocsparse_index_base_b
; %bb.0:
	s_load_dwordx2 s[2:3], s[6:7], 0x50
	s_load_dwordx2 s[0:1], s[4:5], 0x4
	s_load_dwordx8 s[12:19], s[6:7], 0x8
	v_and_b32_e32 v1, 0x3ff, v0
	v_bfe_u32 v3, v0, 10, 10
	s_waitcnt lgkmcnt(0)
	s_and_b32 s3, 1, s3
	s_lshr_b32 s0, s0, 16
	s_mul_i32 s0, s0, s1
	v_mul_lo_u32 v2, s0, v1
	s_cmp_eq_u32 s3, 1
	v_mad_u32_u24 v2, v3, s1, v2
	v_bfe_u32 v0, v0, 20, 10
	v_add_lshl_u32 v0, v2, v0, 3
	v_pk_mov_b32 v[2:3], s[14:15], s[14:15] op_sel:[0,1]
	s_cselect_b64 vcc, -1, 0
	ds_write_b64 v0, v[2:3]
	s_mov_b64 s[0:1], src_shared_base
	v_cndmask_b32_e32 v2, v2, v0, vcc
	s_and_b64 vcc, vcc, exec
	s_cselect_b32 s0, s1, s15
	v_mov_b32_e32 v3, s0
	flat_load_dwordx2 v[4:5], v[2:3]
	v_pk_mov_b32 v[6:7], s[16:17], s[16:17] op_sel:[0,1]
	s_cbranch_vccnz .LBB360_2
; %bb.1:
	v_pk_mov_b32 v[2:3], s[14:15], s[14:15] op_sel:[0,1]
	flat_load_dwordx2 v[6:7], v[2:3] offset:8
.LBB360_2:
	s_waitcnt vmcnt(0) lgkmcnt(0)
	v_cmp_neq_f64_e32 vcc, 0, v[4:5]
	v_cmp_neq_f64_e64 s[0:1], 0, v[6:7]
	s_or_b64 s[0:1], vcc, s[0:1]
	s_and_saveexec_b64 s[4:5], s[0:1]
	s_cbranch_execz .LBB360_27
; %bb.3:
	s_load_dword s0, s[6:7], 0x0
	s_load_dword s1, s[6:7], 0x58
	s_load_dwordx2 s[4:5], s[6:7], 0x48
	s_load_dwordx8 s[20:27], s[6:7], 0x28
	v_lshl_or_b32 v0, s8, 8, v1
	s_waitcnt lgkmcnt(0)
	s_and_b32 s0, s0, 1
	s_lshl_b32 s3, s1, 4
	v_lshrrev_b32_e32 v8, 4, v0
	v_mov_b32_e32 v9, 0
	s_cmp_eq_u32 s0, 0
	v_and_b32_e32 v30, 15, v1
	v_cmp_gt_i64_e64 s[0:1], s[12:13], v[8:9]
	s_mov_b64 s[6:7], -1
	s_cbranch_scc0 .LBB360_15
; %bb.4:
	s_and_saveexec_b64 s[6:7], s[0:1]
	s_cbranch_execz .LBB360_14
; %bb.5:
	s_mov_b32 s10, 0
	v_subrev_co_u32_e32 v31, vcc, s2, v30
	v_subb_co_u32_e64 v32, s[8:9], 0, 0, vcc
	v_mov_b32_e32 v35, s10
	s_mov_b32 s10, 0
	s_mov_b64 s[8:9], 0
	v_mov_b32_e32 v33, s19
	v_mov_b32_e32 v34, s21
	s_brev_b32 s11, 1
	v_pk_mov_b32 v[10:11], v[8:9], v[8:9] op_sel:[0,1]
	s_branch .LBB360_7
.LBB360_6:                              ;   in Loop: Header=BB360_7 Depth=1
	s_or_b64 exec, exec, s[14:15]
	v_add_co_u32_e32 v10, vcc, s3, v10
	v_addc_co_u32_e32 v11, vcc, 0, v11, vcc
	v_cmp_le_i64_e32 vcc, s[12:13], v[10:11]
	s_or_b64 s[8:9], vcc, s[8:9]
	s_andn2_b64 exec, exec, s[8:9]
	s_cbranch_execz .LBB360_14
.LBB360_7:                              ; =>This Loop Header: Depth=1
                                        ;     Child Loop BB360_9 Depth 2
                                        ;       Child Loop BB360_10 Depth 3
                                        ;       Child Loop BB360_12 Depth 3
	v_lshlrev_b64 v[0:1], 3, v[10:11]
	v_add_co_u32_e32 v2, vcc, s20, v0
	v_addc_co_u32_e32 v3, vcc, v34, v1, vcc
	global_load_dwordx2 v[2:3], v[2:3], off
	v_add_co_u32_e32 v0, vcc, s18, v0
	v_addc_co_u32_e32 v1, vcc, v33, v1, vcc
	global_load_dwordx2 v[0:1], v[0:1], off
	s_waitcnt vmcnt(1)
	v_subrev_co_u32_e32 v12, vcc, s2, v2
	v_subb_co_u32_e32 v13, vcc, v3, v35, vcc
	s_waitcnt vmcnt(0)
	v_add_co_u32_e32 v14, vcc, v0, v31
	v_addc_co_u32_e32 v15, vcc, v1, v32, vcc
	v_cmp_lt_i64_e32 vcc, v[14:15], v[12:13]
	s_and_saveexec_b64 s[14:15], vcc
	s_cbranch_execz .LBB360_6
; %bb.8:                                ;   in Loop: Header=BB360_7 Depth=1
	v_lshlrev_b64 v[0:1], 4, v[10:11]
	v_mov_b32_e32 v2, s27
	v_add_co_u32_e32 v0, vcc, s26, v0
	v_addc_co_u32_e32 v1, vcc, v2, v1, vcc
	global_load_dwordx4 v[0:3], v[0:1], off
	s_mov_b64 s[16:17], 0
	s_waitcnt vmcnt(0)
	v_mul_f64 v[16:17], v[2:3], -v[6:7]
	v_mul_f64 v[18:19], v[4:5], v[2:3]
	v_fmac_f64_e32 v[16:17], v[4:5], v[0:1]
	v_fmac_f64_e32 v[18:19], v[6:7], v[0:1]
	v_mul_f64 v[20:21], v[18:19], s[10:11]
	v_mul_f64 v[22:23], v[16:17], 0
.LBB360_9:                              ;   Parent Loop BB360_7 Depth=1
                                        ; =>  This Loop Header: Depth=2
                                        ;       Child Loop BB360_10 Depth 3
                                        ;       Child Loop BB360_12 Depth 3
	v_lshlrev_b64 v[0:1], 3, v[14:15]
	v_mov_b32_e32 v3, s23
	v_add_co_u32_e32 v2, vcc, s22, v0
	v_addc_co_u32_e32 v3, vcc, v3, v1, vcc
	global_load_dwordx2 v[2:3], v[2:3], off
	v_mov_b32_e32 v24, s25
	v_add_co_u32_e32 v0, vcc, s24, v0
	v_addc_co_u32_e32 v1, vcc, v24, v1, vcc
	global_load_dwordx2 v[26:27], v[0:1], off
	v_mov_b32_e32 v25, s5
	s_mov_b64 s[28:29], 0
	s_waitcnt vmcnt(1)
	v_subrev_co_u32_e32 v0, vcc, s2, v2
	v_subb_co_u32_e32 v1, vcc, v3, v35, vcc
	v_lshlrev_b64 v[0:1], 4, v[0:1]
	v_add_co_u32_e32 v24, vcc, s4, v0
	v_addc_co_u32_e32 v25, vcc, v25, v1, vcc
	global_load_dwordx2 v[2:3], v[24:25], off
	s_waitcnt vmcnt(1)
	v_fma_f64 v[28:29], v[16:17], v[26:27], v[20:21]
.LBB360_10:                             ;   Parent Loop BB360_7 Depth=1
                                        ;     Parent Loop BB360_9 Depth=2
                                        ; =>    This Inner Loop Header: Depth=3
	s_waitcnt vmcnt(0)
	v_add_f64 v[0:1], v[2:3], v[28:29]
	global_atomic_cmpswap_x2 v[0:1], v[24:25], v[0:3], off glc
	s_waitcnt vmcnt(0)
	v_cmp_eq_u64_e32 vcc, v[0:1], v[2:3]
	s_or_b64 s[28:29], vcc, s[28:29]
	v_pk_mov_b32 v[2:3], v[0:1], v[0:1] op_sel:[0,1]
	s_andn2_b64 exec, exec, s[28:29]
	s_cbranch_execnz .LBB360_10
; %bb.11:                               ;   in Loop: Header=BB360_9 Depth=2
	s_or_b64 exec, exec, s[28:29]
	global_load_dwordx2 v[2:3], v[24:25], off offset:8
	v_fma_f64 v[26:27], v[18:19], v[26:27], v[22:23]
	s_mov_b64 s[28:29], 0
.LBB360_12:                             ;   Parent Loop BB360_7 Depth=1
                                        ;     Parent Loop BB360_9 Depth=2
                                        ; =>    This Inner Loop Header: Depth=3
	s_waitcnt vmcnt(0)
	v_add_f64 v[0:1], v[2:3], v[26:27]
	global_atomic_cmpswap_x2 v[0:1], v[24:25], v[0:3], off offset:8 glc
	s_waitcnt vmcnt(0)
	v_cmp_eq_u64_e32 vcc, v[0:1], v[2:3]
	s_or_b64 s[28:29], vcc, s[28:29]
	v_pk_mov_b32 v[2:3], v[0:1], v[0:1] op_sel:[0,1]
	s_andn2_b64 exec, exec, s[28:29]
	s_cbranch_execnz .LBB360_12
; %bb.13:                               ;   in Loop: Header=BB360_9 Depth=2
	s_or_b64 exec, exec, s[28:29]
	v_add_co_u32_e32 v14, vcc, 16, v14
	v_addc_co_u32_e32 v15, vcc, 0, v15, vcc
	v_cmp_ge_i64_e32 vcc, v[14:15], v[12:13]
	s_or_b64 s[16:17], vcc, s[16:17]
	s_andn2_b64 exec, exec, s[16:17]
	s_cbranch_execnz .LBB360_9
	s_branch .LBB360_6
.LBB360_14:
	s_or_b64 exec, exec, s[6:7]
	s_mov_b64 s[6:7], 0
.LBB360_15:
	s_andn2_b64 vcc, exec, s[6:7]
	s_cbranch_vccnz .LBB360_27
; %bb.16:
	s_and_b64 exec, exec, s[0:1]
	s_cbranch_execz .LBB360_27
; %bb.17:
	s_mov_b32 s6, 0
	v_subrev_co_u32_e32 v28, vcc, s2, v30
	v_subb_co_u32_e64 v29, s[0:1], 0, 0, vcc
	v_mov_b32_e32 v32, s6
	s_mov_b32 s6, 0
	s_mov_b64 s[0:1], 0
	v_mov_b32_e32 v30, s19
	v_mov_b32_e32 v31, s21
	s_brev_b32 s7, 1
	s_branch .LBB360_19
.LBB360_18:                             ;   in Loop: Header=BB360_19 Depth=1
	s_or_b64 exec, exec, s[8:9]
	v_add_co_u32_e32 v8, vcc, s3, v8
	v_addc_co_u32_e32 v9, vcc, 0, v9, vcc
	v_cmp_le_i64_e32 vcc, s[12:13], v[8:9]
	s_or_b64 s[0:1], vcc, s[0:1]
	s_andn2_b64 exec, exec, s[0:1]
	s_cbranch_execz .LBB360_27
.LBB360_19:                             ; =>This Loop Header: Depth=1
                                        ;     Child Loop BB360_22 Depth 2
                                        ;       Child Loop BB360_24 Depth 3
                                        ;       Child Loop BB360_26 Depth 3
	v_lshlrev_b64 v[0:1], 3, v[8:9]
	v_add_co_u32_e32 v2, vcc, s20, v0
	v_addc_co_u32_e32 v3, vcc, v31, v1, vcc
	global_load_dwordx2 v[2:3], v[2:3], off
	v_add_co_u32_e32 v0, vcc, s18, v0
	v_addc_co_u32_e32 v1, vcc, v30, v1, vcc
	global_load_dwordx2 v[0:1], v[0:1], off
	s_waitcnt vmcnt(1)
	v_subrev_co_u32_e32 v10, vcc, s2, v2
	v_subb_co_u32_e32 v11, vcc, v3, v32, vcc
	s_waitcnt vmcnt(0)
	v_add_co_u32_e32 v12, vcc, v0, v28
	v_addc_co_u32_e32 v13, vcc, v1, v29, vcc
	v_cmp_lt_i64_e32 vcc, v[12:13], v[10:11]
	s_and_saveexec_b64 s[8:9], vcc
	s_cbranch_execz .LBB360_18
; %bb.20:                               ;   in Loop: Header=BB360_19 Depth=1
	v_lshlrev_b64 v[0:1], 4, v[8:9]
	v_mov_b32_e32 v2, s27
	v_add_co_u32_e32 v0, vcc, s26, v0
	v_addc_co_u32_e32 v1, vcc, v2, v1, vcc
	global_load_dwordx4 v[0:3], v[0:1], off
	s_mov_b64 s[10:11], 0
	s_waitcnt vmcnt(0)
	v_mul_f64 v[14:15], v[2:3], -v[6:7]
	v_mul_f64 v[16:17], v[4:5], v[2:3]
	v_fmac_f64_e32 v[14:15], v[4:5], v[0:1]
	v_fmac_f64_e32 v[16:17], v[6:7], v[0:1]
	v_mul_f64 v[18:19], v[16:17], s[6:7]
	v_mul_f64 v[20:21], v[14:15], 0
	s_branch .LBB360_22
.LBB360_21:                             ;   in Loop: Header=BB360_22 Depth=2
	s_or_b64 exec, exec, s[14:15]
	v_add_co_u32_e32 v12, vcc, 16, v12
	v_addc_co_u32_e32 v13, vcc, 0, v13, vcc
	v_cmp_ge_i64_e32 vcc, v[12:13], v[10:11]
	s_or_b64 s[10:11], vcc, s[10:11]
	s_andn2_b64 exec, exec, s[10:11]
	s_cbranch_execz .LBB360_18
.LBB360_22:                             ;   Parent Loop BB360_19 Depth=1
                                        ; =>  This Loop Header: Depth=2
                                        ;       Child Loop BB360_24 Depth 3
                                        ;       Child Loop BB360_26 Depth 3
	v_lshlrev_b64 v[0:1], 3, v[12:13]
	v_mov_b32_e32 v3, s23
	v_add_co_u32_e32 v2, vcc, s22, v0
	v_addc_co_u32_e32 v3, vcc, v3, v1, vcc
	global_load_dwordx2 v[2:3], v[2:3], off
	s_waitcnt vmcnt(0)
	v_subrev_co_u32_e32 v2, vcc, s2, v2
	v_subb_co_u32_e32 v3, vcc, v3, v32, vcc
	v_cmp_ne_u64_e32 vcc, v[2:3], v[8:9]
	s_and_saveexec_b64 s[14:15], vcc
	s_cbranch_execz .LBB360_21
; %bb.23:                               ;   in Loop: Header=BB360_22 Depth=2
	v_mov_b32_e32 v22, s25
	v_add_co_u32_e32 v0, vcc, s24, v0
	v_addc_co_u32_e32 v1, vcc, v22, v1, vcc
	global_load_dwordx2 v[24:25], v[0:1], off
	v_lshlrev_b64 v[0:1], 4, v[2:3]
	v_mov_b32_e32 v2, s5
	v_add_co_u32_e32 v22, vcc, s4, v0
	v_addc_co_u32_e32 v23, vcc, v2, v1, vcc
	global_load_dwordx2 v[2:3], v[22:23], off
	s_mov_b64 s[16:17], 0
	s_waitcnt vmcnt(1)
	v_fma_f64 v[26:27], v[14:15], v[24:25], v[18:19]
.LBB360_24:                             ;   Parent Loop BB360_19 Depth=1
                                        ;     Parent Loop BB360_22 Depth=2
                                        ; =>    This Inner Loop Header: Depth=3
	s_waitcnt vmcnt(0)
	v_add_f64 v[0:1], v[2:3], v[26:27]
	global_atomic_cmpswap_x2 v[0:1], v[22:23], v[0:3], off glc
	s_waitcnt vmcnt(0)
	v_cmp_eq_u64_e32 vcc, v[0:1], v[2:3]
	s_or_b64 s[16:17], vcc, s[16:17]
	v_pk_mov_b32 v[2:3], v[0:1], v[0:1] op_sel:[0,1]
	s_andn2_b64 exec, exec, s[16:17]
	s_cbranch_execnz .LBB360_24
; %bb.25:                               ;   in Loop: Header=BB360_22 Depth=2
	s_or_b64 exec, exec, s[16:17]
	global_load_dwordx2 v[2:3], v[22:23], off offset:8
	v_fma_f64 v[24:25], v[16:17], v[24:25], v[20:21]
	s_mov_b64 s[16:17], 0
.LBB360_26:                             ;   Parent Loop BB360_19 Depth=1
                                        ;     Parent Loop BB360_22 Depth=2
                                        ; =>    This Inner Loop Header: Depth=3
	s_waitcnt vmcnt(0)
	v_add_f64 v[0:1], v[2:3], v[24:25]
	global_atomic_cmpswap_x2 v[0:1], v[22:23], v[0:3], off offset:8 glc
	s_waitcnt vmcnt(0)
	v_cmp_eq_u64_e32 vcc, v[0:1], v[2:3]
	s_or_b64 s[16:17], vcc, s[16:17]
	v_pk_mov_b32 v[2:3], v[0:1], v[0:1] op_sel:[0,1]
	s_andn2_b64 exec, exec, s[16:17]
	s_cbranch_execnz .LBB360_26
	s_branch .LBB360_21
.LBB360_27:
	s_endpgm
	.section	.rodata,"a",@progbits
	.p2align	6, 0x0
	.amdhsa_kernel _ZN9rocsparseL21csrmvt_general_kernelILj256ELj16Elld21rocsparse_complex_numIdES2_S2_EEvbbT2_NS_24const_host_device_scalarIT6_EEPKT1_S9_PKS3_PKT3_PKT4_PT5_21rocsparse_index_base_b
		.amdhsa_group_segment_fixed_size 2048
		.amdhsa_private_segment_fixed_size 0
		.amdhsa_kernarg_size 344
		.amdhsa_user_sgpr_count 8
		.amdhsa_user_sgpr_private_segment_buffer 1
		.amdhsa_user_sgpr_dispatch_ptr 1
		.amdhsa_user_sgpr_queue_ptr 0
		.amdhsa_user_sgpr_kernarg_segment_ptr 1
		.amdhsa_user_sgpr_dispatch_id 0
		.amdhsa_user_sgpr_flat_scratch_init 0
		.amdhsa_user_sgpr_kernarg_preload_length 0
		.amdhsa_user_sgpr_kernarg_preload_offset 0
		.amdhsa_user_sgpr_private_segment_size 0
		.amdhsa_uses_dynamic_stack 0
		.amdhsa_system_sgpr_private_segment_wavefront_offset 0
		.amdhsa_system_sgpr_workgroup_id_x 1
		.amdhsa_system_sgpr_workgroup_id_y 0
		.amdhsa_system_sgpr_workgroup_id_z 0
		.amdhsa_system_sgpr_workgroup_info 0
		.amdhsa_system_vgpr_workitem_id 2
		.amdhsa_next_free_vgpr 36
		.amdhsa_next_free_sgpr 30
		.amdhsa_accum_offset 36
		.amdhsa_reserve_vcc 1
		.amdhsa_reserve_flat_scratch 0
		.amdhsa_float_round_mode_32 0
		.amdhsa_float_round_mode_16_64 0
		.amdhsa_float_denorm_mode_32 3
		.amdhsa_float_denorm_mode_16_64 3
		.amdhsa_dx10_clamp 1
		.amdhsa_ieee_mode 1
		.amdhsa_fp16_overflow 0
		.amdhsa_tg_split 0
		.amdhsa_exception_fp_ieee_invalid_op 0
		.amdhsa_exception_fp_denorm_src 0
		.amdhsa_exception_fp_ieee_div_zero 0
		.amdhsa_exception_fp_ieee_overflow 0
		.amdhsa_exception_fp_ieee_underflow 0
		.amdhsa_exception_fp_ieee_inexact 0
		.amdhsa_exception_int_div_zero 0
	.end_amdhsa_kernel
	.section	.text._ZN9rocsparseL21csrmvt_general_kernelILj256ELj16Elld21rocsparse_complex_numIdES2_S2_EEvbbT2_NS_24const_host_device_scalarIT6_EEPKT1_S9_PKS3_PKT3_PKT4_PT5_21rocsparse_index_base_b,"axG",@progbits,_ZN9rocsparseL21csrmvt_general_kernelILj256ELj16Elld21rocsparse_complex_numIdES2_S2_EEvbbT2_NS_24const_host_device_scalarIT6_EEPKT1_S9_PKS3_PKT3_PKT4_PT5_21rocsparse_index_base_b,comdat
.Lfunc_end360:
	.size	_ZN9rocsparseL21csrmvt_general_kernelILj256ELj16Elld21rocsparse_complex_numIdES2_S2_EEvbbT2_NS_24const_host_device_scalarIT6_EEPKT1_S9_PKS3_PKT3_PKT4_PT5_21rocsparse_index_base_b, .Lfunc_end360-_ZN9rocsparseL21csrmvt_general_kernelILj256ELj16Elld21rocsparse_complex_numIdES2_S2_EEvbbT2_NS_24const_host_device_scalarIT6_EEPKT1_S9_PKS3_PKT3_PKT4_PT5_21rocsparse_index_base_b
                                        ; -- End function
	.section	.AMDGPU.csdata,"",@progbits
; Kernel info:
; codeLenInByte = 1300
; NumSgprs: 34
; NumVgprs: 36
; NumAgprs: 0
; TotalNumVgprs: 36
; ScratchSize: 0
; MemoryBound: 0
; FloatMode: 240
; IeeeMode: 1
; LDSByteSize: 2048 bytes/workgroup (compile time only)
; SGPRBlocks: 4
; VGPRBlocks: 4
; NumSGPRsForWavesPerEU: 34
; NumVGPRsForWavesPerEU: 36
; AccumOffset: 36
; Occupancy: 8
; WaveLimiterHint : 1
; COMPUTE_PGM_RSRC2:SCRATCH_EN: 0
; COMPUTE_PGM_RSRC2:USER_SGPR: 8
; COMPUTE_PGM_RSRC2:TRAP_HANDLER: 0
; COMPUTE_PGM_RSRC2:TGID_X_EN: 1
; COMPUTE_PGM_RSRC2:TGID_Y_EN: 0
; COMPUTE_PGM_RSRC2:TGID_Z_EN: 0
; COMPUTE_PGM_RSRC2:TIDIG_COMP_CNT: 2
; COMPUTE_PGM_RSRC3_GFX90A:ACCUM_OFFSET: 8
; COMPUTE_PGM_RSRC3_GFX90A:TG_SPLIT: 0
	.section	.text._ZN9rocsparseL21csrmvt_general_kernelILj256ELj32Elld21rocsparse_complex_numIdES2_S2_EEvbbT2_NS_24const_host_device_scalarIT6_EEPKT1_S9_PKS3_PKT3_PKT4_PT5_21rocsparse_index_base_b,"axG",@progbits,_ZN9rocsparseL21csrmvt_general_kernelILj256ELj32Elld21rocsparse_complex_numIdES2_S2_EEvbbT2_NS_24const_host_device_scalarIT6_EEPKT1_S9_PKS3_PKT3_PKT4_PT5_21rocsparse_index_base_b,comdat
	.globl	_ZN9rocsparseL21csrmvt_general_kernelILj256ELj32Elld21rocsparse_complex_numIdES2_S2_EEvbbT2_NS_24const_host_device_scalarIT6_EEPKT1_S9_PKS3_PKT3_PKT4_PT5_21rocsparse_index_base_b ; -- Begin function _ZN9rocsparseL21csrmvt_general_kernelILj256ELj32Elld21rocsparse_complex_numIdES2_S2_EEvbbT2_NS_24const_host_device_scalarIT6_EEPKT1_S9_PKS3_PKT3_PKT4_PT5_21rocsparse_index_base_b
	.p2align	8
	.type	_ZN9rocsparseL21csrmvt_general_kernelILj256ELj32Elld21rocsparse_complex_numIdES2_S2_EEvbbT2_NS_24const_host_device_scalarIT6_EEPKT1_S9_PKS3_PKT3_PKT4_PT5_21rocsparse_index_base_b,@function
_ZN9rocsparseL21csrmvt_general_kernelILj256ELj32Elld21rocsparse_complex_numIdES2_S2_EEvbbT2_NS_24const_host_device_scalarIT6_EEPKT1_S9_PKS3_PKT3_PKT4_PT5_21rocsparse_index_base_b: ; @_ZN9rocsparseL21csrmvt_general_kernelILj256ELj32Elld21rocsparse_complex_numIdES2_S2_EEvbbT2_NS_24const_host_device_scalarIT6_EEPKT1_S9_PKS3_PKT3_PKT4_PT5_21rocsparse_index_base_b
; %bb.0:
	s_load_dwordx2 s[2:3], s[6:7], 0x50
	s_load_dwordx2 s[0:1], s[4:5], 0x4
	s_load_dwordx8 s[12:19], s[6:7], 0x8
	v_and_b32_e32 v1, 0x3ff, v0
	v_bfe_u32 v3, v0, 10, 10
	s_waitcnt lgkmcnt(0)
	s_and_b32 s3, 1, s3
	s_lshr_b32 s0, s0, 16
	s_mul_i32 s0, s0, s1
	v_mul_lo_u32 v2, s0, v1
	s_cmp_eq_u32 s3, 1
	v_mad_u32_u24 v2, v3, s1, v2
	v_bfe_u32 v0, v0, 20, 10
	v_add_lshl_u32 v0, v2, v0, 3
	v_pk_mov_b32 v[2:3], s[14:15], s[14:15] op_sel:[0,1]
	s_cselect_b64 vcc, -1, 0
	ds_write_b64 v0, v[2:3]
	s_mov_b64 s[0:1], src_shared_base
	v_cndmask_b32_e32 v2, v2, v0, vcc
	s_and_b64 vcc, vcc, exec
	s_cselect_b32 s0, s1, s15
	v_mov_b32_e32 v3, s0
	flat_load_dwordx2 v[4:5], v[2:3]
	v_pk_mov_b32 v[6:7], s[16:17], s[16:17] op_sel:[0,1]
	s_cbranch_vccnz .LBB361_2
; %bb.1:
	v_pk_mov_b32 v[2:3], s[14:15], s[14:15] op_sel:[0,1]
	flat_load_dwordx2 v[6:7], v[2:3] offset:8
.LBB361_2:
	s_waitcnt vmcnt(0) lgkmcnt(0)
	v_cmp_neq_f64_e32 vcc, 0, v[4:5]
	v_cmp_neq_f64_e64 s[0:1], 0, v[6:7]
	s_or_b64 s[0:1], vcc, s[0:1]
	s_and_saveexec_b64 s[4:5], s[0:1]
	s_cbranch_execz .LBB361_27
; %bb.3:
	s_load_dword s0, s[6:7], 0x0
	s_load_dword s1, s[6:7], 0x58
	s_load_dwordx2 s[4:5], s[6:7], 0x48
	s_load_dwordx8 s[20:27], s[6:7], 0x28
	v_lshl_or_b32 v0, s8, 8, v1
	s_waitcnt lgkmcnt(0)
	s_and_b32 s0, s0, 1
	s_lshl_b32 s3, s1, 3
	v_lshrrev_b32_e32 v8, 5, v0
	v_mov_b32_e32 v9, 0
	s_cmp_eq_u32 s0, 0
	v_and_b32_e32 v30, 31, v1
	v_cmp_gt_i64_e64 s[0:1], s[12:13], v[8:9]
	s_mov_b64 s[6:7], -1
	s_cbranch_scc0 .LBB361_15
; %bb.4:
	s_and_saveexec_b64 s[6:7], s[0:1]
	s_cbranch_execz .LBB361_14
; %bb.5:
	s_mov_b32 s10, 0
	v_subrev_co_u32_e32 v31, vcc, s2, v30
	v_subb_co_u32_e64 v32, s[8:9], 0, 0, vcc
	v_mov_b32_e32 v35, s10
	s_mov_b32 s10, 0
	s_mov_b64 s[8:9], 0
	v_mov_b32_e32 v33, s19
	v_mov_b32_e32 v34, s21
	s_brev_b32 s11, 1
	v_pk_mov_b32 v[10:11], v[8:9], v[8:9] op_sel:[0,1]
	s_branch .LBB361_7
.LBB361_6:                              ;   in Loop: Header=BB361_7 Depth=1
	s_or_b64 exec, exec, s[14:15]
	v_add_co_u32_e32 v10, vcc, s3, v10
	v_addc_co_u32_e32 v11, vcc, 0, v11, vcc
	v_cmp_le_i64_e32 vcc, s[12:13], v[10:11]
	s_or_b64 s[8:9], vcc, s[8:9]
	s_andn2_b64 exec, exec, s[8:9]
	s_cbranch_execz .LBB361_14
.LBB361_7:                              ; =>This Loop Header: Depth=1
                                        ;     Child Loop BB361_9 Depth 2
                                        ;       Child Loop BB361_10 Depth 3
                                        ;       Child Loop BB361_12 Depth 3
	v_lshlrev_b64 v[0:1], 3, v[10:11]
	v_add_co_u32_e32 v2, vcc, s20, v0
	v_addc_co_u32_e32 v3, vcc, v34, v1, vcc
	global_load_dwordx2 v[2:3], v[2:3], off
	v_add_co_u32_e32 v0, vcc, s18, v0
	v_addc_co_u32_e32 v1, vcc, v33, v1, vcc
	global_load_dwordx2 v[0:1], v[0:1], off
	s_waitcnt vmcnt(1)
	v_subrev_co_u32_e32 v12, vcc, s2, v2
	v_subb_co_u32_e32 v13, vcc, v3, v35, vcc
	s_waitcnt vmcnt(0)
	v_add_co_u32_e32 v14, vcc, v0, v31
	v_addc_co_u32_e32 v15, vcc, v1, v32, vcc
	v_cmp_lt_i64_e32 vcc, v[14:15], v[12:13]
	s_and_saveexec_b64 s[14:15], vcc
	s_cbranch_execz .LBB361_6
; %bb.8:                                ;   in Loop: Header=BB361_7 Depth=1
	v_lshlrev_b64 v[0:1], 4, v[10:11]
	v_mov_b32_e32 v2, s27
	v_add_co_u32_e32 v0, vcc, s26, v0
	v_addc_co_u32_e32 v1, vcc, v2, v1, vcc
	global_load_dwordx4 v[0:3], v[0:1], off
	s_mov_b64 s[16:17], 0
	s_waitcnt vmcnt(0)
	v_mul_f64 v[16:17], v[2:3], -v[6:7]
	v_mul_f64 v[18:19], v[4:5], v[2:3]
	v_fmac_f64_e32 v[16:17], v[4:5], v[0:1]
	v_fmac_f64_e32 v[18:19], v[6:7], v[0:1]
	v_mul_f64 v[20:21], v[18:19], s[10:11]
	v_mul_f64 v[22:23], v[16:17], 0
.LBB361_9:                              ;   Parent Loop BB361_7 Depth=1
                                        ; =>  This Loop Header: Depth=2
                                        ;       Child Loop BB361_10 Depth 3
                                        ;       Child Loop BB361_12 Depth 3
	v_lshlrev_b64 v[0:1], 3, v[14:15]
	v_mov_b32_e32 v3, s23
	v_add_co_u32_e32 v2, vcc, s22, v0
	v_addc_co_u32_e32 v3, vcc, v3, v1, vcc
	global_load_dwordx2 v[2:3], v[2:3], off
	v_mov_b32_e32 v24, s25
	v_add_co_u32_e32 v0, vcc, s24, v0
	v_addc_co_u32_e32 v1, vcc, v24, v1, vcc
	global_load_dwordx2 v[26:27], v[0:1], off
	v_mov_b32_e32 v25, s5
	s_mov_b64 s[28:29], 0
	s_waitcnt vmcnt(1)
	v_subrev_co_u32_e32 v0, vcc, s2, v2
	v_subb_co_u32_e32 v1, vcc, v3, v35, vcc
	v_lshlrev_b64 v[0:1], 4, v[0:1]
	v_add_co_u32_e32 v24, vcc, s4, v0
	v_addc_co_u32_e32 v25, vcc, v25, v1, vcc
	global_load_dwordx2 v[2:3], v[24:25], off
	s_waitcnt vmcnt(1)
	v_fma_f64 v[28:29], v[16:17], v[26:27], v[20:21]
.LBB361_10:                             ;   Parent Loop BB361_7 Depth=1
                                        ;     Parent Loop BB361_9 Depth=2
                                        ; =>    This Inner Loop Header: Depth=3
	s_waitcnt vmcnt(0)
	v_add_f64 v[0:1], v[2:3], v[28:29]
	global_atomic_cmpswap_x2 v[0:1], v[24:25], v[0:3], off glc
	s_waitcnt vmcnt(0)
	v_cmp_eq_u64_e32 vcc, v[0:1], v[2:3]
	s_or_b64 s[28:29], vcc, s[28:29]
	v_pk_mov_b32 v[2:3], v[0:1], v[0:1] op_sel:[0,1]
	s_andn2_b64 exec, exec, s[28:29]
	s_cbranch_execnz .LBB361_10
; %bb.11:                               ;   in Loop: Header=BB361_9 Depth=2
	s_or_b64 exec, exec, s[28:29]
	global_load_dwordx2 v[2:3], v[24:25], off offset:8
	v_fma_f64 v[26:27], v[18:19], v[26:27], v[22:23]
	s_mov_b64 s[28:29], 0
.LBB361_12:                             ;   Parent Loop BB361_7 Depth=1
                                        ;     Parent Loop BB361_9 Depth=2
                                        ; =>    This Inner Loop Header: Depth=3
	s_waitcnt vmcnt(0)
	v_add_f64 v[0:1], v[2:3], v[26:27]
	global_atomic_cmpswap_x2 v[0:1], v[24:25], v[0:3], off offset:8 glc
	s_waitcnt vmcnt(0)
	v_cmp_eq_u64_e32 vcc, v[0:1], v[2:3]
	s_or_b64 s[28:29], vcc, s[28:29]
	v_pk_mov_b32 v[2:3], v[0:1], v[0:1] op_sel:[0,1]
	s_andn2_b64 exec, exec, s[28:29]
	s_cbranch_execnz .LBB361_12
; %bb.13:                               ;   in Loop: Header=BB361_9 Depth=2
	s_or_b64 exec, exec, s[28:29]
	v_add_co_u32_e32 v14, vcc, 32, v14
	v_addc_co_u32_e32 v15, vcc, 0, v15, vcc
	v_cmp_ge_i64_e32 vcc, v[14:15], v[12:13]
	s_or_b64 s[16:17], vcc, s[16:17]
	s_andn2_b64 exec, exec, s[16:17]
	s_cbranch_execnz .LBB361_9
	s_branch .LBB361_6
.LBB361_14:
	s_or_b64 exec, exec, s[6:7]
	s_mov_b64 s[6:7], 0
.LBB361_15:
	s_andn2_b64 vcc, exec, s[6:7]
	s_cbranch_vccnz .LBB361_27
; %bb.16:
	s_and_b64 exec, exec, s[0:1]
	s_cbranch_execz .LBB361_27
; %bb.17:
	s_mov_b32 s6, 0
	v_subrev_co_u32_e32 v28, vcc, s2, v30
	v_subb_co_u32_e64 v29, s[0:1], 0, 0, vcc
	v_mov_b32_e32 v32, s6
	s_mov_b32 s6, 0
	s_mov_b64 s[0:1], 0
	v_mov_b32_e32 v30, s19
	v_mov_b32_e32 v31, s21
	s_brev_b32 s7, 1
	s_branch .LBB361_19
.LBB361_18:                             ;   in Loop: Header=BB361_19 Depth=1
	s_or_b64 exec, exec, s[8:9]
	v_add_co_u32_e32 v8, vcc, s3, v8
	v_addc_co_u32_e32 v9, vcc, 0, v9, vcc
	v_cmp_le_i64_e32 vcc, s[12:13], v[8:9]
	s_or_b64 s[0:1], vcc, s[0:1]
	s_andn2_b64 exec, exec, s[0:1]
	s_cbranch_execz .LBB361_27
.LBB361_19:                             ; =>This Loop Header: Depth=1
                                        ;     Child Loop BB361_22 Depth 2
                                        ;       Child Loop BB361_24 Depth 3
                                        ;       Child Loop BB361_26 Depth 3
	v_lshlrev_b64 v[0:1], 3, v[8:9]
	v_add_co_u32_e32 v2, vcc, s20, v0
	v_addc_co_u32_e32 v3, vcc, v31, v1, vcc
	global_load_dwordx2 v[2:3], v[2:3], off
	v_add_co_u32_e32 v0, vcc, s18, v0
	v_addc_co_u32_e32 v1, vcc, v30, v1, vcc
	global_load_dwordx2 v[0:1], v[0:1], off
	s_waitcnt vmcnt(1)
	v_subrev_co_u32_e32 v10, vcc, s2, v2
	v_subb_co_u32_e32 v11, vcc, v3, v32, vcc
	s_waitcnt vmcnt(0)
	v_add_co_u32_e32 v12, vcc, v0, v28
	v_addc_co_u32_e32 v13, vcc, v1, v29, vcc
	v_cmp_lt_i64_e32 vcc, v[12:13], v[10:11]
	s_and_saveexec_b64 s[8:9], vcc
	s_cbranch_execz .LBB361_18
; %bb.20:                               ;   in Loop: Header=BB361_19 Depth=1
	v_lshlrev_b64 v[0:1], 4, v[8:9]
	v_mov_b32_e32 v2, s27
	v_add_co_u32_e32 v0, vcc, s26, v0
	v_addc_co_u32_e32 v1, vcc, v2, v1, vcc
	global_load_dwordx4 v[0:3], v[0:1], off
	s_mov_b64 s[10:11], 0
	s_waitcnt vmcnt(0)
	v_mul_f64 v[14:15], v[2:3], -v[6:7]
	v_mul_f64 v[16:17], v[4:5], v[2:3]
	v_fmac_f64_e32 v[14:15], v[4:5], v[0:1]
	v_fmac_f64_e32 v[16:17], v[6:7], v[0:1]
	v_mul_f64 v[18:19], v[16:17], s[6:7]
	v_mul_f64 v[20:21], v[14:15], 0
	s_branch .LBB361_22
.LBB361_21:                             ;   in Loop: Header=BB361_22 Depth=2
	s_or_b64 exec, exec, s[14:15]
	v_add_co_u32_e32 v12, vcc, 32, v12
	v_addc_co_u32_e32 v13, vcc, 0, v13, vcc
	v_cmp_ge_i64_e32 vcc, v[12:13], v[10:11]
	s_or_b64 s[10:11], vcc, s[10:11]
	s_andn2_b64 exec, exec, s[10:11]
	s_cbranch_execz .LBB361_18
.LBB361_22:                             ;   Parent Loop BB361_19 Depth=1
                                        ; =>  This Loop Header: Depth=2
                                        ;       Child Loop BB361_24 Depth 3
                                        ;       Child Loop BB361_26 Depth 3
	v_lshlrev_b64 v[0:1], 3, v[12:13]
	v_mov_b32_e32 v3, s23
	v_add_co_u32_e32 v2, vcc, s22, v0
	v_addc_co_u32_e32 v3, vcc, v3, v1, vcc
	global_load_dwordx2 v[2:3], v[2:3], off
	s_waitcnt vmcnt(0)
	v_subrev_co_u32_e32 v2, vcc, s2, v2
	v_subb_co_u32_e32 v3, vcc, v3, v32, vcc
	v_cmp_ne_u64_e32 vcc, v[2:3], v[8:9]
	s_and_saveexec_b64 s[14:15], vcc
	s_cbranch_execz .LBB361_21
; %bb.23:                               ;   in Loop: Header=BB361_22 Depth=2
	v_mov_b32_e32 v22, s25
	v_add_co_u32_e32 v0, vcc, s24, v0
	v_addc_co_u32_e32 v1, vcc, v22, v1, vcc
	global_load_dwordx2 v[24:25], v[0:1], off
	v_lshlrev_b64 v[0:1], 4, v[2:3]
	v_mov_b32_e32 v2, s5
	v_add_co_u32_e32 v22, vcc, s4, v0
	v_addc_co_u32_e32 v23, vcc, v2, v1, vcc
	global_load_dwordx2 v[2:3], v[22:23], off
	s_mov_b64 s[16:17], 0
	s_waitcnt vmcnt(1)
	v_fma_f64 v[26:27], v[14:15], v[24:25], v[18:19]
.LBB361_24:                             ;   Parent Loop BB361_19 Depth=1
                                        ;     Parent Loop BB361_22 Depth=2
                                        ; =>    This Inner Loop Header: Depth=3
	s_waitcnt vmcnt(0)
	v_add_f64 v[0:1], v[2:3], v[26:27]
	global_atomic_cmpswap_x2 v[0:1], v[22:23], v[0:3], off glc
	s_waitcnt vmcnt(0)
	v_cmp_eq_u64_e32 vcc, v[0:1], v[2:3]
	s_or_b64 s[16:17], vcc, s[16:17]
	v_pk_mov_b32 v[2:3], v[0:1], v[0:1] op_sel:[0,1]
	s_andn2_b64 exec, exec, s[16:17]
	s_cbranch_execnz .LBB361_24
; %bb.25:                               ;   in Loop: Header=BB361_22 Depth=2
	s_or_b64 exec, exec, s[16:17]
	global_load_dwordx2 v[2:3], v[22:23], off offset:8
	v_fma_f64 v[24:25], v[16:17], v[24:25], v[20:21]
	s_mov_b64 s[16:17], 0
.LBB361_26:                             ;   Parent Loop BB361_19 Depth=1
                                        ;     Parent Loop BB361_22 Depth=2
                                        ; =>    This Inner Loop Header: Depth=3
	s_waitcnt vmcnt(0)
	v_add_f64 v[0:1], v[2:3], v[24:25]
	global_atomic_cmpswap_x2 v[0:1], v[22:23], v[0:3], off offset:8 glc
	s_waitcnt vmcnt(0)
	v_cmp_eq_u64_e32 vcc, v[0:1], v[2:3]
	s_or_b64 s[16:17], vcc, s[16:17]
	v_pk_mov_b32 v[2:3], v[0:1], v[0:1] op_sel:[0,1]
	s_andn2_b64 exec, exec, s[16:17]
	s_cbranch_execnz .LBB361_26
	s_branch .LBB361_21
.LBB361_27:
	s_endpgm
	.section	.rodata,"a",@progbits
	.p2align	6, 0x0
	.amdhsa_kernel _ZN9rocsparseL21csrmvt_general_kernelILj256ELj32Elld21rocsparse_complex_numIdES2_S2_EEvbbT2_NS_24const_host_device_scalarIT6_EEPKT1_S9_PKS3_PKT3_PKT4_PT5_21rocsparse_index_base_b
		.amdhsa_group_segment_fixed_size 2048
		.amdhsa_private_segment_fixed_size 0
		.amdhsa_kernarg_size 344
		.amdhsa_user_sgpr_count 8
		.amdhsa_user_sgpr_private_segment_buffer 1
		.amdhsa_user_sgpr_dispatch_ptr 1
		.amdhsa_user_sgpr_queue_ptr 0
		.amdhsa_user_sgpr_kernarg_segment_ptr 1
		.amdhsa_user_sgpr_dispatch_id 0
		.amdhsa_user_sgpr_flat_scratch_init 0
		.amdhsa_user_sgpr_kernarg_preload_length 0
		.amdhsa_user_sgpr_kernarg_preload_offset 0
		.amdhsa_user_sgpr_private_segment_size 0
		.amdhsa_uses_dynamic_stack 0
		.amdhsa_system_sgpr_private_segment_wavefront_offset 0
		.amdhsa_system_sgpr_workgroup_id_x 1
		.amdhsa_system_sgpr_workgroup_id_y 0
		.amdhsa_system_sgpr_workgroup_id_z 0
		.amdhsa_system_sgpr_workgroup_info 0
		.amdhsa_system_vgpr_workitem_id 2
		.amdhsa_next_free_vgpr 36
		.amdhsa_next_free_sgpr 30
		.amdhsa_accum_offset 36
		.amdhsa_reserve_vcc 1
		.amdhsa_reserve_flat_scratch 0
		.amdhsa_float_round_mode_32 0
		.amdhsa_float_round_mode_16_64 0
		.amdhsa_float_denorm_mode_32 3
		.amdhsa_float_denorm_mode_16_64 3
		.amdhsa_dx10_clamp 1
		.amdhsa_ieee_mode 1
		.amdhsa_fp16_overflow 0
		.amdhsa_tg_split 0
		.amdhsa_exception_fp_ieee_invalid_op 0
		.amdhsa_exception_fp_denorm_src 0
		.amdhsa_exception_fp_ieee_div_zero 0
		.amdhsa_exception_fp_ieee_overflow 0
		.amdhsa_exception_fp_ieee_underflow 0
		.amdhsa_exception_fp_ieee_inexact 0
		.amdhsa_exception_int_div_zero 0
	.end_amdhsa_kernel
	.section	.text._ZN9rocsparseL21csrmvt_general_kernelILj256ELj32Elld21rocsparse_complex_numIdES2_S2_EEvbbT2_NS_24const_host_device_scalarIT6_EEPKT1_S9_PKS3_PKT3_PKT4_PT5_21rocsparse_index_base_b,"axG",@progbits,_ZN9rocsparseL21csrmvt_general_kernelILj256ELj32Elld21rocsparse_complex_numIdES2_S2_EEvbbT2_NS_24const_host_device_scalarIT6_EEPKT1_S9_PKS3_PKT3_PKT4_PT5_21rocsparse_index_base_b,comdat
.Lfunc_end361:
	.size	_ZN9rocsparseL21csrmvt_general_kernelILj256ELj32Elld21rocsparse_complex_numIdES2_S2_EEvbbT2_NS_24const_host_device_scalarIT6_EEPKT1_S9_PKS3_PKT3_PKT4_PT5_21rocsparse_index_base_b, .Lfunc_end361-_ZN9rocsparseL21csrmvt_general_kernelILj256ELj32Elld21rocsparse_complex_numIdES2_S2_EEvbbT2_NS_24const_host_device_scalarIT6_EEPKT1_S9_PKS3_PKT3_PKT4_PT5_21rocsparse_index_base_b
                                        ; -- End function
	.section	.AMDGPU.csdata,"",@progbits
; Kernel info:
; codeLenInByte = 1300
; NumSgprs: 34
; NumVgprs: 36
; NumAgprs: 0
; TotalNumVgprs: 36
; ScratchSize: 0
; MemoryBound: 0
; FloatMode: 240
; IeeeMode: 1
; LDSByteSize: 2048 bytes/workgroup (compile time only)
; SGPRBlocks: 4
; VGPRBlocks: 4
; NumSGPRsForWavesPerEU: 34
; NumVGPRsForWavesPerEU: 36
; AccumOffset: 36
; Occupancy: 8
; WaveLimiterHint : 1
; COMPUTE_PGM_RSRC2:SCRATCH_EN: 0
; COMPUTE_PGM_RSRC2:USER_SGPR: 8
; COMPUTE_PGM_RSRC2:TRAP_HANDLER: 0
; COMPUTE_PGM_RSRC2:TGID_X_EN: 1
; COMPUTE_PGM_RSRC2:TGID_Y_EN: 0
; COMPUTE_PGM_RSRC2:TGID_Z_EN: 0
; COMPUTE_PGM_RSRC2:TIDIG_COMP_CNT: 2
; COMPUTE_PGM_RSRC3_GFX90A:ACCUM_OFFSET: 8
; COMPUTE_PGM_RSRC3_GFX90A:TG_SPLIT: 0
	.section	.text._ZN9rocsparseL21csrmvt_general_kernelILj256ELj64Elld21rocsparse_complex_numIdES2_S2_EEvbbT2_NS_24const_host_device_scalarIT6_EEPKT1_S9_PKS3_PKT3_PKT4_PT5_21rocsparse_index_base_b,"axG",@progbits,_ZN9rocsparseL21csrmvt_general_kernelILj256ELj64Elld21rocsparse_complex_numIdES2_S2_EEvbbT2_NS_24const_host_device_scalarIT6_EEPKT1_S9_PKS3_PKT3_PKT4_PT5_21rocsparse_index_base_b,comdat
	.globl	_ZN9rocsparseL21csrmvt_general_kernelILj256ELj64Elld21rocsparse_complex_numIdES2_S2_EEvbbT2_NS_24const_host_device_scalarIT6_EEPKT1_S9_PKS3_PKT3_PKT4_PT5_21rocsparse_index_base_b ; -- Begin function _ZN9rocsparseL21csrmvt_general_kernelILj256ELj64Elld21rocsparse_complex_numIdES2_S2_EEvbbT2_NS_24const_host_device_scalarIT6_EEPKT1_S9_PKS3_PKT3_PKT4_PT5_21rocsparse_index_base_b
	.p2align	8
	.type	_ZN9rocsparseL21csrmvt_general_kernelILj256ELj64Elld21rocsparse_complex_numIdES2_S2_EEvbbT2_NS_24const_host_device_scalarIT6_EEPKT1_S9_PKS3_PKT3_PKT4_PT5_21rocsparse_index_base_b,@function
_ZN9rocsparseL21csrmvt_general_kernelILj256ELj64Elld21rocsparse_complex_numIdES2_S2_EEvbbT2_NS_24const_host_device_scalarIT6_EEPKT1_S9_PKS3_PKT3_PKT4_PT5_21rocsparse_index_base_b: ; @_ZN9rocsparseL21csrmvt_general_kernelILj256ELj64Elld21rocsparse_complex_numIdES2_S2_EEvbbT2_NS_24const_host_device_scalarIT6_EEPKT1_S9_PKS3_PKT3_PKT4_PT5_21rocsparse_index_base_b
; %bb.0:
	s_load_dwordx2 s[2:3], s[6:7], 0x50
	s_load_dwordx2 s[0:1], s[4:5], 0x4
	s_load_dwordx8 s[12:19], s[6:7], 0x8
	v_and_b32_e32 v1, 0x3ff, v0
	v_bfe_u32 v3, v0, 10, 10
	s_waitcnt lgkmcnt(0)
	s_and_b32 s3, 1, s3
	s_lshr_b32 s0, s0, 16
	s_mul_i32 s0, s0, s1
	v_mul_lo_u32 v2, s0, v1
	s_cmp_eq_u32 s3, 1
	v_mad_u32_u24 v2, v3, s1, v2
	v_bfe_u32 v0, v0, 20, 10
	v_add_lshl_u32 v0, v2, v0, 3
	v_pk_mov_b32 v[2:3], s[14:15], s[14:15] op_sel:[0,1]
	s_cselect_b64 vcc, -1, 0
	ds_write_b64 v0, v[2:3]
	s_mov_b64 s[0:1], src_shared_base
	v_cndmask_b32_e32 v2, v2, v0, vcc
	s_and_b64 vcc, vcc, exec
	s_cselect_b32 s0, s1, s15
	v_mov_b32_e32 v3, s0
	flat_load_dwordx2 v[4:5], v[2:3]
	v_pk_mov_b32 v[6:7], s[16:17], s[16:17] op_sel:[0,1]
	s_cbranch_vccnz .LBB362_2
; %bb.1:
	v_pk_mov_b32 v[2:3], s[14:15], s[14:15] op_sel:[0,1]
	flat_load_dwordx2 v[6:7], v[2:3] offset:8
.LBB362_2:
	s_waitcnt vmcnt(0) lgkmcnt(0)
	v_cmp_neq_f64_e32 vcc, 0, v[4:5]
	v_cmp_neq_f64_e64 s[0:1], 0, v[6:7]
	s_or_b64 s[0:1], vcc, s[0:1]
	s_and_saveexec_b64 s[4:5], s[0:1]
	s_cbranch_execz .LBB362_27
; %bb.3:
	s_load_dword s0, s[6:7], 0x0
	s_load_dword s1, s[6:7], 0x58
	s_load_dwordx2 s[4:5], s[6:7], 0x48
	s_load_dwordx8 s[20:27], s[6:7], 0x28
	v_lshl_or_b32 v0, s8, 8, v1
	s_waitcnt lgkmcnt(0)
	s_and_b32 s0, s0, 1
	s_lshl_b32 s3, s1, 2
	v_lshrrev_b32_e32 v8, 6, v0
	v_mov_b32_e32 v9, 0
	s_cmp_eq_u32 s0, 0
	v_and_b32_e32 v30, 63, v1
	v_cmp_gt_i64_e64 s[0:1], s[12:13], v[8:9]
	s_mov_b64 s[6:7], -1
	s_cbranch_scc0 .LBB362_15
; %bb.4:
	s_and_saveexec_b64 s[6:7], s[0:1]
	s_cbranch_execz .LBB362_14
; %bb.5:
	s_mov_b32 s10, 0
	v_subrev_co_u32_e32 v31, vcc, s2, v30
	v_subb_co_u32_e64 v32, s[8:9], 0, 0, vcc
	v_mov_b32_e32 v35, s10
	s_mov_b32 s10, 0
	s_mov_b64 s[8:9], 0
	v_mov_b32_e32 v33, s19
	v_mov_b32_e32 v34, s21
	s_brev_b32 s11, 1
	v_pk_mov_b32 v[10:11], v[8:9], v[8:9] op_sel:[0,1]
	s_branch .LBB362_7
.LBB362_6:                              ;   in Loop: Header=BB362_7 Depth=1
	s_or_b64 exec, exec, s[14:15]
	v_add_co_u32_e32 v10, vcc, s3, v10
	v_addc_co_u32_e32 v11, vcc, 0, v11, vcc
	v_cmp_le_i64_e32 vcc, s[12:13], v[10:11]
	s_or_b64 s[8:9], vcc, s[8:9]
	s_andn2_b64 exec, exec, s[8:9]
	s_cbranch_execz .LBB362_14
.LBB362_7:                              ; =>This Loop Header: Depth=1
                                        ;     Child Loop BB362_9 Depth 2
                                        ;       Child Loop BB362_10 Depth 3
                                        ;       Child Loop BB362_12 Depth 3
	v_lshlrev_b64 v[0:1], 3, v[10:11]
	v_add_co_u32_e32 v2, vcc, s20, v0
	v_addc_co_u32_e32 v3, vcc, v34, v1, vcc
	global_load_dwordx2 v[2:3], v[2:3], off
	v_add_co_u32_e32 v0, vcc, s18, v0
	v_addc_co_u32_e32 v1, vcc, v33, v1, vcc
	global_load_dwordx2 v[0:1], v[0:1], off
	s_waitcnt vmcnt(1)
	v_subrev_co_u32_e32 v12, vcc, s2, v2
	v_subb_co_u32_e32 v13, vcc, v3, v35, vcc
	s_waitcnt vmcnt(0)
	v_add_co_u32_e32 v14, vcc, v0, v31
	v_addc_co_u32_e32 v15, vcc, v1, v32, vcc
	v_cmp_lt_i64_e32 vcc, v[14:15], v[12:13]
	s_and_saveexec_b64 s[14:15], vcc
	s_cbranch_execz .LBB362_6
; %bb.8:                                ;   in Loop: Header=BB362_7 Depth=1
	v_lshlrev_b64 v[0:1], 4, v[10:11]
	v_mov_b32_e32 v2, s27
	v_add_co_u32_e32 v0, vcc, s26, v0
	v_addc_co_u32_e32 v1, vcc, v2, v1, vcc
	global_load_dwordx4 v[0:3], v[0:1], off
	s_mov_b64 s[16:17], 0
	s_waitcnt vmcnt(0)
	v_mul_f64 v[16:17], v[2:3], -v[6:7]
	v_mul_f64 v[18:19], v[4:5], v[2:3]
	v_fmac_f64_e32 v[16:17], v[4:5], v[0:1]
	v_fmac_f64_e32 v[18:19], v[6:7], v[0:1]
	v_mul_f64 v[20:21], v[18:19], s[10:11]
	v_mul_f64 v[22:23], v[16:17], 0
.LBB362_9:                              ;   Parent Loop BB362_7 Depth=1
                                        ; =>  This Loop Header: Depth=2
                                        ;       Child Loop BB362_10 Depth 3
                                        ;       Child Loop BB362_12 Depth 3
	v_lshlrev_b64 v[0:1], 3, v[14:15]
	v_mov_b32_e32 v3, s23
	v_add_co_u32_e32 v2, vcc, s22, v0
	v_addc_co_u32_e32 v3, vcc, v3, v1, vcc
	global_load_dwordx2 v[2:3], v[2:3], off
	v_mov_b32_e32 v24, s25
	v_add_co_u32_e32 v0, vcc, s24, v0
	v_addc_co_u32_e32 v1, vcc, v24, v1, vcc
	global_load_dwordx2 v[26:27], v[0:1], off
	v_mov_b32_e32 v25, s5
	s_mov_b64 s[28:29], 0
	s_waitcnt vmcnt(1)
	v_subrev_co_u32_e32 v0, vcc, s2, v2
	v_subb_co_u32_e32 v1, vcc, v3, v35, vcc
	v_lshlrev_b64 v[0:1], 4, v[0:1]
	v_add_co_u32_e32 v24, vcc, s4, v0
	v_addc_co_u32_e32 v25, vcc, v25, v1, vcc
	global_load_dwordx2 v[2:3], v[24:25], off
	s_waitcnt vmcnt(1)
	v_fma_f64 v[28:29], v[16:17], v[26:27], v[20:21]
.LBB362_10:                             ;   Parent Loop BB362_7 Depth=1
                                        ;     Parent Loop BB362_9 Depth=2
                                        ; =>    This Inner Loop Header: Depth=3
	s_waitcnt vmcnt(0)
	v_add_f64 v[0:1], v[2:3], v[28:29]
	global_atomic_cmpswap_x2 v[0:1], v[24:25], v[0:3], off glc
	s_waitcnt vmcnt(0)
	v_cmp_eq_u64_e32 vcc, v[0:1], v[2:3]
	s_or_b64 s[28:29], vcc, s[28:29]
	v_pk_mov_b32 v[2:3], v[0:1], v[0:1] op_sel:[0,1]
	s_andn2_b64 exec, exec, s[28:29]
	s_cbranch_execnz .LBB362_10
; %bb.11:                               ;   in Loop: Header=BB362_9 Depth=2
	s_or_b64 exec, exec, s[28:29]
	global_load_dwordx2 v[2:3], v[24:25], off offset:8
	v_fma_f64 v[26:27], v[18:19], v[26:27], v[22:23]
	s_mov_b64 s[28:29], 0
.LBB362_12:                             ;   Parent Loop BB362_7 Depth=1
                                        ;     Parent Loop BB362_9 Depth=2
                                        ; =>    This Inner Loop Header: Depth=3
	s_waitcnt vmcnt(0)
	v_add_f64 v[0:1], v[2:3], v[26:27]
	global_atomic_cmpswap_x2 v[0:1], v[24:25], v[0:3], off offset:8 glc
	s_waitcnt vmcnt(0)
	v_cmp_eq_u64_e32 vcc, v[0:1], v[2:3]
	s_or_b64 s[28:29], vcc, s[28:29]
	v_pk_mov_b32 v[2:3], v[0:1], v[0:1] op_sel:[0,1]
	s_andn2_b64 exec, exec, s[28:29]
	s_cbranch_execnz .LBB362_12
; %bb.13:                               ;   in Loop: Header=BB362_9 Depth=2
	s_or_b64 exec, exec, s[28:29]
	v_add_co_u32_e32 v14, vcc, 64, v14
	v_addc_co_u32_e32 v15, vcc, 0, v15, vcc
	v_cmp_ge_i64_e32 vcc, v[14:15], v[12:13]
	s_or_b64 s[16:17], vcc, s[16:17]
	s_andn2_b64 exec, exec, s[16:17]
	s_cbranch_execnz .LBB362_9
	s_branch .LBB362_6
.LBB362_14:
	s_or_b64 exec, exec, s[6:7]
	s_mov_b64 s[6:7], 0
.LBB362_15:
	s_andn2_b64 vcc, exec, s[6:7]
	s_cbranch_vccnz .LBB362_27
; %bb.16:
	s_and_b64 exec, exec, s[0:1]
	s_cbranch_execz .LBB362_27
; %bb.17:
	s_mov_b32 s6, 0
	v_subrev_co_u32_e32 v28, vcc, s2, v30
	v_subb_co_u32_e64 v29, s[0:1], 0, 0, vcc
	v_mov_b32_e32 v32, s6
	s_mov_b32 s6, 0
	s_mov_b64 s[0:1], 0
	v_mov_b32_e32 v30, s19
	v_mov_b32_e32 v31, s21
	s_brev_b32 s7, 1
	s_branch .LBB362_19
.LBB362_18:                             ;   in Loop: Header=BB362_19 Depth=1
	s_or_b64 exec, exec, s[8:9]
	v_add_co_u32_e32 v8, vcc, s3, v8
	v_addc_co_u32_e32 v9, vcc, 0, v9, vcc
	v_cmp_le_i64_e32 vcc, s[12:13], v[8:9]
	s_or_b64 s[0:1], vcc, s[0:1]
	s_andn2_b64 exec, exec, s[0:1]
	s_cbranch_execz .LBB362_27
.LBB362_19:                             ; =>This Loop Header: Depth=1
                                        ;     Child Loop BB362_22 Depth 2
                                        ;       Child Loop BB362_24 Depth 3
                                        ;       Child Loop BB362_26 Depth 3
	v_lshlrev_b64 v[0:1], 3, v[8:9]
	v_add_co_u32_e32 v2, vcc, s20, v0
	v_addc_co_u32_e32 v3, vcc, v31, v1, vcc
	global_load_dwordx2 v[2:3], v[2:3], off
	v_add_co_u32_e32 v0, vcc, s18, v0
	v_addc_co_u32_e32 v1, vcc, v30, v1, vcc
	global_load_dwordx2 v[0:1], v[0:1], off
	s_waitcnt vmcnt(1)
	v_subrev_co_u32_e32 v10, vcc, s2, v2
	v_subb_co_u32_e32 v11, vcc, v3, v32, vcc
	s_waitcnt vmcnt(0)
	v_add_co_u32_e32 v12, vcc, v0, v28
	v_addc_co_u32_e32 v13, vcc, v1, v29, vcc
	v_cmp_lt_i64_e32 vcc, v[12:13], v[10:11]
	s_and_saveexec_b64 s[8:9], vcc
	s_cbranch_execz .LBB362_18
; %bb.20:                               ;   in Loop: Header=BB362_19 Depth=1
	v_lshlrev_b64 v[0:1], 4, v[8:9]
	v_mov_b32_e32 v2, s27
	v_add_co_u32_e32 v0, vcc, s26, v0
	v_addc_co_u32_e32 v1, vcc, v2, v1, vcc
	global_load_dwordx4 v[0:3], v[0:1], off
	s_mov_b64 s[10:11], 0
	s_waitcnt vmcnt(0)
	v_mul_f64 v[14:15], v[2:3], -v[6:7]
	v_mul_f64 v[16:17], v[4:5], v[2:3]
	v_fmac_f64_e32 v[14:15], v[4:5], v[0:1]
	v_fmac_f64_e32 v[16:17], v[6:7], v[0:1]
	v_mul_f64 v[18:19], v[16:17], s[6:7]
	v_mul_f64 v[20:21], v[14:15], 0
	s_branch .LBB362_22
.LBB362_21:                             ;   in Loop: Header=BB362_22 Depth=2
	s_or_b64 exec, exec, s[14:15]
	v_add_co_u32_e32 v12, vcc, 64, v12
	v_addc_co_u32_e32 v13, vcc, 0, v13, vcc
	v_cmp_ge_i64_e32 vcc, v[12:13], v[10:11]
	s_or_b64 s[10:11], vcc, s[10:11]
	s_andn2_b64 exec, exec, s[10:11]
	s_cbranch_execz .LBB362_18
.LBB362_22:                             ;   Parent Loop BB362_19 Depth=1
                                        ; =>  This Loop Header: Depth=2
                                        ;       Child Loop BB362_24 Depth 3
                                        ;       Child Loop BB362_26 Depth 3
	v_lshlrev_b64 v[0:1], 3, v[12:13]
	v_mov_b32_e32 v3, s23
	v_add_co_u32_e32 v2, vcc, s22, v0
	v_addc_co_u32_e32 v3, vcc, v3, v1, vcc
	global_load_dwordx2 v[2:3], v[2:3], off
	s_waitcnt vmcnt(0)
	v_subrev_co_u32_e32 v2, vcc, s2, v2
	v_subb_co_u32_e32 v3, vcc, v3, v32, vcc
	v_cmp_ne_u64_e32 vcc, v[2:3], v[8:9]
	s_and_saveexec_b64 s[14:15], vcc
	s_cbranch_execz .LBB362_21
; %bb.23:                               ;   in Loop: Header=BB362_22 Depth=2
	v_mov_b32_e32 v22, s25
	v_add_co_u32_e32 v0, vcc, s24, v0
	v_addc_co_u32_e32 v1, vcc, v22, v1, vcc
	global_load_dwordx2 v[24:25], v[0:1], off
	v_lshlrev_b64 v[0:1], 4, v[2:3]
	v_mov_b32_e32 v2, s5
	v_add_co_u32_e32 v22, vcc, s4, v0
	v_addc_co_u32_e32 v23, vcc, v2, v1, vcc
	global_load_dwordx2 v[2:3], v[22:23], off
	s_mov_b64 s[16:17], 0
	s_waitcnt vmcnt(1)
	v_fma_f64 v[26:27], v[14:15], v[24:25], v[18:19]
.LBB362_24:                             ;   Parent Loop BB362_19 Depth=1
                                        ;     Parent Loop BB362_22 Depth=2
                                        ; =>    This Inner Loop Header: Depth=3
	s_waitcnt vmcnt(0)
	v_add_f64 v[0:1], v[2:3], v[26:27]
	global_atomic_cmpswap_x2 v[0:1], v[22:23], v[0:3], off glc
	s_waitcnt vmcnt(0)
	v_cmp_eq_u64_e32 vcc, v[0:1], v[2:3]
	s_or_b64 s[16:17], vcc, s[16:17]
	v_pk_mov_b32 v[2:3], v[0:1], v[0:1] op_sel:[0,1]
	s_andn2_b64 exec, exec, s[16:17]
	s_cbranch_execnz .LBB362_24
; %bb.25:                               ;   in Loop: Header=BB362_22 Depth=2
	s_or_b64 exec, exec, s[16:17]
	global_load_dwordx2 v[2:3], v[22:23], off offset:8
	v_fma_f64 v[24:25], v[16:17], v[24:25], v[20:21]
	s_mov_b64 s[16:17], 0
.LBB362_26:                             ;   Parent Loop BB362_19 Depth=1
                                        ;     Parent Loop BB362_22 Depth=2
                                        ; =>    This Inner Loop Header: Depth=3
	s_waitcnt vmcnt(0)
	v_add_f64 v[0:1], v[2:3], v[24:25]
	global_atomic_cmpswap_x2 v[0:1], v[22:23], v[0:3], off offset:8 glc
	s_waitcnt vmcnt(0)
	v_cmp_eq_u64_e32 vcc, v[0:1], v[2:3]
	s_or_b64 s[16:17], vcc, s[16:17]
	v_pk_mov_b32 v[2:3], v[0:1], v[0:1] op_sel:[0,1]
	s_andn2_b64 exec, exec, s[16:17]
	s_cbranch_execnz .LBB362_26
	s_branch .LBB362_21
.LBB362_27:
	s_endpgm
	.section	.rodata,"a",@progbits
	.p2align	6, 0x0
	.amdhsa_kernel _ZN9rocsparseL21csrmvt_general_kernelILj256ELj64Elld21rocsparse_complex_numIdES2_S2_EEvbbT2_NS_24const_host_device_scalarIT6_EEPKT1_S9_PKS3_PKT3_PKT4_PT5_21rocsparse_index_base_b
		.amdhsa_group_segment_fixed_size 2048
		.amdhsa_private_segment_fixed_size 0
		.amdhsa_kernarg_size 344
		.amdhsa_user_sgpr_count 8
		.amdhsa_user_sgpr_private_segment_buffer 1
		.amdhsa_user_sgpr_dispatch_ptr 1
		.amdhsa_user_sgpr_queue_ptr 0
		.amdhsa_user_sgpr_kernarg_segment_ptr 1
		.amdhsa_user_sgpr_dispatch_id 0
		.amdhsa_user_sgpr_flat_scratch_init 0
		.amdhsa_user_sgpr_kernarg_preload_length 0
		.amdhsa_user_sgpr_kernarg_preload_offset 0
		.amdhsa_user_sgpr_private_segment_size 0
		.amdhsa_uses_dynamic_stack 0
		.amdhsa_system_sgpr_private_segment_wavefront_offset 0
		.amdhsa_system_sgpr_workgroup_id_x 1
		.amdhsa_system_sgpr_workgroup_id_y 0
		.amdhsa_system_sgpr_workgroup_id_z 0
		.amdhsa_system_sgpr_workgroup_info 0
		.amdhsa_system_vgpr_workitem_id 2
		.amdhsa_next_free_vgpr 36
		.amdhsa_next_free_sgpr 30
		.amdhsa_accum_offset 36
		.amdhsa_reserve_vcc 1
		.amdhsa_reserve_flat_scratch 0
		.amdhsa_float_round_mode_32 0
		.amdhsa_float_round_mode_16_64 0
		.amdhsa_float_denorm_mode_32 3
		.amdhsa_float_denorm_mode_16_64 3
		.amdhsa_dx10_clamp 1
		.amdhsa_ieee_mode 1
		.amdhsa_fp16_overflow 0
		.amdhsa_tg_split 0
		.amdhsa_exception_fp_ieee_invalid_op 0
		.amdhsa_exception_fp_denorm_src 0
		.amdhsa_exception_fp_ieee_div_zero 0
		.amdhsa_exception_fp_ieee_overflow 0
		.amdhsa_exception_fp_ieee_underflow 0
		.amdhsa_exception_fp_ieee_inexact 0
		.amdhsa_exception_int_div_zero 0
	.end_amdhsa_kernel
	.section	.text._ZN9rocsparseL21csrmvt_general_kernelILj256ELj64Elld21rocsparse_complex_numIdES2_S2_EEvbbT2_NS_24const_host_device_scalarIT6_EEPKT1_S9_PKS3_PKT3_PKT4_PT5_21rocsparse_index_base_b,"axG",@progbits,_ZN9rocsparseL21csrmvt_general_kernelILj256ELj64Elld21rocsparse_complex_numIdES2_S2_EEvbbT2_NS_24const_host_device_scalarIT6_EEPKT1_S9_PKS3_PKT3_PKT4_PT5_21rocsparse_index_base_b,comdat
.Lfunc_end362:
	.size	_ZN9rocsparseL21csrmvt_general_kernelILj256ELj64Elld21rocsparse_complex_numIdES2_S2_EEvbbT2_NS_24const_host_device_scalarIT6_EEPKT1_S9_PKS3_PKT3_PKT4_PT5_21rocsparse_index_base_b, .Lfunc_end362-_ZN9rocsparseL21csrmvt_general_kernelILj256ELj64Elld21rocsparse_complex_numIdES2_S2_EEvbbT2_NS_24const_host_device_scalarIT6_EEPKT1_S9_PKS3_PKT3_PKT4_PT5_21rocsparse_index_base_b
                                        ; -- End function
	.section	.AMDGPU.csdata,"",@progbits
; Kernel info:
; codeLenInByte = 1300
; NumSgprs: 34
; NumVgprs: 36
; NumAgprs: 0
; TotalNumVgprs: 36
; ScratchSize: 0
; MemoryBound: 0
; FloatMode: 240
; IeeeMode: 1
; LDSByteSize: 2048 bytes/workgroup (compile time only)
; SGPRBlocks: 4
; VGPRBlocks: 4
; NumSGPRsForWavesPerEU: 34
; NumVGPRsForWavesPerEU: 36
; AccumOffset: 36
; Occupancy: 8
; WaveLimiterHint : 1
; COMPUTE_PGM_RSRC2:SCRATCH_EN: 0
; COMPUTE_PGM_RSRC2:USER_SGPR: 8
; COMPUTE_PGM_RSRC2:TRAP_HANDLER: 0
; COMPUTE_PGM_RSRC2:TGID_X_EN: 1
; COMPUTE_PGM_RSRC2:TGID_Y_EN: 0
; COMPUTE_PGM_RSRC2:TGID_Z_EN: 0
; COMPUTE_PGM_RSRC2:TIDIG_COMP_CNT: 2
; COMPUTE_PGM_RSRC3_GFX90A:ACCUM_OFFSET: 8
; COMPUTE_PGM_RSRC3_GFX90A:TG_SPLIT: 0
	.section	.text._ZN9rocsparseL21csrmvn_general_kernelILj256ELj2Eii21rocsparse_complex_numIfES1_IdES3_S3_EEvbT2_NS_24const_host_device_scalarIT6_EEPKT1_SA_PKS4_PKT3_PKT4_S7_PT5_21rocsparse_index_base_b,"axG",@progbits,_ZN9rocsparseL21csrmvn_general_kernelILj256ELj2Eii21rocsparse_complex_numIfES1_IdES3_S3_EEvbT2_NS_24const_host_device_scalarIT6_EEPKT1_SA_PKS4_PKT3_PKT4_S7_PT5_21rocsparse_index_base_b,comdat
	.globl	_ZN9rocsparseL21csrmvn_general_kernelILj256ELj2Eii21rocsparse_complex_numIfES1_IdES3_S3_EEvbT2_NS_24const_host_device_scalarIT6_EEPKT1_SA_PKS4_PKT3_PKT4_S7_PT5_21rocsparse_index_base_b ; -- Begin function _ZN9rocsparseL21csrmvn_general_kernelILj256ELj2Eii21rocsparse_complex_numIfES1_IdES3_S3_EEvbT2_NS_24const_host_device_scalarIT6_EEPKT1_SA_PKS4_PKT3_PKT4_S7_PT5_21rocsparse_index_base_b
	.p2align	8
	.type	_ZN9rocsparseL21csrmvn_general_kernelILj256ELj2Eii21rocsparse_complex_numIfES1_IdES3_S3_EEvbT2_NS_24const_host_device_scalarIT6_EEPKT1_SA_PKS4_PKT3_PKT4_S7_PT5_21rocsparse_index_base_b,@function
_ZN9rocsparseL21csrmvn_general_kernelILj256ELj2Eii21rocsparse_complex_numIfES1_IdES3_S3_EEvbT2_NS_24const_host_device_scalarIT6_EEPKT1_SA_PKS4_PKT3_PKT4_S7_PT5_21rocsparse_index_base_b: ; @_ZN9rocsparseL21csrmvn_general_kernelILj256ELj2Eii21rocsparse_complex_numIfES1_IdES3_S3_EEvbT2_NS_24const_host_device_scalarIT6_EEPKT1_SA_PKS4_PKT3_PKT4_S7_PT5_21rocsparse_index_base_b
; %bb.0:
	s_load_dwordx2 s[24:25], s[6:7], 0x58
	s_load_dwordx8 s[12:19], s[6:7], 0x8
	s_load_dwordx4 s[20:23], s[6:7], 0x40
	s_mov_b64 s[2:3], src_shared_base
	s_load_dwordx2 s[4:5], s[4:5], 0x4
	s_waitcnt lgkmcnt(0)
	s_bitcmp1_b32 s25, 0
	s_cselect_b64 s[0:1], -1, 0
	s_and_b64 vcc, s[0:1], exec
	s_cselect_b32 s2, s3, s13
	s_lshr_b32 s4, s4, 16
	v_and_b32_e32 v1, 0x3ff, v0
	s_mul_i32 s4, s4, s5
	v_mul_lo_u32 v2, s4, v1
	v_bfe_u32 v3, v0, 10, 10
	v_mad_u32_u24 v2, v3, s5, v2
	v_bfe_u32 v0, v0, 20, 10
	v_add_lshl_u32 v0, v2, v0, 3
	v_mov_b32_e32 v6, s12
	v_add_u32_e32 v7, 0x800, v0
	v_pk_mov_b32 v[2:3], s[12:13], s[12:13] op_sel:[0,1]
	v_pk_mov_b32 v[4:5], s[20:21], s[20:21] op_sel:[0,1]
	ds_write2st64_b64 v0, v[4:5], v[2:3] offset1:4
	v_cndmask_b32_e64 v2, v6, v7, s[0:1]
	v_mov_b32_e32 v3, s2
	flat_load_dwordx2 v[4:5], v[2:3]
	s_xor_b64 s[4:5], s[0:1], -1
	v_pk_mov_b32 v[6:7], s[14:15], s[14:15] op_sel:[0,1]
	s_cbranch_vccnz .LBB363_2
; %bb.1:
	v_pk_mov_b32 v[2:3], s[12:13], s[12:13] op_sel:[0,1]
	flat_load_dwordx2 v[6:7], v[2:3] offset:8
.LBB363_2:
	s_and_b64 s[10:11], s[0:1], exec
	s_cselect_b32 s2, s3, s21
	v_mov_b32_e32 v2, s20
	v_cndmask_b32_e64 v2, v2, v0, s[0:1]
	v_mov_b32_e32 v3, s2
	flat_load_dwordx2 v[8:9], v[2:3]
	s_andn2_b64 vcc, exec, s[4:5]
	v_pk_mov_b32 v[10:11], s[22:23], s[22:23] op_sel:[0,1]
	s_cbranch_vccnz .LBB363_4
; %bb.3:
	v_pk_mov_b32 v[2:3], s[20:21], s[20:21] op_sel:[0,1]
	flat_load_dwordx2 v[10:11], v[2:3] offset:8
.LBB363_4:
	s_waitcnt vmcnt(0) lgkmcnt(0)
	v_cmp_eq_f64_e32 vcc, 0, v[4:5]
	v_cmp_eq_f64_e64 s[0:1], 0, v[6:7]
	s_and_b64 s[4:5], vcc, s[0:1]
	s_mov_b64 s[0:1], -1
	s_and_saveexec_b64 s[2:3], s[4:5]
; %bb.5:
	v_cmp_neq_f64_e32 vcc, 1.0, v[8:9]
	v_cmp_neq_f64_e64 s[0:1], 0, v[10:11]
	s_or_b64 s[0:1], vcc, s[0:1]
	s_orn2_b64 s[0:1], s[0:1], exec
; %bb.6:
	s_or_b64 exec, exec, s[2:3]
	s_and_saveexec_b64 s[2:3], s[0:1]
	s_cbranch_execz .LBB363_18
; %bb.7:
	s_load_dwordx2 s[4:5], s[6:7], 0x0
	v_lshl_or_b32 v0, s8, 8, v1
	v_lshrrev_b32_e32 v12, 1, v0
	s_waitcnt lgkmcnt(0)
	v_cmp_gt_i32_e32 vcc, s5, v12
	s_and_b64 exec, exec, vcc
	s_cbranch_execz .LBB363_18
; %bb.8:
	s_load_dword s2, s[6:7], 0x60
	s_load_dwordx2 s[12:13], s[6:7], 0x50
	s_load_dwordx4 s[8:11], s[6:7], 0x28
	s_load_dwordx2 s[0:1], s[6:7], 0x38
	v_and_b32_e32 v0, 1, v1
	s_waitcnt lgkmcnt(0)
	s_lshl_b32 s26, s2, 7
	s_bitcmp1_b32 s4, 0
	s_cselect_b64 s[6:7], -1, 0
	s_ashr_i32 s25, s24, 31
	s_lshl_b64 s[2:3], s[24:25], 4
	s_sub_u32 s4, s0, s2
	s_subb_u32 s25, s1, s3
	v_cmp_neq_f64_e64 s[0:1], 0, v[8:9]
	v_cmp_neq_f64_e64 s[2:3], 0, v[10:11]
	v_subrev_u32_e32 v18, s24, v0
	v_cmp_eq_u32_e32 vcc, 1, v0
	s_mov_b64 s[14:15], 0
	s_or_b64 s[2:3], s[0:1], s[2:3]
	v_mov_b32_e32 v19, s17
	v_mov_b32_e32 v20, s19
	s_branch .LBB363_11
.LBB363_9:                              ;   in Loop: Header=BB363_11 Depth=1
	s_or_b64 exec, exec, s[0:1]
	global_store_dwordx4 v[14:15], v[0:3], off
.LBB363_10:                             ;   in Loop: Header=BB363_11 Depth=1
	s_or_b64 exec, exec, s[20:21]
	v_add_u32_e32 v12, s26, v12
	v_cmp_le_i32_e64 s[0:1], s5, v12
	s_or_b64 s[14:15], s[0:1], s[14:15]
	s_andn2_b64 exec, exec, s[14:15]
	s_cbranch_execz .LBB363_18
.LBB363_11:                             ; =>This Loop Header: Depth=1
                                        ;     Child Loop BB363_13 Depth 2
	v_ashrrev_i32_e32 v13, 31, v12
	v_lshlrev_b64 v[0:1], 2, v[12:13]
	v_add_co_u32_e64 v2, s[0:1], s16, v0
	v_addc_co_u32_e64 v3, s[0:1], v19, v1, s[0:1]
	v_add_co_u32_e64 v0, s[0:1], s18, v0
	v_addc_co_u32_e64 v1, s[0:1], v20, v1, s[0:1]
	global_load_dword v14, v[0:1], off
	global_load_dword v15, v[2:3], off
	v_pk_mov_b32 v[2:3], 0, 0
	v_pk_mov_b32 v[0:1], v[2:3], v[2:3] op_sel:[0,1]
	s_waitcnt vmcnt(1)
	v_subrev_u32_e32 v16, s24, v14
	s_waitcnt vmcnt(0)
	v_add_u32_e32 v14, v15, v18
	v_cmp_lt_i32_e64 s[0:1], v14, v16
	s_and_saveexec_b64 s[20:21], s[0:1]
	s_cbranch_execz .LBB363_15
; %bb.12:                               ;   in Loop: Header=BB363_11 Depth=1
	v_pk_mov_b32 v[2:3], 0, 0
	s_mov_b64 s[22:23], 0
	v_pk_mov_b32 v[0:1], v[2:3], v[2:3] op_sel:[0,1]
.LBB363_13:                             ;   Parent Loop BB363_11 Depth=1
                                        ; =>  This Inner Loop Header: Depth=2
	v_ashrrev_i32_e32 v15, 31, v14
	v_lshlrev_b64 v[22:23], 2, v[14:15]
	v_mov_b32_e32 v17, s9
	v_add_co_u32_e64 v22, s[0:1], s8, v22
	v_addc_co_u32_e64 v23, s[0:1], v17, v23, s[0:1]
	global_load_dword v22, v[22:23], off
	v_lshlrev_b64 v[24:25], 3, v[14:15]
	v_mov_b32_e32 v17, s11
	v_add_co_u32_e64 v24, s[0:1], s10, v24
	v_addc_co_u32_e64 v25, s[0:1], v17, v25, s[0:1]
	global_load_dwordx2 v[26:27], v[24:25], off
	v_mov_b32_e32 v21, s25
	v_add_u32_e32 v14, 2, v14
	s_waitcnt vmcnt(1)
	v_ashrrev_i32_e32 v23, 31, v22
	v_lshlrev_b64 v[22:23], 4, v[22:23]
	v_add_co_u32_e64 v22, s[0:1], s4, v22
	v_addc_co_u32_e64 v23, s[0:1], v21, v23, s[0:1]
	global_load_dwordx4 v[22:25], v[22:23], off
	s_waitcnt vmcnt(1)
	v_cndmask_b32_e64 v15, v27, -v27, s[6:7]
	v_cvt_f64_f32_e32 v[28:29], v15
	v_cvt_f64_f32_e32 v[26:27], v26
	v_mul_f64 v[30:31], -v[6:7], v[28:29]
	v_mul_f64 v[28:29], v[4:5], v[28:29]
	v_fmac_f64_e32 v[30:31], v[4:5], v[26:27]
	v_fmac_f64_e32 v[28:29], v[6:7], v[26:27]
	v_cmp_ge_i32_e64 s[0:1], v14, v16
	s_or_b64 s[22:23], s[0:1], s[22:23]
	s_waitcnt vmcnt(0)
	v_fmac_f64_e32 v[0:1], v[30:31], v[22:23]
	v_fmac_f64_e32 v[2:3], v[28:29], v[22:23]
	v_fma_f64 v[0:1], -v[28:29], v[24:25], v[0:1]
	v_fmac_f64_e32 v[2:3], v[30:31], v[24:25]
	s_andn2_b64 exec, exec, s[22:23]
	s_cbranch_execnz .LBB363_13
; %bb.14:                               ;   in Loop: Header=BB363_11 Depth=1
	s_or_b64 exec, exec, s[22:23]
.LBB363_15:                             ;   in Loop: Header=BB363_11 Depth=1
	s_or_b64 exec, exec, s[20:21]
	v_mov_b32_dpp v16, v0 row_shr:1 row_mask:0xf bank_mask:0xf
	v_mov_b32_dpp v17, v1 row_shr:1 row_mask:0xf bank_mask:0xf
	;; [unrolled: 1-line block ×4, first 2 shown]
	s_and_saveexec_b64 s[20:21], vcc
	s_cbranch_execz .LBB363_10
; %bb.16:                               ;   in Loop: Header=BB363_11 Depth=1
	v_add_f64 v[2:3], v[2:3], v[14:15]
	v_lshlrev_b64 v[14:15], 4, v[12:13]
	v_mov_b32_e32 v13, s13
	v_add_co_u32_e64 v14, s[0:1], s12, v14
	v_add_f64 v[0:1], v[0:1], v[16:17]
	v_addc_co_u32_e64 v15, s[0:1], v13, v15, s[0:1]
	s_and_saveexec_b64 s[0:1], s[2:3]
	s_cbranch_execz .LBB363_9
; %bb.17:                               ;   in Loop: Header=BB363_11 Depth=1
	global_load_dwordx4 v[22:25], v[14:15], off
	s_waitcnt vmcnt(0)
	v_fmac_f64_e32 v[0:1], v[8:9], v[22:23]
	v_fmac_f64_e32 v[2:3], v[10:11], v[22:23]
	v_fma_f64 v[0:1], -v[10:11], v[24:25], v[0:1]
	v_fmac_f64_e32 v[2:3], v[8:9], v[24:25]
	s_branch .LBB363_9
.LBB363_18:
	s_endpgm
	.section	.rodata,"a",@progbits
	.p2align	6, 0x0
	.amdhsa_kernel _ZN9rocsparseL21csrmvn_general_kernelILj256ELj2Eii21rocsparse_complex_numIfES1_IdES3_S3_EEvbT2_NS_24const_host_device_scalarIT6_EEPKT1_SA_PKS4_PKT3_PKT4_S7_PT5_21rocsparse_index_base_b
		.amdhsa_group_segment_fixed_size 4096
		.amdhsa_private_segment_fixed_size 0
		.amdhsa_kernarg_size 352
		.amdhsa_user_sgpr_count 8
		.amdhsa_user_sgpr_private_segment_buffer 1
		.amdhsa_user_sgpr_dispatch_ptr 1
		.amdhsa_user_sgpr_queue_ptr 0
		.amdhsa_user_sgpr_kernarg_segment_ptr 1
		.amdhsa_user_sgpr_dispatch_id 0
		.amdhsa_user_sgpr_flat_scratch_init 0
		.amdhsa_user_sgpr_kernarg_preload_length 0
		.amdhsa_user_sgpr_kernarg_preload_offset 0
		.amdhsa_user_sgpr_private_segment_size 0
		.amdhsa_uses_dynamic_stack 0
		.amdhsa_system_sgpr_private_segment_wavefront_offset 0
		.amdhsa_system_sgpr_workgroup_id_x 1
		.amdhsa_system_sgpr_workgroup_id_y 0
		.amdhsa_system_sgpr_workgroup_id_z 0
		.amdhsa_system_sgpr_workgroup_info 0
		.amdhsa_system_vgpr_workitem_id 2
		.amdhsa_next_free_vgpr 32
		.amdhsa_next_free_sgpr 27
		.amdhsa_accum_offset 32
		.amdhsa_reserve_vcc 1
		.amdhsa_reserve_flat_scratch 0
		.amdhsa_float_round_mode_32 0
		.amdhsa_float_round_mode_16_64 0
		.amdhsa_float_denorm_mode_32 3
		.amdhsa_float_denorm_mode_16_64 3
		.amdhsa_dx10_clamp 1
		.amdhsa_ieee_mode 1
		.amdhsa_fp16_overflow 0
		.amdhsa_tg_split 0
		.amdhsa_exception_fp_ieee_invalid_op 0
		.amdhsa_exception_fp_denorm_src 0
		.amdhsa_exception_fp_ieee_div_zero 0
		.amdhsa_exception_fp_ieee_overflow 0
		.amdhsa_exception_fp_ieee_underflow 0
		.amdhsa_exception_fp_ieee_inexact 0
		.amdhsa_exception_int_div_zero 0
	.end_amdhsa_kernel
	.section	.text._ZN9rocsparseL21csrmvn_general_kernelILj256ELj2Eii21rocsparse_complex_numIfES1_IdES3_S3_EEvbT2_NS_24const_host_device_scalarIT6_EEPKT1_SA_PKS4_PKT3_PKT4_S7_PT5_21rocsparse_index_base_b,"axG",@progbits,_ZN9rocsparseL21csrmvn_general_kernelILj256ELj2Eii21rocsparse_complex_numIfES1_IdES3_S3_EEvbT2_NS_24const_host_device_scalarIT6_EEPKT1_SA_PKS4_PKT3_PKT4_S7_PT5_21rocsparse_index_base_b,comdat
.Lfunc_end363:
	.size	_ZN9rocsparseL21csrmvn_general_kernelILj256ELj2Eii21rocsparse_complex_numIfES1_IdES3_S3_EEvbT2_NS_24const_host_device_scalarIT6_EEPKT1_SA_PKS4_PKT3_PKT4_S7_PT5_21rocsparse_index_base_b, .Lfunc_end363-_ZN9rocsparseL21csrmvn_general_kernelILj256ELj2Eii21rocsparse_complex_numIfES1_IdES3_S3_EEvbT2_NS_24const_host_device_scalarIT6_EEPKT1_SA_PKS4_PKT3_PKT4_S7_PT5_21rocsparse_index_base_b
                                        ; -- End function
	.section	.AMDGPU.csdata,"",@progbits
; Kernel info:
; codeLenInByte = 992
; NumSgprs: 31
; NumVgprs: 32
; NumAgprs: 0
; TotalNumVgprs: 32
; ScratchSize: 0
; MemoryBound: 0
; FloatMode: 240
; IeeeMode: 1
; LDSByteSize: 4096 bytes/workgroup (compile time only)
; SGPRBlocks: 3
; VGPRBlocks: 3
; NumSGPRsForWavesPerEU: 31
; NumVGPRsForWavesPerEU: 32
; AccumOffset: 32
; Occupancy: 8
; WaveLimiterHint : 1
; COMPUTE_PGM_RSRC2:SCRATCH_EN: 0
; COMPUTE_PGM_RSRC2:USER_SGPR: 8
; COMPUTE_PGM_RSRC2:TRAP_HANDLER: 0
; COMPUTE_PGM_RSRC2:TGID_X_EN: 1
; COMPUTE_PGM_RSRC2:TGID_Y_EN: 0
; COMPUTE_PGM_RSRC2:TGID_Z_EN: 0
; COMPUTE_PGM_RSRC2:TIDIG_COMP_CNT: 2
; COMPUTE_PGM_RSRC3_GFX90A:ACCUM_OFFSET: 7
; COMPUTE_PGM_RSRC3_GFX90A:TG_SPLIT: 0
	.section	.text._ZN9rocsparseL21csrmvn_general_kernelILj256ELj4Eii21rocsparse_complex_numIfES1_IdES3_S3_EEvbT2_NS_24const_host_device_scalarIT6_EEPKT1_SA_PKS4_PKT3_PKT4_S7_PT5_21rocsparse_index_base_b,"axG",@progbits,_ZN9rocsparseL21csrmvn_general_kernelILj256ELj4Eii21rocsparse_complex_numIfES1_IdES3_S3_EEvbT2_NS_24const_host_device_scalarIT6_EEPKT1_SA_PKS4_PKT3_PKT4_S7_PT5_21rocsparse_index_base_b,comdat
	.globl	_ZN9rocsparseL21csrmvn_general_kernelILj256ELj4Eii21rocsparse_complex_numIfES1_IdES3_S3_EEvbT2_NS_24const_host_device_scalarIT6_EEPKT1_SA_PKS4_PKT3_PKT4_S7_PT5_21rocsparse_index_base_b ; -- Begin function _ZN9rocsparseL21csrmvn_general_kernelILj256ELj4Eii21rocsparse_complex_numIfES1_IdES3_S3_EEvbT2_NS_24const_host_device_scalarIT6_EEPKT1_SA_PKS4_PKT3_PKT4_S7_PT5_21rocsparse_index_base_b
	.p2align	8
	.type	_ZN9rocsparseL21csrmvn_general_kernelILj256ELj4Eii21rocsparse_complex_numIfES1_IdES3_S3_EEvbT2_NS_24const_host_device_scalarIT6_EEPKT1_SA_PKS4_PKT3_PKT4_S7_PT5_21rocsparse_index_base_b,@function
_ZN9rocsparseL21csrmvn_general_kernelILj256ELj4Eii21rocsparse_complex_numIfES1_IdES3_S3_EEvbT2_NS_24const_host_device_scalarIT6_EEPKT1_SA_PKS4_PKT3_PKT4_S7_PT5_21rocsparse_index_base_b: ; @_ZN9rocsparseL21csrmvn_general_kernelILj256ELj4Eii21rocsparse_complex_numIfES1_IdES3_S3_EEvbT2_NS_24const_host_device_scalarIT6_EEPKT1_SA_PKS4_PKT3_PKT4_S7_PT5_21rocsparse_index_base_b
; %bb.0:
	s_load_dwordx2 s[24:25], s[6:7], 0x58
	s_load_dwordx8 s[12:19], s[6:7], 0x8
	s_load_dwordx4 s[20:23], s[6:7], 0x40
	s_mov_b64 s[2:3], src_shared_base
	s_load_dwordx2 s[4:5], s[4:5], 0x4
	s_waitcnt lgkmcnt(0)
	s_bitcmp1_b32 s25, 0
	s_cselect_b64 s[0:1], -1, 0
	s_and_b64 vcc, s[0:1], exec
	s_cselect_b32 s2, s3, s13
	s_lshr_b32 s4, s4, 16
	v_and_b32_e32 v1, 0x3ff, v0
	s_mul_i32 s4, s4, s5
	v_mul_lo_u32 v2, s4, v1
	v_bfe_u32 v3, v0, 10, 10
	v_mad_u32_u24 v2, v3, s5, v2
	v_bfe_u32 v0, v0, 20, 10
	v_add_lshl_u32 v0, v2, v0, 3
	v_mov_b32_e32 v6, s12
	v_add_u32_e32 v7, 0x800, v0
	v_pk_mov_b32 v[2:3], s[12:13], s[12:13] op_sel:[0,1]
	v_pk_mov_b32 v[4:5], s[20:21], s[20:21] op_sel:[0,1]
	ds_write2st64_b64 v0, v[4:5], v[2:3] offset1:4
	v_cndmask_b32_e64 v2, v6, v7, s[0:1]
	v_mov_b32_e32 v3, s2
	flat_load_dwordx2 v[4:5], v[2:3]
	s_xor_b64 s[4:5], s[0:1], -1
	v_pk_mov_b32 v[6:7], s[14:15], s[14:15] op_sel:[0,1]
	s_cbranch_vccnz .LBB364_2
; %bb.1:
	v_pk_mov_b32 v[2:3], s[12:13], s[12:13] op_sel:[0,1]
	flat_load_dwordx2 v[6:7], v[2:3] offset:8
.LBB364_2:
	s_and_b64 s[10:11], s[0:1], exec
	s_cselect_b32 s2, s3, s21
	v_mov_b32_e32 v2, s20
	v_cndmask_b32_e64 v2, v2, v0, s[0:1]
	v_mov_b32_e32 v3, s2
	flat_load_dwordx2 v[8:9], v[2:3]
	s_andn2_b64 vcc, exec, s[4:5]
	v_pk_mov_b32 v[10:11], s[22:23], s[22:23] op_sel:[0,1]
	s_cbranch_vccnz .LBB364_4
; %bb.3:
	v_pk_mov_b32 v[2:3], s[20:21], s[20:21] op_sel:[0,1]
	flat_load_dwordx2 v[10:11], v[2:3] offset:8
.LBB364_4:
	s_waitcnt vmcnt(0) lgkmcnt(0)
	v_cmp_eq_f64_e32 vcc, 0, v[4:5]
	v_cmp_eq_f64_e64 s[0:1], 0, v[6:7]
	s_and_b64 s[4:5], vcc, s[0:1]
	s_mov_b64 s[0:1], -1
	s_and_saveexec_b64 s[2:3], s[4:5]
; %bb.5:
	v_cmp_neq_f64_e32 vcc, 1.0, v[8:9]
	v_cmp_neq_f64_e64 s[0:1], 0, v[10:11]
	s_or_b64 s[0:1], vcc, s[0:1]
	s_orn2_b64 s[0:1], s[0:1], exec
; %bb.6:
	s_or_b64 exec, exec, s[2:3]
	s_and_saveexec_b64 s[2:3], s[0:1]
	s_cbranch_execz .LBB364_18
; %bb.7:
	s_load_dwordx2 s[4:5], s[6:7], 0x0
	v_lshl_or_b32 v0, s8, 8, v1
	v_lshrrev_b32_e32 v12, 2, v0
	s_waitcnt lgkmcnt(0)
	v_cmp_gt_i32_e32 vcc, s5, v12
	s_and_b64 exec, exec, vcc
	s_cbranch_execz .LBB364_18
; %bb.8:
	s_load_dword s2, s[6:7], 0x60
	s_load_dwordx2 s[12:13], s[6:7], 0x50
	s_load_dwordx4 s[8:11], s[6:7], 0x28
	s_load_dwordx2 s[0:1], s[6:7], 0x38
	v_and_b32_e32 v0, 3, v1
	s_waitcnt lgkmcnt(0)
	s_lshl_b32 s26, s2, 6
	s_bitcmp1_b32 s4, 0
	s_cselect_b64 s[6:7], -1, 0
	s_ashr_i32 s25, s24, 31
	s_lshl_b64 s[2:3], s[24:25], 4
	s_sub_u32 s4, s0, s2
	s_subb_u32 s25, s1, s3
	v_cmp_neq_f64_e64 s[0:1], 0, v[8:9]
	v_cmp_neq_f64_e64 s[2:3], 0, v[10:11]
	v_subrev_u32_e32 v20, s24, v0
	v_cmp_eq_u32_e32 vcc, 3, v0
	s_mov_b64 s[14:15], 0
	s_or_b64 s[2:3], s[0:1], s[2:3]
	v_mov_b32_e32 v21, s17
	v_mov_b32_e32 v22, s19
	s_branch .LBB364_11
.LBB364_9:                              ;   in Loop: Header=BB364_11 Depth=1
	s_or_b64 exec, exec, s[0:1]
	global_store_dwordx4 v[14:15], v[0:3], off
.LBB364_10:                             ;   in Loop: Header=BB364_11 Depth=1
	s_or_b64 exec, exec, s[20:21]
	v_add_u32_e32 v12, s26, v12
	v_cmp_le_i32_e64 s[0:1], s5, v12
	s_or_b64 s[14:15], s[0:1], s[14:15]
	s_andn2_b64 exec, exec, s[14:15]
	s_cbranch_execz .LBB364_18
.LBB364_11:                             ; =>This Loop Header: Depth=1
                                        ;     Child Loop BB364_13 Depth 2
	v_ashrrev_i32_e32 v13, 31, v12
	v_lshlrev_b64 v[0:1], 2, v[12:13]
	v_add_co_u32_e64 v2, s[0:1], s16, v0
	v_addc_co_u32_e64 v3, s[0:1], v21, v1, s[0:1]
	v_add_co_u32_e64 v0, s[0:1], s18, v0
	v_addc_co_u32_e64 v1, s[0:1], v22, v1, s[0:1]
	global_load_dword v14, v[0:1], off
	global_load_dword v15, v[2:3], off
	v_pk_mov_b32 v[0:1], 0, 0
	v_pk_mov_b32 v[2:3], v[0:1], v[0:1] op_sel:[0,1]
	s_waitcnt vmcnt(1)
	v_subrev_u32_e32 v16, s24, v14
	s_waitcnt vmcnt(0)
	v_add_u32_e32 v14, v15, v20
	v_cmp_lt_i32_e64 s[0:1], v14, v16
	s_and_saveexec_b64 s[20:21], s[0:1]
	s_cbranch_execz .LBB364_15
; %bb.12:                               ;   in Loop: Header=BB364_11 Depth=1
	v_pk_mov_b32 v[0:1], 0, 0
	s_mov_b64 s[22:23], 0
	v_pk_mov_b32 v[2:3], v[0:1], v[0:1] op_sel:[0,1]
.LBB364_13:                             ;   Parent Loop BB364_11 Depth=1
                                        ; =>  This Inner Loop Header: Depth=2
	v_ashrrev_i32_e32 v15, 31, v14
	v_lshlrev_b64 v[18:19], 2, v[14:15]
	v_mov_b32_e32 v17, s9
	v_add_co_u32_e64 v18, s[0:1], s8, v18
	v_addc_co_u32_e64 v19, s[0:1], v17, v19, s[0:1]
	global_load_dword v18, v[18:19], off
	v_lshlrev_b64 v[24:25], 3, v[14:15]
	v_mov_b32_e32 v17, s11
	v_add_co_u32_e64 v24, s[0:1], s10, v24
	v_addc_co_u32_e64 v25, s[0:1], v17, v25, s[0:1]
	global_load_dwordx2 v[28:29], v[24:25], off
	v_mov_b32_e32 v23, s25
	v_add_u32_e32 v14, 4, v14
	s_waitcnt vmcnt(1)
	v_ashrrev_i32_e32 v19, 31, v18
	v_lshlrev_b64 v[18:19], 4, v[18:19]
	v_add_co_u32_e64 v18, s[0:1], s4, v18
	v_addc_co_u32_e64 v19, s[0:1], v23, v19, s[0:1]
	global_load_dwordx4 v[24:27], v[18:19], off
	s_waitcnt vmcnt(1)
	v_cndmask_b32_e64 v15, v29, -v29, s[6:7]
	v_cvt_f64_f32_e32 v[18:19], v28
	v_cvt_f64_f32_e32 v[28:29], v15
	v_mul_f64 v[30:31], -v[6:7], v[28:29]
	v_mul_f64 v[28:29], v[4:5], v[28:29]
	v_fmac_f64_e32 v[30:31], v[4:5], v[18:19]
	v_fmac_f64_e32 v[28:29], v[6:7], v[18:19]
	v_cmp_ge_i32_e64 s[0:1], v14, v16
	s_or_b64 s[22:23], s[0:1], s[22:23]
	s_waitcnt vmcnt(0)
	v_fmac_f64_e32 v[2:3], v[30:31], v[24:25]
	v_fmac_f64_e32 v[0:1], v[28:29], v[24:25]
	v_fma_f64 v[2:3], -v[28:29], v[26:27], v[2:3]
	v_fmac_f64_e32 v[0:1], v[30:31], v[26:27]
	s_andn2_b64 exec, exec, s[22:23]
	s_cbranch_execnz .LBB364_13
; %bb.14:                               ;   in Loop: Header=BB364_11 Depth=1
	s_or_b64 exec, exec, s[22:23]
.LBB364_15:                             ;   in Loop: Header=BB364_11 Depth=1
	s_or_b64 exec, exec, s[20:21]
	v_mov_b32_dpp v14, v2 row_shr:1 row_mask:0xf bank_mask:0xf
	v_mov_b32_dpp v15, v3 row_shr:1 row_mask:0xf bank_mask:0xf
	;; [unrolled: 1-line block ×4, first 2 shown]
	v_add_f64 v[2:3], v[2:3], v[14:15]
	v_add_f64 v[16:17], v[0:1], v[16:17]
	s_nop 0
	v_mov_b32_dpp v14, v2 row_shr:2 row_mask:0xf bank_mask:0xf
	v_mov_b32_dpp v15, v3 row_shr:2 row_mask:0xf bank_mask:0xf
	;; [unrolled: 1-line block ×4, first 2 shown]
	s_and_saveexec_b64 s[20:21], vcc
	s_cbranch_execz .LBB364_10
; %bb.16:                               ;   in Loop: Header=BB364_11 Depth=1
	v_add_f64 v[0:1], v[2:3], v[14:15]
	v_lshlrev_b64 v[14:15], 4, v[12:13]
	v_mov_b32_e32 v13, s13
	v_add_co_u32_e64 v14, s[0:1], s12, v14
	v_add_f64 v[2:3], v[16:17], v[18:19]
	v_addc_co_u32_e64 v15, s[0:1], v13, v15, s[0:1]
	s_and_saveexec_b64 s[0:1], s[2:3]
	s_cbranch_execz .LBB364_9
; %bb.17:                               ;   in Loop: Header=BB364_11 Depth=1
	global_load_dwordx4 v[16:19], v[14:15], off
	s_waitcnt vmcnt(0)
	v_fmac_f64_e32 v[0:1], v[8:9], v[16:17]
	v_fmac_f64_e32 v[2:3], v[10:11], v[16:17]
	v_fma_f64 v[0:1], -v[10:11], v[18:19], v[0:1]
	v_fmac_f64_e32 v[2:3], v[8:9], v[18:19]
	s_branch .LBB364_9
.LBB364_18:
	s_endpgm
	.section	.rodata,"a",@progbits
	.p2align	6, 0x0
	.amdhsa_kernel _ZN9rocsparseL21csrmvn_general_kernelILj256ELj4Eii21rocsparse_complex_numIfES1_IdES3_S3_EEvbT2_NS_24const_host_device_scalarIT6_EEPKT1_SA_PKS4_PKT3_PKT4_S7_PT5_21rocsparse_index_base_b
		.amdhsa_group_segment_fixed_size 4096
		.amdhsa_private_segment_fixed_size 0
		.amdhsa_kernarg_size 352
		.amdhsa_user_sgpr_count 8
		.amdhsa_user_sgpr_private_segment_buffer 1
		.amdhsa_user_sgpr_dispatch_ptr 1
		.amdhsa_user_sgpr_queue_ptr 0
		.amdhsa_user_sgpr_kernarg_segment_ptr 1
		.amdhsa_user_sgpr_dispatch_id 0
		.amdhsa_user_sgpr_flat_scratch_init 0
		.amdhsa_user_sgpr_kernarg_preload_length 0
		.amdhsa_user_sgpr_kernarg_preload_offset 0
		.amdhsa_user_sgpr_private_segment_size 0
		.amdhsa_uses_dynamic_stack 0
		.amdhsa_system_sgpr_private_segment_wavefront_offset 0
		.amdhsa_system_sgpr_workgroup_id_x 1
		.amdhsa_system_sgpr_workgroup_id_y 0
		.amdhsa_system_sgpr_workgroup_id_z 0
		.amdhsa_system_sgpr_workgroup_info 0
		.amdhsa_system_vgpr_workitem_id 2
		.amdhsa_next_free_vgpr 32
		.amdhsa_next_free_sgpr 27
		.amdhsa_accum_offset 32
		.amdhsa_reserve_vcc 1
		.amdhsa_reserve_flat_scratch 0
		.amdhsa_float_round_mode_32 0
		.amdhsa_float_round_mode_16_64 0
		.amdhsa_float_denorm_mode_32 3
		.amdhsa_float_denorm_mode_16_64 3
		.amdhsa_dx10_clamp 1
		.amdhsa_ieee_mode 1
		.amdhsa_fp16_overflow 0
		.amdhsa_tg_split 0
		.amdhsa_exception_fp_ieee_invalid_op 0
		.amdhsa_exception_fp_denorm_src 0
		.amdhsa_exception_fp_ieee_div_zero 0
		.amdhsa_exception_fp_ieee_overflow 0
		.amdhsa_exception_fp_ieee_underflow 0
		.amdhsa_exception_fp_ieee_inexact 0
		.amdhsa_exception_int_div_zero 0
	.end_amdhsa_kernel
	.section	.text._ZN9rocsparseL21csrmvn_general_kernelILj256ELj4Eii21rocsparse_complex_numIfES1_IdES3_S3_EEvbT2_NS_24const_host_device_scalarIT6_EEPKT1_SA_PKS4_PKT3_PKT4_S7_PT5_21rocsparse_index_base_b,"axG",@progbits,_ZN9rocsparseL21csrmvn_general_kernelILj256ELj4Eii21rocsparse_complex_numIfES1_IdES3_S3_EEvbT2_NS_24const_host_device_scalarIT6_EEPKT1_SA_PKS4_PKT3_PKT4_S7_PT5_21rocsparse_index_base_b,comdat
.Lfunc_end364:
	.size	_ZN9rocsparseL21csrmvn_general_kernelILj256ELj4Eii21rocsparse_complex_numIfES1_IdES3_S3_EEvbT2_NS_24const_host_device_scalarIT6_EEPKT1_SA_PKS4_PKT3_PKT4_S7_PT5_21rocsparse_index_base_b, .Lfunc_end364-_ZN9rocsparseL21csrmvn_general_kernelILj256ELj4Eii21rocsparse_complex_numIfES1_IdES3_S3_EEvbT2_NS_24const_host_device_scalarIT6_EEPKT1_SA_PKS4_PKT3_PKT4_S7_PT5_21rocsparse_index_base_b
                                        ; -- End function
	.section	.AMDGPU.csdata,"",@progbits
; Kernel info:
; codeLenInByte = 1044
; NumSgprs: 31
; NumVgprs: 32
; NumAgprs: 0
; TotalNumVgprs: 32
; ScratchSize: 0
; MemoryBound: 0
; FloatMode: 240
; IeeeMode: 1
; LDSByteSize: 4096 bytes/workgroup (compile time only)
; SGPRBlocks: 3
; VGPRBlocks: 3
; NumSGPRsForWavesPerEU: 31
; NumVGPRsForWavesPerEU: 32
; AccumOffset: 32
; Occupancy: 8
; WaveLimiterHint : 1
; COMPUTE_PGM_RSRC2:SCRATCH_EN: 0
; COMPUTE_PGM_RSRC2:USER_SGPR: 8
; COMPUTE_PGM_RSRC2:TRAP_HANDLER: 0
; COMPUTE_PGM_RSRC2:TGID_X_EN: 1
; COMPUTE_PGM_RSRC2:TGID_Y_EN: 0
; COMPUTE_PGM_RSRC2:TGID_Z_EN: 0
; COMPUTE_PGM_RSRC2:TIDIG_COMP_CNT: 2
; COMPUTE_PGM_RSRC3_GFX90A:ACCUM_OFFSET: 7
; COMPUTE_PGM_RSRC3_GFX90A:TG_SPLIT: 0
	.section	.text._ZN9rocsparseL21csrmvn_general_kernelILj256ELj8Eii21rocsparse_complex_numIfES1_IdES3_S3_EEvbT2_NS_24const_host_device_scalarIT6_EEPKT1_SA_PKS4_PKT3_PKT4_S7_PT5_21rocsparse_index_base_b,"axG",@progbits,_ZN9rocsparseL21csrmvn_general_kernelILj256ELj8Eii21rocsparse_complex_numIfES1_IdES3_S3_EEvbT2_NS_24const_host_device_scalarIT6_EEPKT1_SA_PKS4_PKT3_PKT4_S7_PT5_21rocsparse_index_base_b,comdat
	.globl	_ZN9rocsparseL21csrmvn_general_kernelILj256ELj8Eii21rocsparse_complex_numIfES1_IdES3_S3_EEvbT2_NS_24const_host_device_scalarIT6_EEPKT1_SA_PKS4_PKT3_PKT4_S7_PT5_21rocsparse_index_base_b ; -- Begin function _ZN9rocsparseL21csrmvn_general_kernelILj256ELj8Eii21rocsparse_complex_numIfES1_IdES3_S3_EEvbT2_NS_24const_host_device_scalarIT6_EEPKT1_SA_PKS4_PKT3_PKT4_S7_PT5_21rocsparse_index_base_b
	.p2align	8
	.type	_ZN9rocsparseL21csrmvn_general_kernelILj256ELj8Eii21rocsparse_complex_numIfES1_IdES3_S3_EEvbT2_NS_24const_host_device_scalarIT6_EEPKT1_SA_PKS4_PKT3_PKT4_S7_PT5_21rocsparse_index_base_b,@function
_ZN9rocsparseL21csrmvn_general_kernelILj256ELj8Eii21rocsparse_complex_numIfES1_IdES3_S3_EEvbT2_NS_24const_host_device_scalarIT6_EEPKT1_SA_PKS4_PKT3_PKT4_S7_PT5_21rocsparse_index_base_b: ; @_ZN9rocsparseL21csrmvn_general_kernelILj256ELj8Eii21rocsparse_complex_numIfES1_IdES3_S3_EEvbT2_NS_24const_host_device_scalarIT6_EEPKT1_SA_PKS4_PKT3_PKT4_S7_PT5_21rocsparse_index_base_b
; %bb.0:
	s_load_dwordx2 s[24:25], s[6:7], 0x58
	s_load_dwordx8 s[12:19], s[6:7], 0x8
	s_load_dwordx4 s[20:23], s[6:7], 0x40
	s_mov_b64 s[2:3], src_shared_base
	s_load_dwordx2 s[4:5], s[4:5], 0x4
	s_waitcnt lgkmcnt(0)
	s_bitcmp1_b32 s25, 0
	s_cselect_b64 s[0:1], -1, 0
	s_and_b64 vcc, s[0:1], exec
	s_cselect_b32 s2, s3, s13
	s_lshr_b32 s4, s4, 16
	v_and_b32_e32 v1, 0x3ff, v0
	s_mul_i32 s4, s4, s5
	v_mul_lo_u32 v2, s4, v1
	v_bfe_u32 v3, v0, 10, 10
	v_mad_u32_u24 v2, v3, s5, v2
	v_bfe_u32 v0, v0, 20, 10
	v_add_lshl_u32 v0, v2, v0, 3
	v_mov_b32_e32 v6, s12
	v_add_u32_e32 v7, 0x800, v0
	v_pk_mov_b32 v[2:3], s[12:13], s[12:13] op_sel:[0,1]
	v_pk_mov_b32 v[4:5], s[20:21], s[20:21] op_sel:[0,1]
	ds_write2st64_b64 v0, v[4:5], v[2:3] offset1:4
	v_cndmask_b32_e64 v2, v6, v7, s[0:1]
	v_mov_b32_e32 v3, s2
	flat_load_dwordx2 v[4:5], v[2:3]
	s_xor_b64 s[4:5], s[0:1], -1
	v_pk_mov_b32 v[6:7], s[14:15], s[14:15] op_sel:[0,1]
	s_cbranch_vccnz .LBB365_2
; %bb.1:
	v_pk_mov_b32 v[2:3], s[12:13], s[12:13] op_sel:[0,1]
	flat_load_dwordx2 v[6:7], v[2:3] offset:8
.LBB365_2:
	s_and_b64 s[10:11], s[0:1], exec
	s_cselect_b32 s2, s3, s21
	v_mov_b32_e32 v2, s20
	v_cndmask_b32_e64 v2, v2, v0, s[0:1]
	v_mov_b32_e32 v3, s2
	flat_load_dwordx2 v[8:9], v[2:3]
	s_andn2_b64 vcc, exec, s[4:5]
	v_pk_mov_b32 v[10:11], s[22:23], s[22:23] op_sel:[0,1]
	s_cbranch_vccnz .LBB365_4
; %bb.3:
	v_pk_mov_b32 v[2:3], s[20:21], s[20:21] op_sel:[0,1]
	flat_load_dwordx2 v[10:11], v[2:3] offset:8
.LBB365_4:
	s_waitcnt vmcnt(0) lgkmcnt(0)
	v_cmp_eq_f64_e32 vcc, 0, v[4:5]
	v_cmp_eq_f64_e64 s[0:1], 0, v[6:7]
	s_and_b64 s[4:5], vcc, s[0:1]
	s_mov_b64 s[0:1], -1
	s_and_saveexec_b64 s[2:3], s[4:5]
; %bb.5:
	v_cmp_neq_f64_e32 vcc, 1.0, v[8:9]
	v_cmp_neq_f64_e64 s[0:1], 0, v[10:11]
	s_or_b64 s[0:1], vcc, s[0:1]
	s_orn2_b64 s[0:1], s[0:1], exec
; %bb.6:
	s_or_b64 exec, exec, s[2:3]
	s_and_saveexec_b64 s[2:3], s[0:1]
	s_cbranch_execz .LBB365_18
; %bb.7:
	s_load_dwordx2 s[4:5], s[6:7], 0x0
	v_lshl_or_b32 v0, s8, 8, v1
	v_lshrrev_b32_e32 v12, 3, v0
	s_waitcnt lgkmcnt(0)
	v_cmp_gt_i32_e32 vcc, s5, v12
	s_and_b64 exec, exec, vcc
	s_cbranch_execz .LBB365_18
; %bb.8:
	s_load_dword s2, s[6:7], 0x60
	s_load_dwordx2 s[12:13], s[6:7], 0x50
	s_load_dwordx4 s[8:11], s[6:7], 0x28
	s_load_dwordx2 s[0:1], s[6:7], 0x38
	v_and_b32_e32 v0, 7, v1
	s_waitcnt lgkmcnt(0)
	s_lshl_b32 s26, s2, 5
	s_bitcmp1_b32 s4, 0
	s_cselect_b64 s[6:7], -1, 0
	s_ashr_i32 s25, s24, 31
	s_lshl_b64 s[2:3], s[24:25], 4
	s_sub_u32 s4, s0, s2
	s_subb_u32 s25, s1, s3
	v_cmp_neq_f64_e64 s[0:1], 0, v[8:9]
	v_cmp_neq_f64_e64 s[2:3], 0, v[10:11]
	v_subrev_u32_e32 v20, s24, v0
	v_cmp_eq_u32_e32 vcc, 7, v0
	s_mov_b64 s[14:15], 0
	s_or_b64 s[2:3], s[0:1], s[2:3]
	v_mov_b32_e32 v21, s17
	v_mov_b32_e32 v22, s19
	s_branch .LBB365_11
.LBB365_9:                              ;   in Loop: Header=BB365_11 Depth=1
	s_or_b64 exec, exec, s[0:1]
	global_store_dwordx4 v[14:15], v[0:3], off
.LBB365_10:                             ;   in Loop: Header=BB365_11 Depth=1
	s_or_b64 exec, exec, s[20:21]
	v_add_u32_e32 v12, s26, v12
	v_cmp_le_i32_e64 s[0:1], s5, v12
	s_or_b64 s[14:15], s[0:1], s[14:15]
	s_andn2_b64 exec, exec, s[14:15]
	s_cbranch_execz .LBB365_18
.LBB365_11:                             ; =>This Loop Header: Depth=1
                                        ;     Child Loop BB365_13 Depth 2
	v_ashrrev_i32_e32 v13, 31, v12
	v_lshlrev_b64 v[0:1], 2, v[12:13]
	v_add_co_u32_e64 v2, s[0:1], s16, v0
	v_addc_co_u32_e64 v3, s[0:1], v21, v1, s[0:1]
	v_add_co_u32_e64 v0, s[0:1], s18, v0
	v_addc_co_u32_e64 v1, s[0:1], v22, v1, s[0:1]
	global_load_dword v14, v[0:1], off
	global_load_dword v15, v[2:3], off
	v_pk_mov_b32 v[0:1], 0, 0
	v_pk_mov_b32 v[2:3], v[0:1], v[0:1] op_sel:[0,1]
	s_waitcnt vmcnt(1)
	v_subrev_u32_e32 v16, s24, v14
	s_waitcnt vmcnt(0)
	v_add_u32_e32 v14, v15, v20
	v_cmp_lt_i32_e64 s[0:1], v14, v16
	s_and_saveexec_b64 s[20:21], s[0:1]
	s_cbranch_execz .LBB365_15
; %bb.12:                               ;   in Loop: Header=BB365_11 Depth=1
	v_pk_mov_b32 v[0:1], 0, 0
	s_mov_b64 s[22:23], 0
	v_pk_mov_b32 v[2:3], v[0:1], v[0:1] op_sel:[0,1]
.LBB365_13:                             ;   Parent Loop BB365_11 Depth=1
                                        ; =>  This Inner Loop Header: Depth=2
	v_ashrrev_i32_e32 v15, 31, v14
	v_lshlrev_b64 v[18:19], 2, v[14:15]
	v_mov_b32_e32 v17, s9
	v_add_co_u32_e64 v18, s[0:1], s8, v18
	v_addc_co_u32_e64 v19, s[0:1], v17, v19, s[0:1]
	global_load_dword v18, v[18:19], off
	v_lshlrev_b64 v[24:25], 3, v[14:15]
	v_mov_b32_e32 v17, s11
	v_add_co_u32_e64 v24, s[0:1], s10, v24
	v_addc_co_u32_e64 v25, s[0:1], v17, v25, s[0:1]
	global_load_dwordx2 v[28:29], v[24:25], off
	v_mov_b32_e32 v23, s25
	v_add_u32_e32 v14, 8, v14
	s_waitcnt vmcnt(1)
	v_ashrrev_i32_e32 v19, 31, v18
	v_lshlrev_b64 v[18:19], 4, v[18:19]
	v_add_co_u32_e64 v18, s[0:1], s4, v18
	v_addc_co_u32_e64 v19, s[0:1], v23, v19, s[0:1]
	global_load_dwordx4 v[24:27], v[18:19], off
	s_waitcnt vmcnt(1)
	v_cndmask_b32_e64 v15, v29, -v29, s[6:7]
	v_cvt_f64_f32_e32 v[18:19], v28
	v_cvt_f64_f32_e32 v[28:29], v15
	v_mul_f64 v[30:31], -v[6:7], v[28:29]
	v_mul_f64 v[28:29], v[4:5], v[28:29]
	v_fmac_f64_e32 v[30:31], v[4:5], v[18:19]
	v_fmac_f64_e32 v[28:29], v[6:7], v[18:19]
	v_cmp_ge_i32_e64 s[0:1], v14, v16
	s_or_b64 s[22:23], s[0:1], s[22:23]
	s_waitcnt vmcnt(0)
	v_fmac_f64_e32 v[2:3], v[30:31], v[24:25]
	v_fmac_f64_e32 v[0:1], v[28:29], v[24:25]
	v_fma_f64 v[2:3], -v[28:29], v[26:27], v[2:3]
	v_fmac_f64_e32 v[0:1], v[30:31], v[26:27]
	s_andn2_b64 exec, exec, s[22:23]
	s_cbranch_execnz .LBB365_13
; %bb.14:                               ;   in Loop: Header=BB365_11 Depth=1
	s_or_b64 exec, exec, s[22:23]
.LBB365_15:                             ;   in Loop: Header=BB365_11 Depth=1
	s_or_b64 exec, exec, s[20:21]
	v_mov_b32_dpp v14, v2 row_shr:1 row_mask:0xf bank_mask:0xf
	v_mov_b32_dpp v15, v3 row_shr:1 row_mask:0xf bank_mask:0xf
	v_mov_b32_dpp v16, v0 row_shr:1 row_mask:0xf bank_mask:0xf
	v_mov_b32_dpp v17, v1 row_shr:1 row_mask:0xf bank_mask:0xf
	v_add_f64 v[2:3], v[2:3], v[14:15]
	v_add_f64 v[0:1], v[0:1], v[16:17]
	s_nop 0
	v_mov_b32_dpp v14, v2 row_shr:2 row_mask:0xf bank_mask:0xf
	v_mov_b32_dpp v15, v3 row_shr:2 row_mask:0xf bank_mask:0xf
	;; [unrolled: 1-line block ×4, first 2 shown]
	v_add_f64 v[2:3], v[2:3], v[14:15]
	v_add_f64 v[16:17], v[0:1], v[16:17]
	s_nop 0
	v_mov_b32_dpp v14, v2 row_shr:4 row_mask:0xf bank_mask:0xe
	v_mov_b32_dpp v15, v3 row_shr:4 row_mask:0xf bank_mask:0xe
	;; [unrolled: 1-line block ×4, first 2 shown]
	s_and_saveexec_b64 s[20:21], vcc
	s_cbranch_execz .LBB365_10
; %bb.16:                               ;   in Loop: Header=BB365_11 Depth=1
	v_add_f64 v[0:1], v[2:3], v[14:15]
	v_lshlrev_b64 v[14:15], 4, v[12:13]
	v_mov_b32_e32 v13, s13
	v_add_co_u32_e64 v14, s[0:1], s12, v14
	v_add_f64 v[2:3], v[16:17], v[18:19]
	v_addc_co_u32_e64 v15, s[0:1], v13, v15, s[0:1]
	s_and_saveexec_b64 s[0:1], s[2:3]
	s_cbranch_execz .LBB365_9
; %bb.17:                               ;   in Loop: Header=BB365_11 Depth=1
	global_load_dwordx4 v[16:19], v[14:15], off
	s_waitcnt vmcnt(0)
	v_fmac_f64_e32 v[0:1], v[8:9], v[16:17]
	v_fmac_f64_e32 v[2:3], v[10:11], v[16:17]
	v_fma_f64 v[0:1], -v[10:11], v[18:19], v[0:1]
	v_fmac_f64_e32 v[2:3], v[8:9], v[18:19]
	s_branch .LBB365_9
.LBB365_18:
	s_endpgm
	.section	.rodata,"a",@progbits
	.p2align	6, 0x0
	.amdhsa_kernel _ZN9rocsparseL21csrmvn_general_kernelILj256ELj8Eii21rocsparse_complex_numIfES1_IdES3_S3_EEvbT2_NS_24const_host_device_scalarIT6_EEPKT1_SA_PKS4_PKT3_PKT4_S7_PT5_21rocsparse_index_base_b
		.amdhsa_group_segment_fixed_size 4096
		.amdhsa_private_segment_fixed_size 0
		.amdhsa_kernarg_size 352
		.amdhsa_user_sgpr_count 8
		.amdhsa_user_sgpr_private_segment_buffer 1
		.amdhsa_user_sgpr_dispatch_ptr 1
		.amdhsa_user_sgpr_queue_ptr 0
		.amdhsa_user_sgpr_kernarg_segment_ptr 1
		.amdhsa_user_sgpr_dispatch_id 0
		.amdhsa_user_sgpr_flat_scratch_init 0
		.amdhsa_user_sgpr_kernarg_preload_length 0
		.amdhsa_user_sgpr_kernarg_preload_offset 0
		.amdhsa_user_sgpr_private_segment_size 0
		.amdhsa_uses_dynamic_stack 0
		.amdhsa_system_sgpr_private_segment_wavefront_offset 0
		.amdhsa_system_sgpr_workgroup_id_x 1
		.amdhsa_system_sgpr_workgroup_id_y 0
		.amdhsa_system_sgpr_workgroup_id_z 0
		.amdhsa_system_sgpr_workgroup_info 0
		.amdhsa_system_vgpr_workitem_id 2
		.amdhsa_next_free_vgpr 32
		.amdhsa_next_free_sgpr 27
		.amdhsa_accum_offset 32
		.amdhsa_reserve_vcc 1
		.amdhsa_reserve_flat_scratch 0
		.amdhsa_float_round_mode_32 0
		.amdhsa_float_round_mode_16_64 0
		.amdhsa_float_denorm_mode_32 3
		.amdhsa_float_denorm_mode_16_64 3
		.amdhsa_dx10_clamp 1
		.amdhsa_ieee_mode 1
		.amdhsa_fp16_overflow 0
		.amdhsa_tg_split 0
		.amdhsa_exception_fp_ieee_invalid_op 0
		.amdhsa_exception_fp_denorm_src 0
		.amdhsa_exception_fp_ieee_div_zero 0
		.amdhsa_exception_fp_ieee_overflow 0
		.amdhsa_exception_fp_ieee_underflow 0
		.amdhsa_exception_fp_ieee_inexact 0
		.amdhsa_exception_int_div_zero 0
	.end_amdhsa_kernel
	.section	.text._ZN9rocsparseL21csrmvn_general_kernelILj256ELj8Eii21rocsparse_complex_numIfES1_IdES3_S3_EEvbT2_NS_24const_host_device_scalarIT6_EEPKT1_SA_PKS4_PKT3_PKT4_S7_PT5_21rocsparse_index_base_b,"axG",@progbits,_ZN9rocsparseL21csrmvn_general_kernelILj256ELj8Eii21rocsparse_complex_numIfES1_IdES3_S3_EEvbT2_NS_24const_host_device_scalarIT6_EEPKT1_SA_PKS4_PKT3_PKT4_S7_PT5_21rocsparse_index_base_b,comdat
.Lfunc_end365:
	.size	_ZN9rocsparseL21csrmvn_general_kernelILj256ELj8Eii21rocsparse_complex_numIfES1_IdES3_S3_EEvbT2_NS_24const_host_device_scalarIT6_EEPKT1_SA_PKS4_PKT3_PKT4_S7_PT5_21rocsparse_index_base_b, .Lfunc_end365-_ZN9rocsparseL21csrmvn_general_kernelILj256ELj8Eii21rocsparse_complex_numIfES1_IdES3_S3_EEvbT2_NS_24const_host_device_scalarIT6_EEPKT1_SA_PKS4_PKT3_PKT4_S7_PT5_21rocsparse_index_base_b
                                        ; -- End function
	.section	.AMDGPU.csdata,"",@progbits
; Kernel info:
; codeLenInByte = 1096
; NumSgprs: 31
; NumVgprs: 32
; NumAgprs: 0
; TotalNumVgprs: 32
; ScratchSize: 0
; MemoryBound: 0
; FloatMode: 240
; IeeeMode: 1
; LDSByteSize: 4096 bytes/workgroup (compile time only)
; SGPRBlocks: 3
; VGPRBlocks: 3
; NumSGPRsForWavesPerEU: 31
; NumVGPRsForWavesPerEU: 32
; AccumOffset: 32
; Occupancy: 8
; WaveLimiterHint : 1
; COMPUTE_PGM_RSRC2:SCRATCH_EN: 0
; COMPUTE_PGM_RSRC2:USER_SGPR: 8
; COMPUTE_PGM_RSRC2:TRAP_HANDLER: 0
; COMPUTE_PGM_RSRC2:TGID_X_EN: 1
; COMPUTE_PGM_RSRC2:TGID_Y_EN: 0
; COMPUTE_PGM_RSRC2:TGID_Z_EN: 0
; COMPUTE_PGM_RSRC2:TIDIG_COMP_CNT: 2
; COMPUTE_PGM_RSRC3_GFX90A:ACCUM_OFFSET: 7
; COMPUTE_PGM_RSRC3_GFX90A:TG_SPLIT: 0
	.section	.text._ZN9rocsparseL21csrmvn_general_kernelILj256ELj16Eii21rocsparse_complex_numIfES1_IdES3_S3_EEvbT2_NS_24const_host_device_scalarIT6_EEPKT1_SA_PKS4_PKT3_PKT4_S7_PT5_21rocsparse_index_base_b,"axG",@progbits,_ZN9rocsparseL21csrmvn_general_kernelILj256ELj16Eii21rocsparse_complex_numIfES1_IdES3_S3_EEvbT2_NS_24const_host_device_scalarIT6_EEPKT1_SA_PKS4_PKT3_PKT4_S7_PT5_21rocsparse_index_base_b,comdat
	.globl	_ZN9rocsparseL21csrmvn_general_kernelILj256ELj16Eii21rocsparse_complex_numIfES1_IdES3_S3_EEvbT2_NS_24const_host_device_scalarIT6_EEPKT1_SA_PKS4_PKT3_PKT4_S7_PT5_21rocsparse_index_base_b ; -- Begin function _ZN9rocsparseL21csrmvn_general_kernelILj256ELj16Eii21rocsparse_complex_numIfES1_IdES3_S3_EEvbT2_NS_24const_host_device_scalarIT6_EEPKT1_SA_PKS4_PKT3_PKT4_S7_PT5_21rocsparse_index_base_b
	.p2align	8
	.type	_ZN9rocsparseL21csrmvn_general_kernelILj256ELj16Eii21rocsparse_complex_numIfES1_IdES3_S3_EEvbT2_NS_24const_host_device_scalarIT6_EEPKT1_SA_PKS4_PKT3_PKT4_S7_PT5_21rocsparse_index_base_b,@function
_ZN9rocsparseL21csrmvn_general_kernelILj256ELj16Eii21rocsparse_complex_numIfES1_IdES3_S3_EEvbT2_NS_24const_host_device_scalarIT6_EEPKT1_SA_PKS4_PKT3_PKT4_S7_PT5_21rocsparse_index_base_b: ; @_ZN9rocsparseL21csrmvn_general_kernelILj256ELj16Eii21rocsparse_complex_numIfES1_IdES3_S3_EEvbT2_NS_24const_host_device_scalarIT6_EEPKT1_SA_PKS4_PKT3_PKT4_S7_PT5_21rocsparse_index_base_b
; %bb.0:
	s_load_dwordx2 s[24:25], s[6:7], 0x58
	s_load_dwordx8 s[12:19], s[6:7], 0x8
	s_load_dwordx4 s[20:23], s[6:7], 0x40
	s_mov_b64 s[2:3], src_shared_base
	s_load_dwordx2 s[4:5], s[4:5], 0x4
	s_waitcnt lgkmcnt(0)
	s_bitcmp1_b32 s25, 0
	s_cselect_b64 s[0:1], -1, 0
	s_and_b64 vcc, s[0:1], exec
	s_cselect_b32 s2, s3, s13
	s_lshr_b32 s4, s4, 16
	v_and_b32_e32 v1, 0x3ff, v0
	s_mul_i32 s4, s4, s5
	v_mul_lo_u32 v2, s4, v1
	v_bfe_u32 v3, v0, 10, 10
	v_mad_u32_u24 v2, v3, s5, v2
	v_bfe_u32 v0, v0, 20, 10
	v_add_lshl_u32 v0, v2, v0, 3
	v_mov_b32_e32 v6, s12
	v_add_u32_e32 v7, 0x800, v0
	v_pk_mov_b32 v[2:3], s[12:13], s[12:13] op_sel:[0,1]
	v_pk_mov_b32 v[4:5], s[20:21], s[20:21] op_sel:[0,1]
	ds_write2st64_b64 v0, v[4:5], v[2:3] offset1:4
	v_cndmask_b32_e64 v2, v6, v7, s[0:1]
	v_mov_b32_e32 v3, s2
	flat_load_dwordx2 v[4:5], v[2:3]
	s_xor_b64 s[4:5], s[0:1], -1
	v_pk_mov_b32 v[6:7], s[14:15], s[14:15] op_sel:[0,1]
	s_cbranch_vccnz .LBB366_2
; %bb.1:
	v_pk_mov_b32 v[2:3], s[12:13], s[12:13] op_sel:[0,1]
	flat_load_dwordx2 v[6:7], v[2:3] offset:8
.LBB366_2:
	s_and_b64 s[10:11], s[0:1], exec
	s_cselect_b32 s2, s3, s21
	v_mov_b32_e32 v2, s20
	v_cndmask_b32_e64 v2, v2, v0, s[0:1]
	v_mov_b32_e32 v3, s2
	flat_load_dwordx2 v[8:9], v[2:3]
	s_andn2_b64 vcc, exec, s[4:5]
	v_pk_mov_b32 v[10:11], s[22:23], s[22:23] op_sel:[0,1]
	s_cbranch_vccnz .LBB366_4
; %bb.3:
	v_pk_mov_b32 v[2:3], s[20:21], s[20:21] op_sel:[0,1]
	flat_load_dwordx2 v[10:11], v[2:3] offset:8
.LBB366_4:
	s_waitcnt vmcnt(0) lgkmcnt(0)
	v_cmp_eq_f64_e32 vcc, 0, v[4:5]
	v_cmp_eq_f64_e64 s[0:1], 0, v[6:7]
	s_and_b64 s[4:5], vcc, s[0:1]
	s_mov_b64 s[0:1], -1
	s_and_saveexec_b64 s[2:3], s[4:5]
; %bb.5:
	v_cmp_neq_f64_e32 vcc, 1.0, v[8:9]
	v_cmp_neq_f64_e64 s[0:1], 0, v[10:11]
	s_or_b64 s[0:1], vcc, s[0:1]
	s_orn2_b64 s[0:1], s[0:1], exec
; %bb.6:
	s_or_b64 exec, exec, s[2:3]
	s_and_saveexec_b64 s[2:3], s[0:1]
	s_cbranch_execz .LBB366_18
; %bb.7:
	s_load_dwordx2 s[4:5], s[6:7], 0x0
	v_lshl_or_b32 v0, s8, 8, v1
	v_lshrrev_b32_e32 v12, 4, v0
	s_waitcnt lgkmcnt(0)
	v_cmp_gt_i32_e32 vcc, s5, v12
	s_and_b64 exec, exec, vcc
	s_cbranch_execz .LBB366_18
; %bb.8:
	s_load_dword s2, s[6:7], 0x60
	s_load_dwordx2 s[12:13], s[6:7], 0x50
	s_load_dwordx4 s[8:11], s[6:7], 0x28
	s_load_dwordx2 s[0:1], s[6:7], 0x38
	v_and_b32_e32 v0, 15, v1
	s_waitcnt lgkmcnt(0)
	s_lshl_b32 s26, s2, 4
	s_bitcmp1_b32 s4, 0
	s_cselect_b64 s[6:7], -1, 0
	s_ashr_i32 s25, s24, 31
	s_lshl_b64 s[2:3], s[24:25], 4
	s_sub_u32 s4, s0, s2
	s_subb_u32 s25, s1, s3
	v_cmp_neq_f64_e64 s[0:1], 0, v[8:9]
	v_cmp_neq_f64_e64 s[2:3], 0, v[10:11]
	v_subrev_u32_e32 v20, s24, v0
	v_cmp_eq_u32_e32 vcc, 15, v0
	s_mov_b64 s[14:15], 0
	s_or_b64 s[2:3], s[0:1], s[2:3]
	v_mov_b32_e32 v21, s17
	v_mov_b32_e32 v22, s19
	s_branch .LBB366_11
.LBB366_9:                              ;   in Loop: Header=BB366_11 Depth=1
	s_or_b64 exec, exec, s[0:1]
	global_store_dwordx4 v[14:15], v[0:3], off
.LBB366_10:                             ;   in Loop: Header=BB366_11 Depth=1
	s_or_b64 exec, exec, s[20:21]
	v_add_u32_e32 v12, s26, v12
	v_cmp_le_i32_e64 s[0:1], s5, v12
	s_or_b64 s[14:15], s[0:1], s[14:15]
	s_andn2_b64 exec, exec, s[14:15]
	s_cbranch_execz .LBB366_18
.LBB366_11:                             ; =>This Loop Header: Depth=1
                                        ;     Child Loop BB366_13 Depth 2
	v_ashrrev_i32_e32 v13, 31, v12
	v_lshlrev_b64 v[0:1], 2, v[12:13]
	v_add_co_u32_e64 v2, s[0:1], s16, v0
	v_addc_co_u32_e64 v3, s[0:1], v21, v1, s[0:1]
	v_add_co_u32_e64 v0, s[0:1], s18, v0
	v_addc_co_u32_e64 v1, s[0:1], v22, v1, s[0:1]
	global_load_dword v14, v[0:1], off
	global_load_dword v15, v[2:3], off
	v_pk_mov_b32 v[0:1], 0, 0
	v_pk_mov_b32 v[2:3], v[0:1], v[0:1] op_sel:[0,1]
	s_waitcnt vmcnt(1)
	v_subrev_u32_e32 v16, s24, v14
	s_waitcnt vmcnt(0)
	v_add_u32_e32 v14, v15, v20
	v_cmp_lt_i32_e64 s[0:1], v14, v16
	s_and_saveexec_b64 s[20:21], s[0:1]
	s_cbranch_execz .LBB366_15
; %bb.12:                               ;   in Loop: Header=BB366_11 Depth=1
	v_pk_mov_b32 v[0:1], 0, 0
	s_mov_b64 s[22:23], 0
	v_pk_mov_b32 v[2:3], v[0:1], v[0:1] op_sel:[0,1]
.LBB366_13:                             ;   Parent Loop BB366_11 Depth=1
                                        ; =>  This Inner Loop Header: Depth=2
	v_ashrrev_i32_e32 v15, 31, v14
	v_lshlrev_b64 v[18:19], 2, v[14:15]
	v_mov_b32_e32 v17, s9
	v_add_co_u32_e64 v18, s[0:1], s8, v18
	v_addc_co_u32_e64 v19, s[0:1], v17, v19, s[0:1]
	global_load_dword v18, v[18:19], off
	v_lshlrev_b64 v[24:25], 3, v[14:15]
	v_mov_b32_e32 v17, s11
	v_add_co_u32_e64 v24, s[0:1], s10, v24
	v_addc_co_u32_e64 v25, s[0:1], v17, v25, s[0:1]
	global_load_dwordx2 v[28:29], v[24:25], off
	v_mov_b32_e32 v23, s25
	v_add_u32_e32 v14, 16, v14
	s_waitcnt vmcnt(1)
	v_ashrrev_i32_e32 v19, 31, v18
	v_lshlrev_b64 v[18:19], 4, v[18:19]
	v_add_co_u32_e64 v18, s[0:1], s4, v18
	v_addc_co_u32_e64 v19, s[0:1], v23, v19, s[0:1]
	global_load_dwordx4 v[24:27], v[18:19], off
	s_waitcnt vmcnt(1)
	v_cndmask_b32_e64 v15, v29, -v29, s[6:7]
	v_cvt_f64_f32_e32 v[18:19], v28
	v_cvt_f64_f32_e32 v[28:29], v15
	v_mul_f64 v[30:31], -v[6:7], v[28:29]
	v_mul_f64 v[28:29], v[4:5], v[28:29]
	v_fmac_f64_e32 v[30:31], v[4:5], v[18:19]
	v_fmac_f64_e32 v[28:29], v[6:7], v[18:19]
	v_cmp_ge_i32_e64 s[0:1], v14, v16
	s_or_b64 s[22:23], s[0:1], s[22:23]
	s_waitcnt vmcnt(0)
	v_fmac_f64_e32 v[2:3], v[30:31], v[24:25]
	v_fmac_f64_e32 v[0:1], v[28:29], v[24:25]
	v_fma_f64 v[2:3], -v[28:29], v[26:27], v[2:3]
	v_fmac_f64_e32 v[0:1], v[30:31], v[26:27]
	s_andn2_b64 exec, exec, s[22:23]
	s_cbranch_execnz .LBB366_13
; %bb.14:                               ;   in Loop: Header=BB366_11 Depth=1
	s_or_b64 exec, exec, s[22:23]
.LBB366_15:                             ;   in Loop: Header=BB366_11 Depth=1
	s_or_b64 exec, exec, s[20:21]
	v_mov_b32_dpp v14, v2 row_shr:1 row_mask:0xf bank_mask:0xf
	v_mov_b32_dpp v15, v3 row_shr:1 row_mask:0xf bank_mask:0xf
	v_mov_b32_dpp v16, v0 row_shr:1 row_mask:0xf bank_mask:0xf
	v_mov_b32_dpp v17, v1 row_shr:1 row_mask:0xf bank_mask:0xf
	v_add_f64 v[2:3], v[2:3], v[14:15]
	v_add_f64 v[0:1], v[0:1], v[16:17]
	s_nop 0
	v_mov_b32_dpp v14, v2 row_shr:2 row_mask:0xf bank_mask:0xf
	v_mov_b32_dpp v15, v3 row_shr:2 row_mask:0xf bank_mask:0xf
	v_mov_b32_dpp v16, v0 row_shr:2 row_mask:0xf bank_mask:0xf
	v_mov_b32_dpp v17, v1 row_shr:2 row_mask:0xf bank_mask:0xf
	v_add_f64 v[2:3], v[2:3], v[14:15]
	v_add_f64 v[0:1], v[0:1], v[16:17]
	s_nop 0
	;; [unrolled: 7-line block ×3, first 2 shown]
	v_mov_b32_dpp v14, v2 row_shr:8 row_mask:0xf bank_mask:0xc
	v_mov_b32_dpp v15, v3 row_shr:8 row_mask:0xf bank_mask:0xc
	;; [unrolled: 1-line block ×4, first 2 shown]
	s_and_saveexec_b64 s[20:21], vcc
	s_cbranch_execz .LBB366_10
; %bb.16:                               ;   in Loop: Header=BB366_11 Depth=1
	v_add_f64 v[0:1], v[2:3], v[14:15]
	v_lshlrev_b64 v[14:15], 4, v[12:13]
	v_mov_b32_e32 v13, s13
	v_add_co_u32_e64 v14, s[0:1], s12, v14
	v_add_f64 v[2:3], v[16:17], v[18:19]
	v_addc_co_u32_e64 v15, s[0:1], v13, v15, s[0:1]
	s_and_saveexec_b64 s[0:1], s[2:3]
	s_cbranch_execz .LBB366_9
; %bb.17:                               ;   in Loop: Header=BB366_11 Depth=1
	global_load_dwordx4 v[16:19], v[14:15], off
	s_waitcnt vmcnt(0)
	v_fmac_f64_e32 v[0:1], v[8:9], v[16:17]
	v_fmac_f64_e32 v[2:3], v[10:11], v[16:17]
	v_fma_f64 v[0:1], -v[10:11], v[18:19], v[0:1]
	v_fmac_f64_e32 v[2:3], v[8:9], v[18:19]
	s_branch .LBB366_9
.LBB366_18:
	s_endpgm
	.section	.rodata,"a",@progbits
	.p2align	6, 0x0
	.amdhsa_kernel _ZN9rocsparseL21csrmvn_general_kernelILj256ELj16Eii21rocsparse_complex_numIfES1_IdES3_S3_EEvbT2_NS_24const_host_device_scalarIT6_EEPKT1_SA_PKS4_PKT3_PKT4_S7_PT5_21rocsparse_index_base_b
		.amdhsa_group_segment_fixed_size 4096
		.amdhsa_private_segment_fixed_size 0
		.amdhsa_kernarg_size 352
		.amdhsa_user_sgpr_count 8
		.amdhsa_user_sgpr_private_segment_buffer 1
		.amdhsa_user_sgpr_dispatch_ptr 1
		.amdhsa_user_sgpr_queue_ptr 0
		.amdhsa_user_sgpr_kernarg_segment_ptr 1
		.amdhsa_user_sgpr_dispatch_id 0
		.amdhsa_user_sgpr_flat_scratch_init 0
		.amdhsa_user_sgpr_kernarg_preload_length 0
		.amdhsa_user_sgpr_kernarg_preload_offset 0
		.amdhsa_user_sgpr_private_segment_size 0
		.amdhsa_uses_dynamic_stack 0
		.amdhsa_system_sgpr_private_segment_wavefront_offset 0
		.amdhsa_system_sgpr_workgroup_id_x 1
		.amdhsa_system_sgpr_workgroup_id_y 0
		.amdhsa_system_sgpr_workgroup_id_z 0
		.amdhsa_system_sgpr_workgroup_info 0
		.amdhsa_system_vgpr_workitem_id 2
		.amdhsa_next_free_vgpr 32
		.amdhsa_next_free_sgpr 27
		.amdhsa_accum_offset 32
		.amdhsa_reserve_vcc 1
		.amdhsa_reserve_flat_scratch 0
		.amdhsa_float_round_mode_32 0
		.amdhsa_float_round_mode_16_64 0
		.amdhsa_float_denorm_mode_32 3
		.amdhsa_float_denorm_mode_16_64 3
		.amdhsa_dx10_clamp 1
		.amdhsa_ieee_mode 1
		.amdhsa_fp16_overflow 0
		.amdhsa_tg_split 0
		.amdhsa_exception_fp_ieee_invalid_op 0
		.amdhsa_exception_fp_denorm_src 0
		.amdhsa_exception_fp_ieee_div_zero 0
		.amdhsa_exception_fp_ieee_overflow 0
		.amdhsa_exception_fp_ieee_underflow 0
		.amdhsa_exception_fp_ieee_inexact 0
		.amdhsa_exception_int_div_zero 0
	.end_amdhsa_kernel
	.section	.text._ZN9rocsparseL21csrmvn_general_kernelILj256ELj16Eii21rocsparse_complex_numIfES1_IdES3_S3_EEvbT2_NS_24const_host_device_scalarIT6_EEPKT1_SA_PKS4_PKT3_PKT4_S7_PT5_21rocsparse_index_base_b,"axG",@progbits,_ZN9rocsparseL21csrmvn_general_kernelILj256ELj16Eii21rocsparse_complex_numIfES1_IdES3_S3_EEvbT2_NS_24const_host_device_scalarIT6_EEPKT1_SA_PKS4_PKT3_PKT4_S7_PT5_21rocsparse_index_base_b,comdat
.Lfunc_end366:
	.size	_ZN9rocsparseL21csrmvn_general_kernelILj256ELj16Eii21rocsparse_complex_numIfES1_IdES3_S3_EEvbT2_NS_24const_host_device_scalarIT6_EEPKT1_SA_PKS4_PKT3_PKT4_S7_PT5_21rocsparse_index_base_b, .Lfunc_end366-_ZN9rocsparseL21csrmvn_general_kernelILj256ELj16Eii21rocsparse_complex_numIfES1_IdES3_S3_EEvbT2_NS_24const_host_device_scalarIT6_EEPKT1_SA_PKS4_PKT3_PKT4_S7_PT5_21rocsparse_index_base_b
                                        ; -- End function
	.section	.AMDGPU.csdata,"",@progbits
; Kernel info:
; codeLenInByte = 1148
; NumSgprs: 31
; NumVgprs: 32
; NumAgprs: 0
; TotalNumVgprs: 32
; ScratchSize: 0
; MemoryBound: 0
; FloatMode: 240
; IeeeMode: 1
; LDSByteSize: 4096 bytes/workgroup (compile time only)
; SGPRBlocks: 3
; VGPRBlocks: 3
; NumSGPRsForWavesPerEU: 31
; NumVGPRsForWavesPerEU: 32
; AccumOffset: 32
; Occupancy: 8
; WaveLimiterHint : 1
; COMPUTE_PGM_RSRC2:SCRATCH_EN: 0
; COMPUTE_PGM_RSRC2:USER_SGPR: 8
; COMPUTE_PGM_RSRC2:TRAP_HANDLER: 0
; COMPUTE_PGM_RSRC2:TGID_X_EN: 1
; COMPUTE_PGM_RSRC2:TGID_Y_EN: 0
; COMPUTE_PGM_RSRC2:TGID_Z_EN: 0
; COMPUTE_PGM_RSRC2:TIDIG_COMP_CNT: 2
; COMPUTE_PGM_RSRC3_GFX90A:ACCUM_OFFSET: 7
; COMPUTE_PGM_RSRC3_GFX90A:TG_SPLIT: 0
	.section	.text._ZN9rocsparseL21csrmvn_general_kernelILj256ELj32Eii21rocsparse_complex_numIfES1_IdES3_S3_EEvbT2_NS_24const_host_device_scalarIT6_EEPKT1_SA_PKS4_PKT3_PKT4_S7_PT5_21rocsparse_index_base_b,"axG",@progbits,_ZN9rocsparseL21csrmvn_general_kernelILj256ELj32Eii21rocsparse_complex_numIfES1_IdES3_S3_EEvbT2_NS_24const_host_device_scalarIT6_EEPKT1_SA_PKS4_PKT3_PKT4_S7_PT5_21rocsparse_index_base_b,comdat
	.globl	_ZN9rocsparseL21csrmvn_general_kernelILj256ELj32Eii21rocsparse_complex_numIfES1_IdES3_S3_EEvbT2_NS_24const_host_device_scalarIT6_EEPKT1_SA_PKS4_PKT3_PKT4_S7_PT5_21rocsparse_index_base_b ; -- Begin function _ZN9rocsparseL21csrmvn_general_kernelILj256ELj32Eii21rocsparse_complex_numIfES1_IdES3_S3_EEvbT2_NS_24const_host_device_scalarIT6_EEPKT1_SA_PKS4_PKT3_PKT4_S7_PT5_21rocsparse_index_base_b
	.p2align	8
	.type	_ZN9rocsparseL21csrmvn_general_kernelILj256ELj32Eii21rocsparse_complex_numIfES1_IdES3_S3_EEvbT2_NS_24const_host_device_scalarIT6_EEPKT1_SA_PKS4_PKT3_PKT4_S7_PT5_21rocsparse_index_base_b,@function
_ZN9rocsparseL21csrmvn_general_kernelILj256ELj32Eii21rocsparse_complex_numIfES1_IdES3_S3_EEvbT2_NS_24const_host_device_scalarIT6_EEPKT1_SA_PKS4_PKT3_PKT4_S7_PT5_21rocsparse_index_base_b: ; @_ZN9rocsparseL21csrmvn_general_kernelILj256ELj32Eii21rocsparse_complex_numIfES1_IdES3_S3_EEvbT2_NS_24const_host_device_scalarIT6_EEPKT1_SA_PKS4_PKT3_PKT4_S7_PT5_21rocsparse_index_base_b
; %bb.0:
	s_load_dwordx2 s[24:25], s[6:7], 0x58
	s_load_dwordx8 s[12:19], s[6:7], 0x8
	s_load_dwordx4 s[20:23], s[6:7], 0x40
	s_mov_b64 s[2:3], src_shared_base
	s_load_dwordx2 s[4:5], s[4:5], 0x4
	s_waitcnt lgkmcnt(0)
	s_bitcmp1_b32 s25, 0
	s_cselect_b64 s[0:1], -1, 0
	s_and_b64 vcc, s[0:1], exec
	s_cselect_b32 s2, s3, s13
	s_lshr_b32 s4, s4, 16
	v_and_b32_e32 v1, 0x3ff, v0
	s_mul_i32 s4, s4, s5
	v_mul_lo_u32 v2, s4, v1
	v_bfe_u32 v3, v0, 10, 10
	v_mad_u32_u24 v2, v3, s5, v2
	v_bfe_u32 v0, v0, 20, 10
	v_add_lshl_u32 v0, v2, v0, 3
	v_mov_b32_e32 v6, s12
	v_add_u32_e32 v7, 0x800, v0
	v_pk_mov_b32 v[2:3], s[12:13], s[12:13] op_sel:[0,1]
	v_pk_mov_b32 v[4:5], s[20:21], s[20:21] op_sel:[0,1]
	ds_write2st64_b64 v0, v[4:5], v[2:3] offset1:4
	v_cndmask_b32_e64 v2, v6, v7, s[0:1]
	v_mov_b32_e32 v3, s2
	flat_load_dwordx2 v[4:5], v[2:3]
	s_xor_b64 s[4:5], s[0:1], -1
	v_pk_mov_b32 v[6:7], s[14:15], s[14:15] op_sel:[0,1]
	s_cbranch_vccnz .LBB367_2
; %bb.1:
	v_pk_mov_b32 v[2:3], s[12:13], s[12:13] op_sel:[0,1]
	flat_load_dwordx2 v[6:7], v[2:3] offset:8
.LBB367_2:
	s_and_b64 s[10:11], s[0:1], exec
	s_cselect_b32 s2, s3, s21
	v_mov_b32_e32 v2, s20
	v_cndmask_b32_e64 v2, v2, v0, s[0:1]
	v_mov_b32_e32 v3, s2
	flat_load_dwordx2 v[8:9], v[2:3]
	s_andn2_b64 vcc, exec, s[4:5]
	v_pk_mov_b32 v[10:11], s[22:23], s[22:23] op_sel:[0,1]
	s_cbranch_vccnz .LBB367_4
; %bb.3:
	v_pk_mov_b32 v[2:3], s[20:21], s[20:21] op_sel:[0,1]
	flat_load_dwordx2 v[10:11], v[2:3] offset:8
.LBB367_4:
	s_waitcnt vmcnt(0) lgkmcnt(0)
	v_cmp_eq_f64_e32 vcc, 0, v[4:5]
	v_cmp_eq_f64_e64 s[0:1], 0, v[6:7]
	s_and_b64 s[4:5], vcc, s[0:1]
	s_mov_b64 s[0:1], -1
	s_and_saveexec_b64 s[2:3], s[4:5]
; %bb.5:
	v_cmp_neq_f64_e32 vcc, 1.0, v[8:9]
	v_cmp_neq_f64_e64 s[0:1], 0, v[10:11]
	s_or_b64 s[0:1], vcc, s[0:1]
	s_orn2_b64 s[0:1], s[0:1], exec
; %bb.6:
	s_or_b64 exec, exec, s[2:3]
	s_and_saveexec_b64 s[2:3], s[0:1]
	s_cbranch_execz .LBB367_18
; %bb.7:
	s_load_dwordx2 s[4:5], s[6:7], 0x0
	v_lshl_or_b32 v0, s8, 8, v1
	v_lshrrev_b32_e32 v12, 5, v0
	s_waitcnt lgkmcnt(0)
	v_cmp_gt_i32_e32 vcc, s5, v12
	s_and_b64 exec, exec, vcc
	s_cbranch_execz .LBB367_18
; %bb.8:
	s_load_dword s2, s[6:7], 0x60
	s_load_dwordx2 s[12:13], s[6:7], 0x50
	s_load_dwordx4 s[8:11], s[6:7], 0x28
	s_load_dwordx2 s[0:1], s[6:7], 0x38
	v_and_b32_e32 v0, 31, v1
	s_waitcnt lgkmcnt(0)
	s_lshl_b32 s26, s2, 3
	s_bitcmp1_b32 s4, 0
	s_cselect_b64 s[6:7], -1, 0
	s_ashr_i32 s25, s24, 31
	s_lshl_b64 s[2:3], s[24:25], 4
	s_sub_u32 s4, s0, s2
	s_subb_u32 s25, s1, s3
	v_cmp_neq_f64_e64 s[0:1], 0, v[8:9]
	v_cmp_neq_f64_e64 s[2:3], 0, v[10:11]
	v_subrev_u32_e32 v20, s24, v0
	v_cmp_eq_u32_e32 vcc, 31, v0
	s_mov_b64 s[14:15], 0
	s_or_b64 s[2:3], s[0:1], s[2:3]
	v_mov_b32_e32 v21, s17
	v_mov_b32_e32 v22, s19
	s_branch .LBB367_11
.LBB367_9:                              ;   in Loop: Header=BB367_11 Depth=1
	s_or_b64 exec, exec, s[0:1]
	global_store_dwordx4 v[14:15], v[0:3], off
.LBB367_10:                             ;   in Loop: Header=BB367_11 Depth=1
	s_or_b64 exec, exec, s[20:21]
	v_add_u32_e32 v12, s26, v12
	v_cmp_le_i32_e64 s[0:1], s5, v12
	s_or_b64 s[14:15], s[0:1], s[14:15]
	s_andn2_b64 exec, exec, s[14:15]
	s_cbranch_execz .LBB367_18
.LBB367_11:                             ; =>This Loop Header: Depth=1
                                        ;     Child Loop BB367_13 Depth 2
	v_ashrrev_i32_e32 v13, 31, v12
	v_lshlrev_b64 v[0:1], 2, v[12:13]
	v_add_co_u32_e64 v2, s[0:1], s16, v0
	v_addc_co_u32_e64 v3, s[0:1], v21, v1, s[0:1]
	v_add_co_u32_e64 v0, s[0:1], s18, v0
	v_addc_co_u32_e64 v1, s[0:1], v22, v1, s[0:1]
	global_load_dword v14, v[0:1], off
	global_load_dword v15, v[2:3], off
	v_pk_mov_b32 v[0:1], 0, 0
	v_pk_mov_b32 v[2:3], v[0:1], v[0:1] op_sel:[0,1]
	s_waitcnt vmcnt(1)
	v_subrev_u32_e32 v16, s24, v14
	s_waitcnt vmcnt(0)
	v_add_u32_e32 v14, v15, v20
	v_cmp_lt_i32_e64 s[0:1], v14, v16
	s_and_saveexec_b64 s[20:21], s[0:1]
	s_cbranch_execz .LBB367_15
; %bb.12:                               ;   in Loop: Header=BB367_11 Depth=1
	v_pk_mov_b32 v[0:1], 0, 0
	s_mov_b64 s[22:23], 0
	v_pk_mov_b32 v[2:3], v[0:1], v[0:1] op_sel:[0,1]
.LBB367_13:                             ;   Parent Loop BB367_11 Depth=1
                                        ; =>  This Inner Loop Header: Depth=2
	v_ashrrev_i32_e32 v15, 31, v14
	v_lshlrev_b64 v[18:19], 2, v[14:15]
	v_mov_b32_e32 v17, s9
	v_add_co_u32_e64 v18, s[0:1], s8, v18
	v_addc_co_u32_e64 v19, s[0:1], v17, v19, s[0:1]
	global_load_dword v18, v[18:19], off
	v_lshlrev_b64 v[24:25], 3, v[14:15]
	v_mov_b32_e32 v17, s11
	v_add_co_u32_e64 v24, s[0:1], s10, v24
	v_addc_co_u32_e64 v25, s[0:1], v17, v25, s[0:1]
	global_load_dwordx2 v[28:29], v[24:25], off
	v_mov_b32_e32 v23, s25
	v_add_u32_e32 v14, 32, v14
	s_waitcnt vmcnt(1)
	v_ashrrev_i32_e32 v19, 31, v18
	v_lshlrev_b64 v[18:19], 4, v[18:19]
	v_add_co_u32_e64 v18, s[0:1], s4, v18
	v_addc_co_u32_e64 v19, s[0:1], v23, v19, s[0:1]
	global_load_dwordx4 v[24:27], v[18:19], off
	s_waitcnt vmcnt(1)
	v_cndmask_b32_e64 v15, v29, -v29, s[6:7]
	v_cvt_f64_f32_e32 v[18:19], v28
	v_cvt_f64_f32_e32 v[28:29], v15
	v_mul_f64 v[30:31], -v[6:7], v[28:29]
	v_mul_f64 v[28:29], v[4:5], v[28:29]
	v_fmac_f64_e32 v[30:31], v[4:5], v[18:19]
	v_fmac_f64_e32 v[28:29], v[6:7], v[18:19]
	v_cmp_ge_i32_e64 s[0:1], v14, v16
	s_or_b64 s[22:23], s[0:1], s[22:23]
	s_waitcnt vmcnt(0)
	v_fmac_f64_e32 v[2:3], v[30:31], v[24:25]
	v_fmac_f64_e32 v[0:1], v[28:29], v[24:25]
	v_fma_f64 v[2:3], -v[28:29], v[26:27], v[2:3]
	v_fmac_f64_e32 v[0:1], v[30:31], v[26:27]
	s_andn2_b64 exec, exec, s[22:23]
	s_cbranch_execnz .LBB367_13
; %bb.14:                               ;   in Loop: Header=BB367_11 Depth=1
	s_or_b64 exec, exec, s[22:23]
.LBB367_15:                             ;   in Loop: Header=BB367_11 Depth=1
	s_or_b64 exec, exec, s[20:21]
	v_mov_b32_dpp v14, v2 row_shr:1 row_mask:0xf bank_mask:0xf
	v_mov_b32_dpp v15, v3 row_shr:1 row_mask:0xf bank_mask:0xf
	v_mov_b32_dpp v16, v0 row_shr:1 row_mask:0xf bank_mask:0xf
	v_mov_b32_dpp v17, v1 row_shr:1 row_mask:0xf bank_mask:0xf
	v_add_f64 v[2:3], v[2:3], v[14:15]
	v_add_f64 v[0:1], v[0:1], v[16:17]
	s_nop 0
	v_mov_b32_dpp v14, v2 row_shr:2 row_mask:0xf bank_mask:0xf
	v_mov_b32_dpp v15, v3 row_shr:2 row_mask:0xf bank_mask:0xf
	v_mov_b32_dpp v16, v0 row_shr:2 row_mask:0xf bank_mask:0xf
	v_mov_b32_dpp v17, v1 row_shr:2 row_mask:0xf bank_mask:0xf
	v_add_f64 v[2:3], v[2:3], v[14:15]
	v_add_f64 v[0:1], v[0:1], v[16:17]
	s_nop 0
	;; [unrolled: 7-line block ×4, first 2 shown]
	v_mov_b32_dpp v14, v2 row_bcast:15 row_mask:0xa bank_mask:0xf
	v_mov_b32_dpp v15, v3 row_bcast:15 row_mask:0xa bank_mask:0xf
	;; [unrolled: 1-line block ×4, first 2 shown]
	s_and_saveexec_b64 s[20:21], vcc
	s_cbranch_execz .LBB367_10
; %bb.16:                               ;   in Loop: Header=BB367_11 Depth=1
	v_add_f64 v[0:1], v[2:3], v[14:15]
	v_lshlrev_b64 v[14:15], 4, v[12:13]
	v_mov_b32_e32 v13, s13
	v_add_co_u32_e64 v14, s[0:1], s12, v14
	v_add_f64 v[2:3], v[16:17], v[18:19]
	v_addc_co_u32_e64 v15, s[0:1], v13, v15, s[0:1]
	s_and_saveexec_b64 s[0:1], s[2:3]
	s_cbranch_execz .LBB367_9
; %bb.17:                               ;   in Loop: Header=BB367_11 Depth=1
	global_load_dwordx4 v[16:19], v[14:15], off
	s_waitcnt vmcnt(0)
	v_fmac_f64_e32 v[0:1], v[8:9], v[16:17]
	v_fmac_f64_e32 v[2:3], v[10:11], v[16:17]
	v_fma_f64 v[0:1], -v[10:11], v[18:19], v[0:1]
	v_fmac_f64_e32 v[2:3], v[8:9], v[18:19]
	s_branch .LBB367_9
.LBB367_18:
	s_endpgm
	.section	.rodata,"a",@progbits
	.p2align	6, 0x0
	.amdhsa_kernel _ZN9rocsparseL21csrmvn_general_kernelILj256ELj32Eii21rocsparse_complex_numIfES1_IdES3_S3_EEvbT2_NS_24const_host_device_scalarIT6_EEPKT1_SA_PKS4_PKT3_PKT4_S7_PT5_21rocsparse_index_base_b
		.amdhsa_group_segment_fixed_size 4096
		.amdhsa_private_segment_fixed_size 0
		.amdhsa_kernarg_size 352
		.amdhsa_user_sgpr_count 8
		.amdhsa_user_sgpr_private_segment_buffer 1
		.amdhsa_user_sgpr_dispatch_ptr 1
		.amdhsa_user_sgpr_queue_ptr 0
		.amdhsa_user_sgpr_kernarg_segment_ptr 1
		.amdhsa_user_sgpr_dispatch_id 0
		.amdhsa_user_sgpr_flat_scratch_init 0
		.amdhsa_user_sgpr_kernarg_preload_length 0
		.amdhsa_user_sgpr_kernarg_preload_offset 0
		.amdhsa_user_sgpr_private_segment_size 0
		.amdhsa_uses_dynamic_stack 0
		.amdhsa_system_sgpr_private_segment_wavefront_offset 0
		.amdhsa_system_sgpr_workgroup_id_x 1
		.amdhsa_system_sgpr_workgroup_id_y 0
		.amdhsa_system_sgpr_workgroup_id_z 0
		.amdhsa_system_sgpr_workgroup_info 0
		.amdhsa_system_vgpr_workitem_id 2
		.amdhsa_next_free_vgpr 32
		.amdhsa_next_free_sgpr 27
		.amdhsa_accum_offset 32
		.amdhsa_reserve_vcc 1
		.amdhsa_reserve_flat_scratch 0
		.amdhsa_float_round_mode_32 0
		.amdhsa_float_round_mode_16_64 0
		.amdhsa_float_denorm_mode_32 3
		.amdhsa_float_denorm_mode_16_64 3
		.amdhsa_dx10_clamp 1
		.amdhsa_ieee_mode 1
		.amdhsa_fp16_overflow 0
		.amdhsa_tg_split 0
		.amdhsa_exception_fp_ieee_invalid_op 0
		.amdhsa_exception_fp_denorm_src 0
		.amdhsa_exception_fp_ieee_div_zero 0
		.amdhsa_exception_fp_ieee_overflow 0
		.amdhsa_exception_fp_ieee_underflow 0
		.amdhsa_exception_fp_ieee_inexact 0
		.amdhsa_exception_int_div_zero 0
	.end_amdhsa_kernel
	.section	.text._ZN9rocsparseL21csrmvn_general_kernelILj256ELj32Eii21rocsparse_complex_numIfES1_IdES3_S3_EEvbT2_NS_24const_host_device_scalarIT6_EEPKT1_SA_PKS4_PKT3_PKT4_S7_PT5_21rocsparse_index_base_b,"axG",@progbits,_ZN9rocsparseL21csrmvn_general_kernelILj256ELj32Eii21rocsparse_complex_numIfES1_IdES3_S3_EEvbT2_NS_24const_host_device_scalarIT6_EEPKT1_SA_PKS4_PKT3_PKT4_S7_PT5_21rocsparse_index_base_b,comdat
.Lfunc_end367:
	.size	_ZN9rocsparseL21csrmvn_general_kernelILj256ELj32Eii21rocsparse_complex_numIfES1_IdES3_S3_EEvbT2_NS_24const_host_device_scalarIT6_EEPKT1_SA_PKS4_PKT3_PKT4_S7_PT5_21rocsparse_index_base_b, .Lfunc_end367-_ZN9rocsparseL21csrmvn_general_kernelILj256ELj32Eii21rocsparse_complex_numIfES1_IdES3_S3_EEvbT2_NS_24const_host_device_scalarIT6_EEPKT1_SA_PKS4_PKT3_PKT4_S7_PT5_21rocsparse_index_base_b
                                        ; -- End function
	.section	.AMDGPU.csdata,"",@progbits
; Kernel info:
; codeLenInByte = 1200
; NumSgprs: 31
; NumVgprs: 32
; NumAgprs: 0
; TotalNumVgprs: 32
; ScratchSize: 0
; MemoryBound: 0
; FloatMode: 240
; IeeeMode: 1
; LDSByteSize: 4096 bytes/workgroup (compile time only)
; SGPRBlocks: 3
; VGPRBlocks: 3
; NumSGPRsForWavesPerEU: 31
; NumVGPRsForWavesPerEU: 32
; AccumOffset: 32
; Occupancy: 8
; WaveLimiterHint : 1
; COMPUTE_PGM_RSRC2:SCRATCH_EN: 0
; COMPUTE_PGM_RSRC2:USER_SGPR: 8
; COMPUTE_PGM_RSRC2:TRAP_HANDLER: 0
; COMPUTE_PGM_RSRC2:TGID_X_EN: 1
; COMPUTE_PGM_RSRC2:TGID_Y_EN: 0
; COMPUTE_PGM_RSRC2:TGID_Z_EN: 0
; COMPUTE_PGM_RSRC2:TIDIG_COMP_CNT: 2
; COMPUTE_PGM_RSRC3_GFX90A:ACCUM_OFFSET: 7
; COMPUTE_PGM_RSRC3_GFX90A:TG_SPLIT: 0
	.section	.text._ZN9rocsparseL21csrmvn_general_kernelILj256ELj64Eii21rocsparse_complex_numIfES1_IdES3_S3_EEvbT2_NS_24const_host_device_scalarIT6_EEPKT1_SA_PKS4_PKT3_PKT4_S7_PT5_21rocsparse_index_base_b,"axG",@progbits,_ZN9rocsparseL21csrmvn_general_kernelILj256ELj64Eii21rocsparse_complex_numIfES1_IdES3_S3_EEvbT2_NS_24const_host_device_scalarIT6_EEPKT1_SA_PKS4_PKT3_PKT4_S7_PT5_21rocsparse_index_base_b,comdat
	.globl	_ZN9rocsparseL21csrmvn_general_kernelILj256ELj64Eii21rocsparse_complex_numIfES1_IdES3_S3_EEvbT2_NS_24const_host_device_scalarIT6_EEPKT1_SA_PKS4_PKT3_PKT4_S7_PT5_21rocsparse_index_base_b ; -- Begin function _ZN9rocsparseL21csrmvn_general_kernelILj256ELj64Eii21rocsparse_complex_numIfES1_IdES3_S3_EEvbT2_NS_24const_host_device_scalarIT6_EEPKT1_SA_PKS4_PKT3_PKT4_S7_PT5_21rocsparse_index_base_b
	.p2align	8
	.type	_ZN9rocsparseL21csrmvn_general_kernelILj256ELj64Eii21rocsparse_complex_numIfES1_IdES3_S3_EEvbT2_NS_24const_host_device_scalarIT6_EEPKT1_SA_PKS4_PKT3_PKT4_S7_PT5_21rocsparse_index_base_b,@function
_ZN9rocsparseL21csrmvn_general_kernelILj256ELj64Eii21rocsparse_complex_numIfES1_IdES3_S3_EEvbT2_NS_24const_host_device_scalarIT6_EEPKT1_SA_PKS4_PKT3_PKT4_S7_PT5_21rocsparse_index_base_b: ; @_ZN9rocsparseL21csrmvn_general_kernelILj256ELj64Eii21rocsparse_complex_numIfES1_IdES3_S3_EEvbT2_NS_24const_host_device_scalarIT6_EEPKT1_SA_PKS4_PKT3_PKT4_S7_PT5_21rocsparse_index_base_b
; %bb.0:
	s_load_dwordx2 s[24:25], s[6:7], 0x58
	s_load_dwordx8 s[12:19], s[6:7], 0x8
	s_load_dwordx4 s[20:23], s[6:7], 0x40
	s_mov_b64 s[2:3], src_shared_base
	s_load_dwordx2 s[4:5], s[4:5], 0x4
	s_waitcnt lgkmcnt(0)
	s_bitcmp1_b32 s25, 0
	s_cselect_b64 s[0:1], -1, 0
	s_and_b64 vcc, s[0:1], exec
	s_cselect_b32 s2, s3, s13
	s_lshr_b32 s4, s4, 16
	v_and_b32_e32 v1, 0x3ff, v0
	s_mul_i32 s4, s4, s5
	v_mul_lo_u32 v2, s4, v1
	v_bfe_u32 v3, v0, 10, 10
	v_mad_u32_u24 v2, v3, s5, v2
	v_bfe_u32 v0, v0, 20, 10
	v_add_lshl_u32 v0, v2, v0, 3
	v_mov_b32_e32 v6, s12
	v_add_u32_e32 v7, 0x800, v0
	v_pk_mov_b32 v[2:3], s[12:13], s[12:13] op_sel:[0,1]
	v_pk_mov_b32 v[4:5], s[20:21], s[20:21] op_sel:[0,1]
	ds_write2st64_b64 v0, v[4:5], v[2:3] offset1:4
	v_cndmask_b32_e64 v2, v6, v7, s[0:1]
	v_mov_b32_e32 v3, s2
	flat_load_dwordx2 v[4:5], v[2:3]
	s_xor_b64 s[4:5], s[0:1], -1
	v_pk_mov_b32 v[6:7], s[14:15], s[14:15] op_sel:[0,1]
	s_cbranch_vccnz .LBB368_2
; %bb.1:
	v_pk_mov_b32 v[2:3], s[12:13], s[12:13] op_sel:[0,1]
	flat_load_dwordx2 v[6:7], v[2:3] offset:8
.LBB368_2:
	s_and_b64 s[10:11], s[0:1], exec
	s_cselect_b32 s2, s3, s21
	v_mov_b32_e32 v2, s20
	v_cndmask_b32_e64 v2, v2, v0, s[0:1]
	v_mov_b32_e32 v3, s2
	flat_load_dwordx2 v[8:9], v[2:3]
	s_andn2_b64 vcc, exec, s[4:5]
	v_pk_mov_b32 v[10:11], s[22:23], s[22:23] op_sel:[0,1]
	s_cbranch_vccnz .LBB368_4
; %bb.3:
	v_pk_mov_b32 v[2:3], s[20:21], s[20:21] op_sel:[0,1]
	flat_load_dwordx2 v[10:11], v[2:3] offset:8
.LBB368_4:
	s_waitcnt vmcnt(0) lgkmcnt(0)
	v_cmp_eq_f64_e32 vcc, 0, v[4:5]
	v_cmp_eq_f64_e64 s[0:1], 0, v[6:7]
	s_and_b64 s[4:5], vcc, s[0:1]
	s_mov_b64 s[0:1], -1
	s_and_saveexec_b64 s[2:3], s[4:5]
; %bb.5:
	v_cmp_neq_f64_e32 vcc, 1.0, v[8:9]
	v_cmp_neq_f64_e64 s[0:1], 0, v[10:11]
	s_or_b64 s[0:1], vcc, s[0:1]
	s_orn2_b64 s[0:1], s[0:1], exec
; %bb.6:
	s_or_b64 exec, exec, s[2:3]
	s_and_saveexec_b64 s[2:3], s[0:1]
	s_cbranch_execz .LBB368_18
; %bb.7:
	s_load_dwordx2 s[4:5], s[6:7], 0x0
	v_lshl_or_b32 v0, s8, 8, v1
	v_lshrrev_b32_e32 v12, 6, v0
	s_waitcnt lgkmcnt(0)
	v_cmp_gt_i32_e32 vcc, s5, v12
	s_and_b64 exec, exec, vcc
	s_cbranch_execz .LBB368_18
; %bb.8:
	s_load_dword s2, s[6:7], 0x60
	s_load_dwordx2 s[12:13], s[6:7], 0x50
	s_load_dwordx4 s[8:11], s[6:7], 0x28
	s_load_dwordx2 s[0:1], s[6:7], 0x38
	v_and_b32_e32 v0, 63, v1
	s_waitcnt lgkmcnt(0)
	s_lshl_b32 s26, s2, 2
	s_bitcmp1_b32 s4, 0
	s_cselect_b64 s[6:7], -1, 0
	s_ashr_i32 s25, s24, 31
	s_lshl_b64 s[2:3], s[24:25], 4
	s_sub_u32 s4, s0, s2
	s_subb_u32 s25, s1, s3
	v_cmp_neq_f64_e64 s[0:1], 0, v[8:9]
	v_cmp_neq_f64_e64 s[2:3], 0, v[10:11]
	v_subrev_u32_e32 v20, s24, v0
	v_cmp_eq_u32_e32 vcc, 63, v0
	s_mov_b64 s[14:15], 0
	s_or_b64 s[2:3], s[0:1], s[2:3]
	v_mov_b32_e32 v21, s17
	v_mov_b32_e32 v22, s19
	s_branch .LBB368_11
.LBB368_9:                              ;   in Loop: Header=BB368_11 Depth=1
	s_or_b64 exec, exec, s[0:1]
	global_store_dwordx4 v[14:15], v[0:3], off
.LBB368_10:                             ;   in Loop: Header=BB368_11 Depth=1
	s_or_b64 exec, exec, s[20:21]
	v_add_u32_e32 v12, s26, v12
	v_cmp_le_i32_e64 s[0:1], s5, v12
	s_or_b64 s[14:15], s[0:1], s[14:15]
	s_andn2_b64 exec, exec, s[14:15]
	s_cbranch_execz .LBB368_18
.LBB368_11:                             ; =>This Loop Header: Depth=1
                                        ;     Child Loop BB368_13 Depth 2
	v_ashrrev_i32_e32 v13, 31, v12
	v_lshlrev_b64 v[0:1], 2, v[12:13]
	v_add_co_u32_e64 v2, s[0:1], s16, v0
	v_addc_co_u32_e64 v3, s[0:1], v21, v1, s[0:1]
	v_add_co_u32_e64 v0, s[0:1], s18, v0
	v_addc_co_u32_e64 v1, s[0:1], v22, v1, s[0:1]
	global_load_dword v14, v[0:1], off
	global_load_dword v15, v[2:3], off
	v_pk_mov_b32 v[0:1], 0, 0
	v_pk_mov_b32 v[2:3], v[0:1], v[0:1] op_sel:[0,1]
	s_waitcnt vmcnt(1)
	v_subrev_u32_e32 v16, s24, v14
	s_waitcnt vmcnt(0)
	v_add_u32_e32 v14, v15, v20
	v_cmp_lt_i32_e64 s[0:1], v14, v16
	s_and_saveexec_b64 s[20:21], s[0:1]
	s_cbranch_execz .LBB368_15
; %bb.12:                               ;   in Loop: Header=BB368_11 Depth=1
	v_pk_mov_b32 v[0:1], 0, 0
	s_mov_b64 s[22:23], 0
	v_pk_mov_b32 v[2:3], v[0:1], v[0:1] op_sel:[0,1]
.LBB368_13:                             ;   Parent Loop BB368_11 Depth=1
                                        ; =>  This Inner Loop Header: Depth=2
	v_ashrrev_i32_e32 v15, 31, v14
	v_lshlrev_b64 v[18:19], 2, v[14:15]
	v_mov_b32_e32 v17, s9
	v_add_co_u32_e64 v18, s[0:1], s8, v18
	v_addc_co_u32_e64 v19, s[0:1], v17, v19, s[0:1]
	global_load_dword v18, v[18:19], off
	v_lshlrev_b64 v[24:25], 3, v[14:15]
	v_mov_b32_e32 v17, s11
	v_add_co_u32_e64 v24, s[0:1], s10, v24
	v_addc_co_u32_e64 v25, s[0:1], v17, v25, s[0:1]
	global_load_dwordx2 v[28:29], v[24:25], off
	v_mov_b32_e32 v23, s25
	v_add_u32_e32 v14, 64, v14
	s_waitcnt vmcnt(1)
	v_ashrrev_i32_e32 v19, 31, v18
	v_lshlrev_b64 v[18:19], 4, v[18:19]
	v_add_co_u32_e64 v18, s[0:1], s4, v18
	v_addc_co_u32_e64 v19, s[0:1], v23, v19, s[0:1]
	global_load_dwordx4 v[24:27], v[18:19], off
	s_waitcnt vmcnt(1)
	v_cndmask_b32_e64 v15, v29, -v29, s[6:7]
	v_cvt_f64_f32_e32 v[18:19], v28
	v_cvt_f64_f32_e32 v[28:29], v15
	v_mul_f64 v[30:31], -v[6:7], v[28:29]
	v_mul_f64 v[28:29], v[4:5], v[28:29]
	v_fmac_f64_e32 v[30:31], v[4:5], v[18:19]
	v_fmac_f64_e32 v[28:29], v[6:7], v[18:19]
	v_cmp_ge_i32_e64 s[0:1], v14, v16
	s_or_b64 s[22:23], s[0:1], s[22:23]
	s_waitcnt vmcnt(0)
	v_fmac_f64_e32 v[2:3], v[30:31], v[24:25]
	v_fmac_f64_e32 v[0:1], v[28:29], v[24:25]
	v_fma_f64 v[2:3], -v[28:29], v[26:27], v[2:3]
	v_fmac_f64_e32 v[0:1], v[30:31], v[26:27]
	s_andn2_b64 exec, exec, s[22:23]
	s_cbranch_execnz .LBB368_13
; %bb.14:                               ;   in Loop: Header=BB368_11 Depth=1
	s_or_b64 exec, exec, s[22:23]
.LBB368_15:                             ;   in Loop: Header=BB368_11 Depth=1
	s_or_b64 exec, exec, s[20:21]
	v_mov_b32_dpp v14, v2 row_shr:1 row_mask:0xf bank_mask:0xf
	v_mov_b32_dpp v15, v3 row_shr:1 row_mask:0xf bank_mask:0xf
	v_mov_b32_dpp v16, v0 row_shr:1 row_mask:0xf bank_mask:0xf
	v_mov_b32_dpp v17, v1 row_shr:1 row_mask:0xf bank_mask:0xf
	v_add_f64 v[2:3], v[2:3], v[14:15]
	v_add_f64 v[0:1], v[0:1], v[16:17]
	s_nop 0
	v_mov_b32_dpp v14, v2 row_shr:2 row_mask:0xf bank_mask:0xf
	v_mov_b32_dpp v15, v3 row_shr:2 row_mask:0xf bank_mask:0xf
	v_mov_b32_dpp v16, v0 row_shr:2 row_mask:0xf bank_mask:0xf
	v_mov_b32_dpp v17, v1 row_shr:2 row_mask:0xf bank_mask:0xf
	v_add_f64 v[2:3], v[2:3], v[14:15]
	v_add_f64 v[0:1], v[0:1], v[16:17]
	s_nop 0
	;; [unrolled: 7-line block ×4, first 2 shown]
	v_mov_b32_dpp v14, v2 row_bcast:15 row_mask:0xa bank_mask:0xf
	v_mov_b32_dpp v15, v3 row_bcast:15 row_mask:0xa bank_mask:0xf
	;; [unrolled: 1-line block ×4, first 2 shown]
	v_add_f64 v[2:3], v[2:3], v[14:15]
	v_add_f64 v[16:17], v[0:1], v[16:17]
	s_nop 0
	v_mov_b32_dpp v14, v2 row_bcast:31 row_mask:0xc bank_mask:0xf
	v_mov_b32_dpp v15, v3 row_bcast:31 row_mask:0xc bank_mask:0xf
	;; [unrolled: 1-line block ×4, first 2 shown]
	s_and_saveexec_b64 s[20:21], vcc
	s_cbranch_execz .LBB368_10
; %bb.16:                               ;   in Loop: Header=BB368_11 Depth=1
	v_add_f64 v[0:1], v[2:3], v[14:15]
	v_lshlrev_b64 v[14:15], 4, v[12:13]
	v_mov_b32_e32 v13, s13
	v_add_co_u32_e64 v14, s[0:1], s12, v14
	v_add_f64 v[2:3], v[16:17], v[18:19]
	v_addc_co_u32_e64 v15, s[0:1], v13, v15, s[0:1]
	s_and_saveexec_b64 s[0:1], s[2:3]
	s_cbranch_execz .LBB368_9
; %bb.17:                               ;   in Loop: Header=BB368_11 Depth=1
	global_load_dwordx4 v[16:19], v[14:15], off
	s_waitcnt vmcnt(0)
	v_fmac_f64_e32 v[0:1], v[8:9], v[16:17]
	v_fmac_f64_e32 v[2:3], v[10:11], v[16:17]
	v_fma_f64 v[0:1], -v[10:11], v[18:19], v[0:1]
	v_fmac_f64_e32 v[2:3], v[8:9], v[18:19]
	s_branch .LBB368_9
.LBB368_18:
	s_endpgm
	.section	.rodata,"a",@progbits
	.p2align	6, 0x0
	.amdhsa_kernel _ZN9rocsparseL21csrmvn_general_kernelILj256ELj64Eii21rocsparse_complex_numIfES1_IdES3_S3_EEvbT2_NS_24const_host_device_scalarIT6_EEPKT1_SA_PKS4_PKT3_PKT4_S7_PT5_21rocsparse_index_base_b
		.amdhsa_group_segment_fixed_size 4096
		.amdhsa_private_segment_fixed_size 0
		.amdhsa_kernarg_size 352
		.amdhsa_user_sgpr_count 8
		.amdhsa_user_sgpr_private_segment_buffer 1
		.amdhsa_user_sgpr_dispatch_ptr 1
		.amdhsa_user_sgpr_queue_ptr 0
		.amdhsa_user_sgpr_kernarg_segment_ptr 1
		.amdhsa_user_sgpr_dispatch_id 0
		.amdhsa_user_sgpr_flat_scratch_init 0
		.amdhsa_user_sgpr_kernarg_preload_length 0
		.amdhsa_user_sgpr_kernarg_preload_offset 0
		.amdhsa_user_sgpr_private_segment_size 0
		.amdhsa_uses_dynamic_stack 0
		.amdhsa_system_sgpr_private_segment_wavefront_offset 0
		.amdhsa_system_sgpr_workgroup_id_x 1
		.amdhsa_system_sgpr_workgroup_id_y 0
		.amdhsa_system_sgpr_workgroup_id_z 0
		.amdhsa_system_sgpr_workgroup_info 0
		.amdhsa_system_vgpr_workitem_id 2
		.amdhsa_next_free_vgpr 32
		.amdhsa_next_free_sgpr 27
		.amdhsa_accum_offset 32
		.amdhsa_reserve_vcc 1
		.amdhsa_reserve_flat_scratch 0
		.amdhsa_float_round_mode_32 0
		.amdhsa_float_round_mode_16_64 0
		.amdhsa_float_denorm_mode_32 3
		.amdhsa_float_denorm_mode_16_64 3
		.amdhsa_dx10_clamp 1
		.amdhsa_ieee_mode 1
		.amdhsa_fp16_overflow 0
		.amdhsa_tg_split 0
		.amdhsa_exception_fp_ieee_invalid_op 0
		.amdhsa_exception_fp_denorm_src 0
		.amdhsa_exception_fp_ieee_div_zero 0
		.amdhsa_exception_fp_ieee_overflow 0
		.amdhsa_exception_fp_ieee_underflow 0
		.amdhsa_exception_fp_ieee_inexact 0
		.amdhsa_exception_int_div_zero 0
	.end_amdhsa_kernel
	.section	.text._ZN9rocsparseL21csrmvn_general_kernelILj256ELj64Eii21rocsparse_complex_numIfES1_IdES3_S3_EEvbT2_NS_24const_host_device_scalarIT6_EEPKT1_SA_PKS4_PKT3_PKT4_S7_PT5_21rocsparse_index_base_b,"axG",@progbits,_ZN9rocsparseL21csrmvn_general_kernelILj256ELj64Eii21rocsparse_complex_numIfES1_IdES3_S3_EEvbT2_NS_24const_host_device_scalarIT6_EEPKT1_SA_PKS4_PKT3_PKT4_S7_PT5_21rocsparse_index_base_b,comdat
.Lfunc_end368:
	.size	_ZN9rocsparseL21csrmvn_general_kernelILj256ELj64Eii21rocsparse_complex_numIfES1_IdES3_S3_EEvbT2_NS_24const_host_device_scalarIT6_EEPKT1_SA_PKS4_PKT3_PKT4_S7_PT5_21rocsparse_index_base_b, .Lfunc_end368-_ZN9rocsparseL21csrmvn_general_kernelILj256ELj64Eii21rocsparse_complex_numIfES1_IdES3_S3_EEvbT2_NS_24const_host_device_scalarIT6_EEPKT1_SA_PKS4_PKT3_PKT4_S7_PT5_21rocsparse_index_base_b
                                        ; -- End function
	.section	.AMDGPU.csdata,"",@progbits
; Kernel info:
; codeLenInByte = 1252
; NumSgprs: 31
; NumVgprs: 32
; NumAgprs: 0
; TotalNumVgprs: 32
; ScratchSize: 0
; MemoryBound: 0
; FloatMode: 240
; IeeeMode: 1
; LDSByteSize: 4096 bytes/workgroup (compile time only)
; SGPRBlocks: 3
; VGPRBlocks: 3
; NumSGPRsForWavesPerEU: 31
; NumVGPRsForWavesPerEU: 32
; AccumOffset: 32
; Occupancy: 8
; WaveLimiterHint : 1
; COMPUTE_PGM_RSRC2:SCRATCH_EN: 0
; COMPUTE_PGM_RSRC2:USER_SGPR: 8
; COMPUTE_PGM_RSRC2:TRAP_HANDLER: 0
; COMPUTE_PGM_RSRC2:TGID_X_EN: 1
; COMPUTE_PGM_RSRC2:TGID_Y_EN: 0
; COMPUTE_PGM_RSRC2:TGID_Z_EN: 0
; COMPUTE_PGM_RSRC2:TIDIG_COMP_CNT: 2
; COMPUTE_PGM_RSRC3_GFX90A:ACCUM_OFFSET: 7
; COMPUTE_PGM_RSRC3_GFX90A:TG_SPLIT: 0
	.section	.text._ZN9rocsparseL21csrmvt_general_kernelILj256ELj4Eii21rocsparse_complex_numIfES1_IdES3_S3_EEvbbT2_NS_24const_host_device_scalarIT6_EEPKT1_SA_PKS4_PKT3_PKT4_PT5_21rocsparse_index_base_b,"axG",@progbits,_ZN9rocsparseL21csrmvt_general_kernelILj256ELj4Eii21rocsparse_complex_numIfES1_IdES3_S3_EEvbbT2_NS_24const_host_device_scalarIT6_EEPKT1_SA_PKS4_PKT3_PKT4_PT5_21rocsparse_index_base_b,comdat
	.globl	_ZN9rocsparseL21csrmvt_general_kernelILj256ELj4Eii21rocsparse_complex_numIfES1_IdES3_S3_EEvbbT2_NS_24const_host_device_scalarIT6_EEPKT1_SA_PKS4_PKT3_PKT4_PT5_21rocsparse_index_base_b ; -- Begin function _ZN9rocsparseL21csrmvt_general_kernelILj256ELj4Eii21rocsparse_complex_numIfES1_IdES3_S3_EEvbbT2_NS_24const_host_device_scalarIT6_EEPKT1_SA_PKS4_PKT3_PKT4_PT5_21rocsparse_index_base_b
	.p2align	8
	.type	_ZN9rocsparseL21csrmvt_general_kernelILj256ELj4Eii21rocsparse_complex_numIfES1_IdES3_S3_EEvbbT2_NS_24const_host_device_scalarIT6_EEPKT1_SA_PKS4_PKT3_PKT4_PT5_21rocsparse_index_base_b,@function
_ZN9rocsparseL21csrmvt_general_kernelILj256ELj4Eii21rocsparse_complex_numIfES1_IdES3_S3_EEvbbT2_NS_24const_host_device_scalarIT6_EEPKT1_SA_PKS4_PKT3_PKT4_PT5_21rocsparse_index_base_b: ; @_ZN9rocsparseL21csrmvt_general_kernelILj256ELj4Eii21rocsparse_complex_numIfES1_IdES3_S3_EEvbbT2_NS_24const_host_device_scalarIT6_EEPKT1_SA_PKS4_PKT3_PKT4_PT5_21rocsparse_index_base_b
; %bb.0:
	s_load_dwordx2 s[2:3], s[6:7], 0x48
	s_load_dwordx2 s[0:1], s[4:5], 0x4
	s_load_dwordx8 s[12:19], s[6:7], 0x8
	v_and_b32_e32 v1, 0x3ff, v0
	v_bfe_u32 v3, v0, 10, 10
	s_waitcnt lgkmcnt(0)
	s_and_b32 s3, 1, s3
	s_lshr_b32 s0, s0, 16
	s_mul_i32 s0, s0, s1
	v_mul_lo_u32 v2, s0, v1
	s_cmp_eq_u32 s3, 1
	v_mad_u32_u24 v2, v3, s1, v2
	v_bfe_u32 v0, v0, 20, 10
	v_add_lshl_u32 v0, v2, v0, 3
	v_pk_mov_b32 v[2:3], s[12:13], s[12:13] op_sel:[0,1]
	s_cselect_b64 vcc, -1, 0
	ds_write_b64 v0, v[2:3]
	s_mov_b64 s[0:1], src_shared_base
	v_cndmask_b32_e32 v2, v2, v0, vcc
	s_and_b64 vcc, vcc, exec
	s_cselect_b32 s0, s1, s13
	v_mov_b32_e32 v3, s0
	flat_load_dwordx2 v[4:5], v[2:3]
	v_pk_mov_b32 v[6:7], s[14:15], s[14:15] op_sel:[0,1]
	s_cbranch_vccnz .LBB369_2
; %bb.1:
	v_pk_mov_b32 v[2:3], s[12:13], s[12:13] op_sel:[0,1]
	flat_load_dwordx2 v[6:7], v[2:3] offset:8
.LBB369_2:
	s_waitcnt vmcnt(0) lgkmcnt(0)
	v_cmp_neq_f64_e32 vcc, 0, v[4:5]
	v_cmp_neq_f64_e64 s[0:1], 0, v[6:7]
	s_or_b64 s[0:1], vcc, s[0:1]
	s_and_saveexec_b64 s[4:5], s[0:1]
	s_cbranch_execz .LBB369_27
; %bb.3:
	s_load_dword s0, s[6:7], 0x0
	s_load_dwordx2 s[4:5], s[6:7], 0x0
	s_load_dword s1, s[6:7], 0x50
	s_load_dwordx8 s[20:27], s[6:7], 0x28
	v_lshl_or_b32 v0, s8, 8, v1
	s_waitcnt lgkmcnt(0)
	s_and_b32 s0, s0, 1
	s_bitcmp1_b32 s4, 8
	s_cselect_b64 s[6:7], -1, 0
	s_lshl_b32 s3, s1, 6
	v_lshrrev_b32_e32 v8, 2, v0
	s_cmp_eq_u32 s0, 0
	v_and_b32_e32 v9, 3, v1
	v_cmp_gt_i32_e64 s[0:1], s5, v8
	s_mov_b64 s[8:9], -1
	s_cbranch_scc0 .LBB369_15
; %bb.4:
	s_and_saveexec_b64 s[8:9], s[0:1]
	s_cbranch_execz .LBB369_14
; %bb.5:
	v_subrev_u32_e32 v26, s2, v9
	s_mov_b64 s[10:11], 0
	v_mov_b32_e32 v27, s17
	v_mov_b32_e32 v28, s19
	;; [unrolled: 1-line block ×3, first 2 shown]
	s_branch .LBB369_7
.LBB369_6:                              ;   in Loop: Header=BB369_7 Depth=1
	s_or_b64 exec, exec, s[12:13]
	v_add_u32_e32 v10, s3, v10
	v_cmp_le_i32_e32 vcc, s5, v10
	s_or_b64 s[10:11], vcc, s[10:11]
	s_andn2_b64 exec, exec, s[10:11]
	s_cbranch_execz .LBB369_14
.LBB369_7:                              ; =>This Loop Header: Depth=1
                                        ;     Child Loop BB369_9 Depth 2
                                        ;       Child Loop BB369_10 Depth 3
                                        ;       Child Loop BB369_12 Depth 3
	v_ashrrev_i32_e32 v11, 31, v10
	v_lshlrev_b64 v[0:1], 2, v[10:11]
	v_add_co_u32_e32 v2, vcc, s16, v0
	v_addc_co_u32_e32 v3, vcc, v27, v1, vcc
	v_add_co_u32_e32 v0, vcc, s18, v0
	v_addc_co_u32_e32 v1, vcc, v28, v1, vcc
	global_load_dword v12, v[0:1], off
	global_load_dword v13, v[2:3], off
	s_waitcnt vmcnt(1)
	v_subrev_u32_e32 v29, s2, v12
	s_waitcnt vmcnt(0)
	v_add_u32_e32 v12, v13, v26
	v_cmp_lt_i32_e32 vcc, v12, v29
	s_and_saveexec_b64 s[12:13], vcc
	s_cbranch_execz .LBB369_6
; %bb.8:                                ;   in Loop: Header=BB369_7 Depth=1
	v_lshlrev_b64 v[0:1], 4, v[10:11]
	v_mov_b32_e32 v2, s25
	v_add_co_u32_e32 v0, vcc, s24, v0
	v_addc_co_u32_e32 v1, vcc, v2, v1, vcc
	global_load_dwordx4 v[0:3], v[0:1], off
	s_mov_b64 s[14:15], 0
	s_waitcnt vmcnt(0)
	v_mul_f64 v[14:15], v[2:3], -v[6:7]
	v_mul_f64 v[16:17], v[4:5], v[2:3]
	v_fmac_f64_e32 v[14:15], v[4:5], v[0:1]
	v_fmac_f64_e32 v[16:17], v[6:7], v[0:1]
.LBB369_9:                              ;   Parent Loop BB369_7 Depth=1
                                        ; =>  This Loop Header: Depth=2
                                        ;       Child Loop BB369_10 Depth 3
                                        ;       Child Loop BB369_12 Depth 3
	v_ashrrev_i32_e32 v13, 31, v12
	v_lshlrev_b64 v[0:1], 2, v[12:13]
	v_mov_b32_e32 v2, s21
	v_add_co_u32_e32 v0, vcc, s20, v0
	v_addc_co_u32_e32 v1, vcc, v2, v1, vcc
	global_load_dword v2, v[0:1], off
	v_lshlrev_b64 v[0:1], 3, v[12:13]
	v_mov_b32_e32 v3, s23
	v_add_co_u32_e32 v0, vcc, s22, v0
	v_addc_co_u32_e32 v1, vcc, v3, v1, vcc
	global_load_dwordx2 v[0:1], v[0:1], off
	v_mov_b32_e32 v11, s27
	s_mov_b64 s[28:29], 0
	s_waitcnt vmcnt(1)
	v_subrev_u32_e32 v2, s2, v2
	v_ashrrev_i32_e32 v3, 31, v2
	v_lshlrev_b64 v[2:3], 4, v[2:3]
	v_add_co_u32_e32 v18, vcc, s26, v2
	v_addc_co_u32_e32 v19, vcc, v11, v3, vcc
	global_load_dwordx2 v[2:3], v[18:19], off
	s_waitcnt vmcnt(1)
	v_cndmask_b32_e64 v1, v1, -v1, s[6:7]
	v_cvt_f64_f32_e32 v[22:23], v1
	v_cvt_f64_f32_e32 v[20:21], v0
	v_mul_f64 v[24:25], -v[16:17], v[22:23]
	v_fmac_f64_e32 v[24:25], v[14:15], v[20:21]
.LBB369_10:                             ;   Parent Loop BB369_7 Depth=1
                                        ;     Parent Loop BB369_9 Depth=2
                                        ; =>    This Inner Loop Header: Depth=3
	s_waitcnt vmcnt(0)
	v_add_f64 v[0:1], v[2:3], v[24:25]
	global_atomic_cmpswap_x2 v[0:1], v[18:19], v[0:3], off glc
	s_waitcnt vmcnt(0)
	v_cmp_eq_u64_e32 vcc, v[0:1], v[2:3]
	s_or_b64 s[28:29], vcc, s[28:29]
	v_pk_mov_b32 v[2:3], v[0:1], v[0:1] op_sel:[0,1]
	s_andn2_b64 exec, exec, s[28:29]
	s_cbranch_execnz .LBB369_10
; %bb.11:                               ;   in Loop: Header=BB369_9 Depth=2
	s_or_b64 exec, exec, s[28:29]
	global_load_dwordx2 v[2:3], v[18:19], off offset:8
	v_mul_f64 v[22:23], v[14:15], v[22:23]
	v_fmac_f64_e32 v[22:23], v[16:17], v[20:21]
	s_mov_b64 s[28:29], 0
.LBB369_12:                             ;   Parent Loop BB369_7 Depth=1
                                        ;     Parent Loop BB369_9 Depth=2
                                        ; =>    This Inner Loop Header: Depth=3
	s_waitcnt vmcnt(0)
	v_add_f64 v[0:1], v[2:3], v[22:23]
	global_atomic_cmpswap_x2 v[0:1], v[18:19], v[0:3], off offset:8 glc
	s_waitcnt vmcnt(0)
	v_cmp_eq_u64_e32 vcc, v[0:1], v[2:3]
	s_or_b64 s[28:29], vcc, s[28:29]
	v_pk_mov_b32 v[2:3], v[0:1], v[0:1] op_sel:[0,1]
	s_andn2_b64 exec, exec, s[28:29]
	s_cbranch_execnz .LBB369_12
; %bb.13:                               ;   in Loop: Header=BB369_9 Depth=2
	s_or_b64 exec, exec, s[28:29]
	v_add_u32_e32 v12, 4, v12
	v_cmp_ge_i32_e32 vcc, v12, v29
	s_or_b64 s[14:15], vcc, s[14:15]
	s_andn2_b64 exec, exec, s[14:15]
	s_cbranch_execnz .LBB369_9
	s_branch .LBB369_6
.LBB369_14:
	s_or_b64 exec, exec, s[8:9]
	s_mov_b64 s[8:9], 0
.LBB369_15:
	s_andn2_b64 vcc, exec, s[8:9]
	s_cbranch_vccnz .LBB369_27
; %bb.16:
	s_and_b64 exec, exec, s[0:1]
	s_cbranch_execz .LBB369_27
; %bb.17:
	v_subrev_u32_e32 v24, s2, v9
	s_mov_b64 s[0:1], 0
	v_mov_b32_e32 v25, s17
	v_mov_b32_e32 v26, s19
	s_branch .LBB369_19
.LBB369_18:                             ;   in Loop: Header=BB369_19 Depth=1
	s_or_b64 exec, exec, s[8:9]
	v_add_u32_e32 v8, s3, v8
	v_cmp_le_i32_e32 vcc, s5, v8
	s_or_b64 s[0:1], vcc, s[0:1]
	s_andn2_b64 exec, exec, s[0:1]
	s_cbranch_execz .LBB369_27
.LBB369_19:                             ; =>This Loop Header: Depth=1
                                        ;     Child Loop BB369_22 Depth 2
                                        ;       Child Loop BB369_24 Depth 3
                                        ;       Child Loop BB369_26 Depth 3
	v_ashrrev_i32_e32 v9, 31, v8
	v_lshlrev_b64 v[0:1], 2, v[8:9]
	v_add_co_u32_e32 v2, vcc, s16, v0
	v_addc_co_u32_e32 v3, vcc, v25, v1, vcc
	v_add_co_u32_e32 v0, vcc, s18, v0
	v_addc_co_u32_e32 v1, vcc, v26, v1, vcc
	global_load_dword v10, v[0:1], off
	global_load_dword v11, v[2:3], off
	s_waitcnt vmcnt(1)
	v_subrev_u32_e32 v27, s2, v10
	s_waitcnt vmcnt(0)
	v_add_u32_e32 v10, v11, v24
	v_cmp_lt_i32_e32 vcc, v10, v27
	s_and_saveexec_b64 s[8:9], vcc
	s_cbranch_execz .LBB369_18
; %bb.20:                               ;   in Loop: Header=BB369_19 Depth=1
	v_lshlrev_b64 v[0:1], 4, v[8:9]
	v_mov_b32_e32 v2, s25
	v_add_co_u32_e32 v0, vcc, s24, v0
	v_addc_co_u32_e32 v1, vcc, v2, v1, vcc
	global_load_dwordx4 v[0:3], v[0:1], off
	s_mov_b64 s[10:11], 0
	s_waitcnt vmcnt(0)
	v_mul_f64 v[12:13], v[2:3], -v[6:7]
	v_mul_f64 v[14:15], v[4:5], v[2:3]
	v_fmac_f64_e32 v[12:13], v[4:5], v[0:1]
	v_fmac_f64_e32 v[14:15], v[6:7], v[0:1]
	s_branch .LBB369_22
.LBB369_21:                             ;   in Loop: Header=BB369_22 Depth=2
	s_or_b64 exec, exec, s[12:13]
	v_add_u32_e32 v10, 4, v10
	v_cmp_ge_i32_e32 vcc, v10, v27
	s_or_b64 s[10:11], vcc, s[10:11]
	s_andn2_b64 exec, exec, s[10:11]
	s_cbranch_execz .LBB369_18
.LBB369_22:                             ;   Parent Loop BB369_19 Depth=1
                                        ; =>  This Loop Header: Depth=2
                                        ;       Child Loop BB369_24 Depth 3
                                        ;       Child Loop BB369_26 Depth 3
	v_ashrrev_i32_e32 v11, 31, v10
	v_lshlrev_b64 v[0:1], 2, v[10:11]
	v_mov_b32_e32 v2, s21
	v_add_co_u32_e32 v0, vcc, s20, v0
	v_addc_co_u32_e32 v1, vcc, v2, v1, vcc
	global_load_dword v0, v[0:1], off
	s_waitcnt vmcnt(0)
	v_subrev_u32_e32 v0, s2, v0
	v_cmp_ne_u32_e32 vcc, v0, v8
	s_and_saveexec_b64 s[12:13], vcc
	s_cbranch_execz .LBB369_21
; %bb.23:                               ;   in Loop: Header=BB369_22 Depth=2
	v_lshlrev_b64 v[2:3], 3, v[10:11]
	v_mov_b32_e32 v1, s23
	v_add_co_u32_e32 v2, vcc, s22, v2
	v_addc_co_u32_e32 v3, vcc, v1, v3, vcc
	global_load_dwordx2 v[18:19], v[2:3], off
	v_ashrrev_i32_e32 v1, 31, v0
	v_lshlrev_b64 v[0:1], 4, v[0:1]
	v_mov_b32_e32 v2, s27
	v_add_co_u32_e32 v16, vcc, s26, v0
	v_addc_co_u32_e32 v17, vcc, v2, v1, vcc
	global_load_dwordx2 v[2:3], v[16:17], off
	s_mov_b64 s[14:15], 0
	s_waitcnt vmcnt(1)
	v_cndmask_b32_e64 v0, v19, -v19, s[6:7]
	v_cvt_f64_f32_e32 v[20:21], v0
	v_cvt_f64_f32_e32 v[18:19], v18
	v_mul_f64 v[22:23], -v[14:15], v[20:21]
	v_fmac_f64_e32 v[22:23], v[12:13], v[18:19]
.LBB369_24:                             ;   Parent Loop BB369_19 Depth=1
                                        ;     Parent Loop BB369_22 Depth=2
                                        ; =>    This Inner Loop Header: Depth=3
	s_waitcnt vmcnt(0)
	v_add_f64 v[0:1], v[2:3], v[22:23]
	global_atomic_cmpswap_x2 v[0:1], v[16:17], v[0:3], off glc
	s_waitcnt vmcnt(0)
	v_cmp_eq_u64_e32 vcc, v[0:1], v[2:3]
	s_or_b64 s[14:15], vcc, s[14:15]
	v_pk_mov_b32 v[2:3], v[0:1], v[0:1] op_sel:[0,1]
	s_andn2_b64 exec, exec, s[14:15]
	s_cbranch_execnz .LBB369_24
; %bb.25:                               ;   in Loop: Header=BB369_22 Depth=2
	s_or_b64 exec, exec, s[14:15]
	global_load_dwordx2 v[2:3], v[16:17], off offset:8
	v_mul_f64 v[20:21], v[12:13], v[20:21]
	v_fmac_f64_e32 v[20:21], v[14:15], v[18:19]
	s_mov_b64 s[14:15], 0
.LBB369_26:                             ;   Parent Loop BB369_19 Depth=1
                                        ;     Parent Loop BB369_22 Depth=2
                                        ; =>    This Inner Loop Header: Depth=3
	s_waitcnt vmcnt(0)
	v_add_f64 v[0:1], v[2:3], v[20:21]
	global_atomic_cmpswap_x2 v[0:1], v[16:17], v[0:3], off offset:8 glc
	s_waitcnt vmcnt(0)
	v_cmp_eq_u64_e32 vcc, v[0:1], v[2:3]
	s_or_b64 s[14:15], vcc, s[14:15]
	v_pk_mov_b32 v[2:3], v[0:1], v[0:1] op_sel:[0,1]
	s_andn2_b64 exec, exec, s[14:15]
	s_cbranch_execnz .LBB369_26
	s_branch .LBB369_21
.LBB369_27:
	s_endpgm
	.section	.rodata,"a",@progbits
	.p2align	6, 0x0
	.amdhsa_kernel _ZN9rocsparseL21csrmvt_general_kernelILj256ELj4Eii21rocsparse_complex_numIfES1_IdES3_S3_EEvbbT2_NS_24const_host_device_scalarIT6_EEPKT1_SA_PKS4_PKT3_PKT4_PT5_21rocsparse_index_base_b
		.amdhsa_group_segment_fixed_size 2048
		.amdhsa_private_segment_fixed_size 0
		.amdhsa_kernarg_size 336
		.amdhsa_user_sgpr_count 8
		.amdhsa_user_sgpr_private_segment_buffer 1
		.amdhsa_user_sgpr_dispatch_ptr 1
		.amdhsa_user_sgpr_queue_ptr 0
		.amdhsa_user_sgpr_kernarg_segment_ptr 1
		.amdhsa_user_sgpr_dispatch_id 0
		.amdhsa_user_sgpr_flat_scratch_init 0
		.amdhsa_user_sgpr_kernarg_preload_length 0
		.amdhsa_user_sgpr_kernarg_preload_offset 0
		.amdhsa_user_sgpr_private_segment_size 0
		.amdhsa_uses_dynamic_stack 0
		.amdhsa_system_sgpr_private_segment_wavefront_offset 0
		.amdhsa_system_sgpr_workgroup_id_x 1
		.amdhsa_system_sgpr_workgroup_id_y 0
		.amdhsa_system_sgpr_workgroup_id_z 0
		.amdhsa_system_sgpr_workgroup_info 0
		.amdhsa_system_vgpr_workitem_id 2
		.amdhsa_next_free_vgpr 30
		.amdhsa_next_free_sgpr 30
		.amdhsa_accum_offset 32
		.amdhsa_reserve_vcc 1
		.amdhsa_reserve_flat_scratch 0
		.amdhsa_float_round_mode_32 0
		.amdhsa_float_round_mode_16_64 0
		.amdhsa_float_denorm_mode_32 3
		.amdhsa_float_denorm_mode_16_64 3
		.amdhsa_dx10_clamp 1
		.amdhsa_ieee_mode 1
		.amdhsa_fp16_overflow 0
		.amdhsa_tg_split 0
		.amdhsa_exception_fp_ieee_invalid_op 0
		.amdhsa_exception_fp_denorm_src 0
		.amdhsa_exception_fp_ieee_div_zero 0
		.amdhsa_exception_fp_ieee_overflow 0
		.amdhsa_exception_fp_ieee_underflow 0
		.amdhsa_exception_fp_ieee_inexact 0
		.amdhsa_exception_int_div_zero 0
	.end_amdhsa_kernel
	.section	.text._ZN9rocsparseL21csrmvt_general_kernelILj256ELj4Eii21rocsparse_complex_numIfES1_IdES3_S3_EEvbbT2_NS_24const_host_device_scalarIT6_EEPKT1_SA_PKS4_PKT3_PKT4_PT5_21rocsparse_index_base_b,"axG",@progbits,_ZN9rocsparseL21csrmvt_general_kernelILj256ELj4Eii21rocsparse_complex_numIfES1_IdES3_S3_EEvbbT2_NS_24const_host_device_scalarIT6_EEPKT1_SA_PKS4_PKT3_PKT4_PT5_21rocsparse_index_base_b,comdat
.Lfunc_end369:
	.size	_ZN9rocsparseL21csrmvt_general_kernelILj256ELj4Eii21rocsparse_complex_numIfES1_IdES3_S3_EEvbbT2_NS_24const_host_device_scalarIT6_EEPKT1_SA_PKS4_PKT3_PKT4_PT5_21rocsparse_index_base_b, .Lfunc_end369-_ZN9rocsparseL21csrmvt_general_kernelILj256ELj4Eii21rocsparse_complex_numIfES1_IdES3_S3_EEvbbT2_NS_24const_host_device_scalarIT6_EEPKT1_SA_PKS4_PKT3_PKT4_PT5_21rocsparse_index_base_b
                                        ; -- End function
	.section	.AMDGPU.csdata,"",@progbits
; Kernel info:
; codeLenInByte = 1268
; NumSgprs: 34
; NumVgprs: 30
; NumAgprs: 0
; TotalNumVgprs: 30
; ScratchSize: 0
; MemoryBound: 0
; FloatMode: 240
; IeeeMode: 1
; LDSByteSize: 2048 bytes/workgroup (compile time only)
; SGPRBlocks: 4
; VGPRBlocks: 3
; NumSGPRsForWavesPerEU: 34
; NumVGPRsForWavesPerEU: 30
; AccumOffset: 32
; Occupancy: 8
; WaveLimiterHint : 1
; COMPUTE_PGM_RSRC2:SCRATCH_EN: 0
; COMPUTE_PGM_RSRC2:USER_SGPR: 8
; COMPUTE_PGM_RSRC2:TRAP_HANDLER: 0
; COMPUTE_PGM_RSRC2:TGID_X_EN: 1
; COMPUTE_PGM_RSRC2:TGID_Y_EN: 0
; COMPUTE_PGM_RSRC2:TGID_Z_EN: 0
; COMPUTE_PGM_RSRC2:TIDIG_COMP_CNT: 2
; COMPUTE_PGM_RSRC3_GFX90A:ACCUM_OFFSET: 7
; COMPUTE_PGM_RSRC3_GFX90A:TG_SPLIT: 0
	.section	.text._ZN9rocsparseL21csrmvt_general_kernelILj256ELj8Eii21rocsparse_complex_numIfES1_IdES3_S3_EEvbbT2_NS_24const_host_device_scalarIT6_EEPKT1_SA_PKS4_PKT3_PKT4_PT5_21rocsparse_index_base_b,"axG",@progbits,_ZN9rocsparseL21csrmvt_general_kernelILj256ELj8Eii21rocsparse_complex_numIfES1_IdES3_S3_EEvbbT2_NS_24const_host_device_scalarIT6_EEPKT1_SA_PKS4_PKT3_PKT4_PT5_21rocsparse_index_base_b,comdat
	.globl	_ZN9rocsparseL21csrmvt_general_kernelILj256ELj8Eii21rocsparse_complex_numIfES1_IdES3_S3_EEvbbT2_NS_24const_host_device_scalarIT6_EEPKT1_SA_PKS4_PKT3_PKT4_PT5_21rocsparse_index_base_b ; -- Begin function _ZN9rocsparseL21csrmvt_general_kernelILj256ELj8Eii21rocsparse_complex_numIfES1_IdES3_S3_EEvbbT2_NS_24const_host_device_scalarIT6_EEPKT1_SA_PKS4_PKT3_PKT4_PT5_21rocsparse_index_base_b
	.p2align	8
	.type	_ZN9rocsparseL21csrmvt_general_kernelILj256ELj8Eii21rocsparse_complex_numIfES1_IdES3_S3_EEvbbT2_NS_24const_host_device_scalarIT6_EEPKT1_SA_PKS4_PKT3_PKT4_PT5_21rocsparse_index_base_b,@function
_ZN9rocsparseL21csrmvt_general_kernelILj256ELj8Eii21rocsparse_complex_numIfES1_IdES3_S3_EEvbbT2_NS_24const_host_device_scalarIT6_EEPKT1_SA_PKS4_PKT3_PKT4_PT5_21rocsparse_index_base_b: ; @_ZN9rocsparseL21csrmvt_general_kernelILj256ELj8Eii21rocsparse_complex_numIfES1_IdES3_S3_EEvbbT2_NS_24const_host_device_scalarIT6_EEPKT1_SA_PKS4_PKT3_PKT4_PT5_21rocsparse_index_base_b
; %bb.0:
	s_load_dwordx2 s[2:3], s[6:7], 0x48
	s_load_dwordx2 s[0:1], s[4:5], 0x4
	s_load_dwordx8 s[12:19], s[6:7], 0x8
	v_and_b32_e32 v1, 0x3ff, v0
	v_bfe_u32 v3, v0, 10, 10
	s_waitcnt lgkmcnt(0)
	s_and_b32 s3, 1, s3
	s_lshr_b32 s0, s0, 16
	s_mul_i32 s0, s0, s1
	v_mul_lo_u32 v2, s0, v1
	s_cmp_eq_u32 s3, 1
	v_mad_u32_u24 v2, v3, s1, v2
	v_bfe_u32 v0, v0, 20, 10
	v_add_lshl_u32 v0, v2, v0, 3
	v_pk_mov_b32 v[2:3], s[12:13], s[12:13] op_sel:[0,1]
	s_cselect_b64 vcc, -1, 0
	ds_write_b64 v0, v[2:3]
	s_mov_b64 s[0:1], src_shared_base
	v_cndmask_b32_e32 v2, v2, v0, vcc
	s_and_b64 vcc, vcc, exec
	s_cselect_b32 s0, s1, s13
	v_mov_b32_e32 v3, s0
	flat_load_dwordx2 v[4:5], v[2:3]
	v_pk_mov_b32 v[6:7], s[14:15], s[14:15] op_sel:[0,1]
	s_cbranch_vccnz .LBB370_2
; %bb.1:
	v_pk_mov_b32 v[2:3], s[12:13], s[12:13] op_sel:[0,1]
	flat_load_dwordx2 v[6:7], v[2:3] offset:8
.LBB370_2:
	s_waitcnt vmcnt(0) lgkmcnt(0)
	v_cmp_neq_f64_e32 vcc, 0, v[4:5]
	v_cmp_neq_f64_e64 s[0:1], 0, v[6:7]
	s_or_b64 s[0:1], vcc, s[0:1]
	s_and_saveexec_b64 s[4:5], s[0:1]
	s_cbranch_execz .LBB370_27
; %bb.3:
	s_load_dword s0, s[6:7], 0x0
	s_load_dwordx2 s[4:5], s[6:7], 0x0
	s_load_dword s1, s[6:7], 0x50
	s_load_dwordx8 s[20:27], s[6:7], 0x28
	v_lshl_or_b32 v0, s8, 8, v1
	s_waitcnt lgkmcnt(0)
	s_and_b32 s0, s0, 1
	s_bitcmp1_b32 s4, 8
	s_cselect_b64 s[6:7], -1, 0
	s_lshl_b32 s3, s1, 5
	v_lshrrev_b32_e32 v8, 3, v0
	s_cmp_eq_u32 s0, 0
	v_and_b32_e32 v9, 7, v1
	v_cmp_gt_i32_e64 s[0:1], s5, v8
	s_mov_b64 s[8:9], -1
	s_cbranch_scc0 .LBB370_15
; %bb.4:
	s_and_saveexec_b64 s[8:9], s[0:1]
	s_cbranch_execz .LBB370_14
; %bb.5:
	v_subrev_u32_e32 v26, s2, v9
	s_mov_b64 s[10:11], 0
	v_mov_b32_e32 v27, s17
	v_mov_b32_e32 v28, s19
	;; [unrolled: 1-line block ×3, first 2 shown]
	s_branch .LBB370_7
.LBB370_6:                              ;   in Loop: Header=BB370_7 Depth=1
	s_or_b64 exec, exec, s[12:13]
	v_add_u32_e32 v10, s3, v10
	v_cmp_le_i32_e32 vcc, s5, v10
	s_or_b64 s[10:11], vcc, s[10:11]
	s_andn2_b64 exec, exec, s[10:11]
	s_cbranch_execz .LBB370_14
.LBB370_7:                              ; =>This Loop Header: Depth=1
                                        ;     Child Loop BB370_9 Depth 2
                                        ;       Child Loop BB370_10 Depth 3
                                        ;       Child Loop BB370_12 Depth 3
	v_ashrrev_i32_e32 v11, 31, v10
	v_lshlrev_b64 v[0:1], 2, v[10:11]
	v_add_co_u32_e32 v2, vcc, s16, v0
	v_addc_co_u32_e32 v3, vcc, v27, v1, vcc
	v_add_co_u32_e32 v0, vcc, s18, v0
	v_addc_co_u32_e32 v1, vcc, v28, v1, vcc
	global_load_dword v12, v[0:1], off
	global_load_dword v13, v[2:3], off
	s_waitcnt vmcnt(1)
	v_subrev_u32_e32 v29, s2, v12
	s_waitcnt vmcnt(0)
	v_add_u32_e32 v12, v13, v26
	v_cmp_lt_i32_e32 vcc, v12, v29
	s_and_saveexec_b64 s[12:13], vcc
	s_cbranch_execz .LBB370_6
; %bb.8:                                ;   in Loop: Header=BB370_7 Depth=1
	v_lshlrev_b64 v[0:1], 4, v[10:11]
	v_mov_b32_e32 v2, s25
	v_add_co_u32_e32 v0, vcc, s24, v0
	v_addc_co_u32_e32 v1, vcc, v2, v1, vcc
	global_load_dwordx4 v[0:3], v[0:1], off
	s_mov_b64 s[14:15], 0
	s_waitcnt vmcnt(0)
	v_mul_f64 v[14:15], v[2:3], -v[6:7]
	v_mul_f64 v[16:17], v[4:5], v[2:3]
	v_fmac_f64_e32 v[14:15], v[4:5], v[0:1]
	v_fmac_f64_e32 v[16:17], v[6:7], v[0:1]
.LBB370_9:                              ;   Parent Loop BB370_7 Depth=1
                                        ; =>  This Loop Header: Depth=2
                                        ;       Child Loop BB370_10 Depth 3
                                        ;       Child Loop BB370_12 Depth 3
	v_ashrrev_i32_e32 v13, 31, v12
	v_lshlrev_b64 v[0:1], 2, v[12:13]
	v_mov_b32_e32 v2, s21
	v_add_co_u32_e32 v0, vcc, s20, v0
	v_addc_co_u32_e32 v1, vcc, v2, v1, vcc
	global_load_dword v2, v[0:1], off
	v_lshlrev_b64 v[0:1], 3, v[12:13]
	v_mov_b32_e32 v3, s23
	v_add_co_u32_e32 v0, vcc, s22, v0
	v_addc_co_u32_e32 v1, vcc, v3, v1, vcc
	global_load_dwordx2 v[0:1], v[0:1], off
	v_mov_b32_e32 v11, s27
	s_mov_b64 s[28:29], 0
	s_waitcnt vmcnt(1)
	v_subrev_u32_e32 v2, s2, v2
	v_ashrrev_i32_e32 v3, 31, v2
	v_lshlrev_b64 v[2:3], 4, v[2:3]
	v_add_co_u32_e32 v18, vcc, s26, v2
	v_addc_co_u32_e32 v19, vcc, v11, v3, vcc
	global_load_dwordx2 v[2:3], v[18:19], off
	s_waitcnt vmcnt(1)
	v_cndmask_b32_e64 v1, v1, -v1, s[6:7]
	v_cvt_f64_f32_e32 v[22:23], v1
	v_cvt_f64_f32_e32 v[20:21], v0
	v_mul_f64 v[24:25], -v[16:17], v[22:23]
	v_fmac_f64_e32 v[24:25], v[14:15], v[20:21]
.LBB370_10:                             ;   Parent Loop BB370_7 Depth=1
                                        ;     Parent Loop BB370_9 Depth=2
                                        ; =>    This Inner Loop Header: Depth=3
	s_waitcnt vmcnt(0)
	v_add_f64 v[0:1], v[2:3], v[24:25]
	global_atomic_cmpswap_x2 v[0:1], v[18:19], v[0:3], off glc
	s_waitcnt vmcnt(0)
	v_cmp_eq_u64_e32 vcc, v[0:1], v[2:3]
	s_or_b64 s[28:29], vcc, s[28:29]
	v_pk_mov_b32 v[2:3], v[0:1], v[0:1] op_sel:[0,1]
	s_andn2_b64 exec, exec, s[28:29]
	s_cbranch_execnz .LBB370_10
; %bb.11:                               ;   in Loop: Header=BB370_9 Depth=2
	s_or_b64 exec, exec, s[28:29]
	global_load_dwordx2 v[2:3], v[18:19], off offset:8
	v_mul_f64 v[22:23], v[14:15], v[22:23]
	v_fmac_f64_e32 v[22:23], v[16:17], v[20:21]
	s_mov_b64 s[28:29], 0
.LBB370_12:                             ;   Parent Loop BB370_7 Depth=1
                                        ;     Parent Loop BB370_9 Depth=2
                                        ; =>    This Inner Loop Header: Depth=3
	s_waitcnt vmcnt(0)
	v_add_f64 v[0:1], v[2:3], v[22:23]
	global_atomic_cmpswap_x2 v[0:1], v[18:19], v[0:3], off offset:8 glc
	s_waitcnt vmcnt(0)
	v_cmp_eq_u64_e32 vcc, v[0:1], v[2:3]
	s_or_b64 s[28:29], vcc, s[28:29]
	v_pk_mov_b32 v[2:3], v[0:1], v[0:1] op_sel:[0,1]
	s_andn2_b64 exec, exec, s[28:29]
	s_cbranch_execnz .LBB370_12
; %bb.13:                               ;   in Loop: Header=BB370_9 Depth=2
	s_or_b64 exec, exec, s[28:29]
	v_add_u32_e32 v12, 8, v12
	v_cmp_ge_i32_e32 vcc, v12, v29
	s_or_b64 s[14:15], vcc, s[14:15]
	s_andn2_b64 exec, exec, s[14:15]
	s_cbranch_execnz .LBB370_9
	s_branch .LBB370_6
.LBB370_14:
	s_or_b64 exec, exec, s[8:9]
	s_mov_b64 s[8:9], 0
.LBB370_15:
	s_andn2_b64 vcc, exec, s[8:9]
	s_cbranch_vccnz .LBB370_27
; %bb.16:
	s_and_b64 exec, exec, s[0:1]
	s_cbranch_execz .LBB370_27
; %bb.17:
	v_subrev_u32_e32 v24, s2, v9
	s_mov_b64 s[0:1], 0
	v_mov_b32_e32 v25, s17
	v_mov_b32_e32 v26, s19
	s_branch .LBB370_19
.LBB370_18:                             ;   in Loop: Header=BB370_19 Depth=1
	s_or_b64 exec, exec, s[8:9]
	v_add_u32_e32 v8, s3, v8
	v_cmp_le_i32_e32 vcc, s5, v8
	s_or_b64 s[0:1], vcc, s[0:1]
	s_andn2_b64 exec, exec, s[0:1]
	s_cbranch_execz .LBB370_27
.LBB370_19:                             ; =>This Loop Header: Depth=1
                                        ;     Child Loop BB370_22 Depth 2
                                        ;       Child Loop BB370_24 Depth 3
                                        ;       Child Loop BB370_26 Depth 3
	v_ashrrev_i32_e32 v9, 31, v8
	v_lshlrev_b64 v[0:1], 2, v[8:9]
	v_add_co_u32_e32 v2, vcc, s16, v0
	v_addc_co_u32_e32 v3, vcc, v25, v1, vcc
	v_add_co_u32_e32 v0, vcc, s18, v0
	v_addc_co_u32_e32 v1, vcc, v26, v1, vcc
	global_load_dword v10, v[0:1], off
	global_load_dword v11, v[2:3], off
	s_waitcnt vmcnt(1)
	v_subrev_u32_e32 v27, s2, v10
	s_waitcnt vmcnt(0)
	v_add_u32_e32 v10, v11, v24
	v_cmp_lt_i32_e32 vcc, v10, v27
	s_and_saveexec_b64 s[8:9], vcc
	s_cbranch_execz .LBB370_18
; %bb.20:                               ;   in Loop: Header=BB370_19 Depth=1
	v_lshlrev_b64 v[0:1], 4, v[8:9]
	v_mov_b32_e32 v2, s25
	v_add_co_u32_e32 v0, vcc, s24, v0
	v_addc_co_u32_e32 v1, vcc, v2, v1, vcc
	global_load_dwordx4 v[0:3], v[0:1], off
	s_mov_b64 s[10:11], 0
	s_waitcnt vmcnt(0)
	v_mul_f64 v[12:13], v[2:3], -v[6:7]
	v_mul_f64 v[14:15], v[4:5], v[2:3]
	v_fmac_f64_e32 v[12:13], v[4:5], v[0:1]
	v_fmac_f64_e32 v[14:15], v[6:7], v[0:1]
	s_branch .LBB370_22
.LBB370_21:                             ;   in Loop: Header=BB370_22 Depth=2
	s_or_b64 exec, exec, s[12:13]
	v_add_u32_e32 v10, 8, v10
	v_cmp_ge_i32_e32 vcc, v10, v27
	s_or_b64 s[10:11], vcc, s[10:11]
	s_andn2_b64 exec, exec, s[10:11]
	s_cbranch_execz .LBB370_18
.LBB370_22:                             ;   Parent Loop BB370_19 Depth=1
                                        ; =>  This Loop Header: Depth=2
                                        ;       Child Loop BB370_24 Depth 3
                                        ;       Child Loop BB370_26 Depth 3
	v_ashrrev_i32_e32 v11, 31, v10
	v_lshlrev_b64 v[0:1], 2, v[10:11]
	v_mov_b32_e32 v2, s21
	v_add_co_u32_e32 v0, vcc, s20, v0
	v_addc_co_u32_e32 v1, vcc, v2, v1, vcc
	global_load_dword v0, v[0:1], off
	s_waitcnt vmcnt(0)
	v_subrev_u32_e32 v0, s2, v0
	v_cmp_ne_u32_e32 vcc, v0, v8
	s_and_saveexec_b64 s[12:13], vcc
	s_cbranch_execz .LBB370_21
; %bb.23:                               ;   in Loop: Header=BB370_22 Depth=2
	v_lshlrev_b64 v[2:3], 3, v[10:11]
	v_mov_b32_e32 v1, s23
	v_add_co_u32_e32 v2, vcc, s22, v2
	v_addc_co_u32_e32 v3, vcc, v1, v3, vcc
	global_load_dwordx2 v[18:19], v[2:3], off
	v_ashrrev_i32_e32 v1, 31, v0
	v_lshlrev_b64 v[0:1], 4, v[0:1]
	v_mov_b32_e32 v2, s27
	v_add_co_u32_e32 v16, vcc, s26, v0
	v_addc_co_u32_e32 v17, vcc, v2, v1, vcc
	global_load_dwordx2 v[2:3], v[16:17], off
	s_mov_b64 s[14:15], 0
	s_waitcnt vmcnt(1)
	v_cndmask_b32_e64 v0, v19, -v19, s[6:7]
	v_cvt_f64_f32_e32 v[20:21], v0
	v_cvt_f64_f32_e32 v[18:19], v18
	v_mul_f64 v[22:23], -v[14:15], v[20:21]
	v_fmac_f64_e32 v[22:23], v[12:13], v[18:19]
.LBB370_24:                             ;   Parent Loop BB370_19 Depth=1
                                        ;     Parent Loop BB370_22 Depth=2
                                        ; =>    This Inner Loop Header: Depth=3
	s_waitcnt vmcnt(0)
	v_add_f64 v[0:1], v[2:3], v[22:23]
	global_atomic_cmpswap_x2 v[0:1], v[16:17], v[0:3], off glc
	s_waitcnt vmcnt(0)
	v_cmp_eq_u64_e32 vcc, v[0:1], v[2:3]
	s_or_b64 s[14:15], vcc, s[14:15]
	v_pk_mov_b32 v[2:3], v[0:1], v[0:1] op_sel:[0,1]
	s_andn2_b64 exec, exec, s[14:15]
	s_cbranch_execnz .LBB370_24
; %bb.25:                               ;   in Loop: Header=BB370_22 Depth=2
	s_or_b64 exec, exec, s[14:15]
	global_load_dwordx2 v[2:3], v[16:17], off offset:8
	v_mul_f64 v[20:21], v[12:13], v[20:21]
	v_fmac_f64_e32 v[20:21], v[14:15], v[18:19]
	s_mov_b64 s[14:15], 0
.LBB370_26:                             ;   Parent Loop BB370_19 Depth=1
                                        ;     Parent Loop BB370_22 Depth=2
                                        ; =>    This Inner Loop Header: Depth=3
	s_waitcnt vmcnt(0)
	v_add_f64 v[0:1], v[2:3], v[20:21]
	global_atomic_cmpswap_x2 v[0:1], v[16:17], v[0:3], off offset:8 glc
	s_waitcnt vmcnt(0)
	v_cmp_eq_u64_e32 vcc, v[0:1], v[2:3]
	s_or_b64 s[14:15], vcc, s[14:15]
	v_pk_mov_b32 v[2:3], v[0:1], v[0:1] op_sel:[0,1]
	s_andn2_b64 exec, exec, s[14:15]
	s_cbranch_execnz .LBB370_26
	s_branch .LBB370_21
.LBB370_27:
	s_endpgm
	.section	.rodata,"a",@progbits
	.p2align	6, 0x0
	.amdhsa_kernel _ZN9rocsparseL21csrmvt_general_kernelILj256ELj8Eii21rocsparse_complex_numIfES1_IdES3_S3_EEvbbT2_NS_24const_host_device_scalarIT6_EEPKT1_SA_PKS4_PKT3_PKT4_PT5_21rocsparse_index_base_b
		.amdhsa_group_segment_fixed_size 2048
		.amdhsa_private_segment_fixed_size 0
		.amdhsa_kernarg_size 336
		.amdhsa_user_sgpr_count 8
		.amdhsa_user_sgpr_private_segment_buffer 1
		.amdhsa_user_sgpr_dispatch_ptr 1
		.amdhsa_user_sgpr_queue_ptr 0
		.amdhsa_user_sgpr_kernarg_segment_ptr 1
		.amdhsa_user_sgpr_dispatch_id 0
		.amdhsa_user_sgpr_flat_scratch_init 0
		.amdhsa_user_sgpr_kernarg_preload_length 0
		.amdhsa_user_sgpr_kernarg_preload_offset 0
		.amdhsa_user_sgpr_private_segment_size 0
		.amdhsa_uses_dynamic_stack 0
		.amdhsa_system_sgpr_private_segment_wavefront_offset 0
		.amdhsa_system_sgpr_workgroup_id_x 1
		.amdhsa_system_sgpr_workgroup_id_y 0
		.amdhsa_system_sgpr_workgroup_id_z 0
		.amdhsa_system_sgpr_workgroup_info 0
		.amdhsa_system_vgpr_workitem_id 2
		.amdhsa_next_free_vgpr 30
		.amdhsa_next_free_sgpr 30
		.amdhsa_accum_offset 32
		.amdhsa_reserve_vcc 1
		.amdhsa_reserve_flat_scratch 0
		.amdhsa_float_round_mode_32 0
		.amdhsa_float_round_mode_16_64 0
		.amdhsa_float_denorm_mode_32 3
		.amdhsa_float_denorm_mode_16_64 3
		.amdhsa_dx10_clamp 1
		.amdhsa_ieee_mode 1
		.amdhsa_fp16_overflow 0
		.amdhsa_tg_split 0
		.amdhsa_exception_fp_ieee_invalid_op 0
		.amdhsa_exception_fp_denorm_src 0
		.amdhsa_exception_fp_ieee_div_zero 0
		.amdhsa_exception_fp_ieee_overflow 0
		.amdhsa_exception_fp_ieee_underflow 0
		.amdhsa_exception_fp_ieee_inexact 0
		.amdhsa_exception_int_div_zero 0
	.end_amdhsa_kernel
	.section	.text._ZN9rocsparseL21csrmvt_general_kernelILj256ELj8Eii21rocsparse_complex_numIfES1_IdES3_S3_EEvbbT2_NS_24const_host_device_scalarIT6_EEPKT1_SA_PKS4_PKT3_PKT4_PT5_21rocsparse_index_base_b,"axG",@progbits,_ZN9rocsparseL21csrmvt_general_kernelILj256ELj8Eii21rocsparse_complex_numIfES1_IdES3_S3_EEvbbT2_NS_24const_host_device_scalarIT6_EEPKT1_SA_PKS4_PKT3_PKT4_PT5_21rocsparse_index_base_b,comdat
.Lfunc_end370:
	.size	_ZN9rocsparseL21csrmvt_general_kernelILj256ELj8Eii21rocsparse_complex_numIfES1_IdES3_S3_EEvbbT2_NS_24const_host_device_scalarIT6_EEPKT1_SA_PKS4_PKT3_PKT4_PT5_21rocsparse_index_base_b, .Lfunc_end370-_ZN9rocsparseL21csrmvt_general_kernelILj256ELj8Eii21rocsparse_complex_numIfES1_IdES3_S3_EEvbbT2_NS_24const_host_device_scalarIT6_EEPKT1_SA_PKS4_PKT3_PKT4_PT5_21rocsparse_index_base_b
                                        ; -- End function
	.section	.AMDGPU.csdata,"",@progbits
; Kernel info:
; codeLenInByte = 1268
; NumSgprs: 34
; NumVgprs: 30
; NumAgprs: 0
; TotalNumVgprs: 30
; ScratchSize: 0
; MemoryBound: 0
; FloatMode: 240
; IeeeMode: 1
; LDSByteSize: 2048 bytes/workgroup (compile time only)
; SGPRBlocks: 4
; VGPRBlocks: 3
; NumSGPRsForWavesPerEU: 34
; NumVGPRsForWavesPerEU: 30
; AccumOffset: 32
; Occupancy: 8
; WaveLimiterHint : 1
; COMPUTE_PGM_RSRC2:SCRATCH_EN: 0
; COMPUTE_PGM_RSRC2:USER_SGPR: 8
; COMPUTE_PGM_RSRC2:TRAP_HANDLER: 0
; COMPUTE_PGM_RSRC2:TGID_X_EN: 1
; COMPUTE_PGM_RSRC2:TGID_Y_EN: 0
; COMPUTE_PGM_RSRC2:TGID_Z_EN: 0
; COMPUTE_PGM_RSRC2:TIDIG_COMP_CNT: 2
; COMPUTE_PGM_RSRC3_GFX90A:ACCUM_OFFSET: 7
; COMPUTE_PGM_RSRC3_GFX90A:TG_SPLIT: 0
	.section	.text._ZN9rocsparseL21csrmvt_general_kernelILj256ELj16Eii21rocsparse_complex_numIfES1_IdES3_S3_EEvbbT2_NS_24const_host_device_scalarIT6_EEPKT1_SA_PKS4_PKT3_PKT4_PT5_21rocsparse_index_base_b,"axG",@progbits,_ZN9rocsparseL21csrmvt_general_kernelILj256ELj16Eii21rocsparse_complex_numIfES1_IdES3_S3_EEvbbT2_NS_24const_host_device_scalarIT6_EEPKT1_SA_PKS4_PKT3_PKT4_PT5_21rocsparse_index_base_b,comdat
	.globl	_ZN9rocsparseL21csrmvt_general_kernelILj256ELj16Eii21rocsparse_complex_numIfES1_IdES3_S3_EEvbbT2_NS_24const_host_device_scalarIT6_EEPKT1_SA_PKS4_PKT3_PKT4_PT5_21rocsparse_index_base_b ; -- Begin function _ZN9rocsparseL21csrmvt_general_kernelILj256ELj16Eii21rocsparse_complex_numIfES1_IdES3_S3_EEvbbT2_NS_24const_host_device_scalarIT6_EEPKT1_SA_PKS4_PKT3_PKT4_PT5_21rocsparse_index_base_b
	.p2align	8
	.type	_ZN9rocsparseL21csrmvt_general_kernelILj256ELj16Eii21rocsparse_complex_numIfES1_IdES3_S3_EEvbbT2_NS_24const_host_device_scalarIT6_EEPKT1_SA_PKS4_PKT3_PKT4_PT5_21rocsparse_index_base_b,@function
_ZN9rocsparseL21csrmvt_general_kernelILj256ELj16Eii21rocsparse_complex_numIfES1_IdES3_S3_EEvbbT2_NS_24const_host_device_scalarIT6_EEPKT1_SA_PKS4_PKT3_PKT4_PT5_21rocsparse_index_base_b: ; @_ZN9rocsparseL21csrmvt_general_kernelILj256ELj16Eii21rocsparse_complex_numIfES1_IdES3_S3_EEvbbT2_NS_24const_host_device_scalarIT6_EEPKT1_SA_PKS4_PKT3_PKT4_PT5_21rocsparse_index_base_b
; %bb.0:
	s_load_dwordx2 s[2:3], s[6:7], 0x48
	s_load_dwordx2 s[0:1], s[4:5], 0x4
	s_load_dwordx8 s[12:19], s[6:7], 0x8
	v_and_b32_e32 v1, 0x3ff, v0
	v_bfe_u32 v3, v0, 10, 10
	s_waitcnt lgkmcnt(0)
	s_and_b32 s3, 1, s3
	s_lshr_b32 s0, s0, 16
	s_mul_i32 s0, s0, s1
	v_mul_lo_u32 v2, s0, v1
	s_cmp_eq_u32 s3, 1
	v_mad_u32_u24 v2, v3, s1, v2
	v_bfe_u32 v0, v0, 20, 10
	v_add_lshl_u32 v0, v2, v0, 3
	v_pk_mov_b32 v[2:3], s[12:13], s[12:13] op_sel:[0,1]
	s_cselect_b64 vcc, -1, 0
	ds_write_b64 v0, v[2:3]
	s_mov_b64 s[0:1], src_shared_base
	v_cndmask_b32_e32 v2, v2, v0, vcc
	s_and_b64 vcc, vcc, exec
	s_cselect_b32 s0, s1, s13
	v_mov_b32_e32 v3, s0
	flat_load_dwordx2 v[4:5], v[2:3]
	v_pk_mov_b32 v[6:7], s[14:15], s[14:15] op_sel:[0,1]
	s_cbranch_vccnz .LBB371_2
; %bb.1:
	v_pk_mov_b32 v[2:3], s[12:13], s[12:13] op_sel:[0,1]
	flat_load_dwordx2 v[6:7], v[2:3] offset:8
.LBB371_2:
	s_waitcnt vmcnt(0) lgkmcnt(0)
	v_cmp_neq_f64_e32 vcc, 0, v[4:5]
	v_cmp_neq_f64_e64 s[0:1], 0, v[6:7]
	s_or_b64 s[0:1], vcc, s[0:1]
	s_and_saveexec_b64 s[4:5], s[0:1]
	s_cbranch_execz .LBB371_27
; %bb.3:
	s_load_dword s0, s[6:7], 0x0
	s_load_dwordx2 s[4:5], s[6:7], 0x0
	s_load_dword s1, s[6:7], 0x50
	s_load_dwordx8 s[20:27], s[6:7], 0x28
	v_lshl_or_b32 v0, s8, 8, v1
	s_waitcnt lgkmcnt(0)
	s_and_b32 s0, s0, 1
	s_bitcmp1_b32 s4, 8
	s_cselect_b64 s[6:7], -1, 0
	s_lshl_b32 s3, s1, 4
	v_lshrrev_b32_e32 v8, 4, v0
	s_cmp_eq_u32 s0, 0
	v_and_b32_e32 v9, 15, v1
	v_cmp_gt_i32_e64 s[0:1], s5, v8
	s_mov_b64 s[8:9], -1
	s_cbranch_scc0 .LBB371_15
; %bb.4:
	s_and_saveexec_b64 s[8:9], s[0:1]
	s_cbranch_execz .LBB371_14
; %bb.5:
	v_subrev_u32_e32 v26, s2, v9
	s_mov_b64 s[10:11], 0
	v_mov_b32_e32 v27, s17
	v_mov_b32_e32 v28, s19
	;; [unrolled: 1-line block ×3, first 2 shown]
	s_branch .LBB371_7
.LBB371_6:                              ;   in Loop: Header=BB371_7 Depth=1
	s_or_b64 exec, exec, s[12:13]
	v_add_u32_e32 v10, s3, v10
	v_cmp_le_i32_e32 vcc, s5, v10
	s_or_b64 s[10:11], vcc, s[10:11]
	s_andn2_b64 exec, exec, s[10:11]
	s_cbranch_execz .LBB371_14
.LBB371_7:                              ; =>This Loop Header: Depth=1
                                        ;     Child Loop BB371_9 Depth 2
                                        ;       Child Loop BB371_10 Depth 3
                                        ;       Child Loop BB371_12 Depth 3
	v_ashrrev_i32_e32 v11, 31, v10
	v_lshlrev_b64 v[0:1], 2, v[10:11]
	v_add_co_u32_e32 v2, vcc, s16, v0
	v_addc_co_u32_e32 v3, vcc, v27, v1, vcc
	v_add_co_u32_e32 v0, vcc, s18, v0
	v_addc_co_u32_e32 v1, vcc, v28, v1, vcc
	global_load_dword v12, v[0:1], off
	global_load_dword v13, v[2:3], off
	s_waitcnt vmcnt(1)
	v_subrev_u32_e32 v29, s2, v12
	s_waitcnt vmcnt(0)
	v_add_u32_e32 v12, v13, v26
	v_cmp_lt_i32_e32 vcc, v12, v29
	s_and_saveexec_b64 s[12:13], vcc
	s_cbranch_execz .LBB371_6
; %bb.8:                                ;   in Loop: Header=BB371_7 Depth=1
	v_lshlrev_b64 v[0:1], 4, v[10:11]
	v_mov_b32_e32 v2, s25
	v_add_co_u32_e32 v0, vcc, s24, v0
	v_addc_co_u32_e32 v1, vcc, v2, v1, vcc
	global_load_dwordx4 v[0:3], v[0:1], off
	s_mov_b64 s[14:15], 0
	s_waitcnt vmcnt(0)
	v_mul_f64 v[14:15], v[2:3], -v[6:7]
	v_mul_f64 v[16:17], v[4:5], v[2:3]
	v_fmac_f64_e32 v[14:15], v[4:5], v[0:1]
	v_fmac_f64_e32 v[16:17], v[6:7], v[0:1]
.LBB371_9:                              ;   Parent Loop BB371_7 Depth=1
                                        ; =>  This Loop Header: Depth=2
                                        ;       Child Loop BB371_10 Depth 3
                                        ;       Child Loop BB371_12 Depth 3
	v_ashrrev_i32_e32 v13, 31, v12
	v_lshlrev_b64 v[0:1], 2, v[12:13]
	v_mov_b32_e32 v2, s21
	v_add_co_u32_e32 v0, vcc, s20, v0
	v_addc_co_u32_e32 v1, vcc, v2, v1, vcc
	global_load_dword v2, v[0:1], off
	v_lshlrev_b64 v[0:1], 3, v[12:13]
	v_mov_b32_e32 v3, s23
	v_add_co_u32_e32 v0, vcc, s22, v0
	v_addc_co_u32_e32 v1, vcc, v3, v1, vcc
	global_load_dwordx2 v[0:1], v[0:1], off
	v_mov_b32_e32 v11, s27
	s_mov_b64 s[28:29], 0
	s_waitcnt vmcnt(1)
	v_subrev_u32_e32 v2, s2, v2
	v_ashrrev_i32_e32 v3, 31, v2
	v_lshlrev_b64 v[2:3], 4, v[2:3]
	v_add_co_u32_e32 v18, vcc, s26, v2
	v_addc_co_u32_e32 v19, vcc, v11, v3, vcc
	global_load_dwordx2 v[2:3], v[18:19], off
	s_waitcnt vmcnt(1)
	v_cndmask_b32_e64 v1, v1, -v1, s[6:7]
	v_cvt_f64_f32_e32 v[22:23], v1
	v_cvt_f64_f32_e32 v[20:21], v0
	v_mul_f64 v[24:25], -v[16:17], v[22:23]
	v_fmac_f64_e32 v[24:25], v[14:15], v[20:21]
.LBB371_10:                             ;   Parent Loop BB371_7 Depth=1
                                        ;     Parent Loop BB371_9 Depth=2
                                        ; =>    This Inner Loop Header: Depth=3
	s_waitcnt vmcnt(0)
	v_add_f64 v[0:1], v[2:3], v[24:25]
	global_atomic_cmpswap_x2 v[0:1], v[18:19], v[0:3], off glc
	s_waitcnt vmcnt(0)
	v_cmp_eq_u64_e32 vcc, v[0:1], v[2:3]
	s_or_b64 s[28:29], vcc, s[28:29]
	v_pk_mov_b32 v[2:3], v[0:1], v[0:1] op_sel:[0,1]
	s_andn2_b64 exec, exec, s[28:29]
	s_cbranch_execnz .LBB371_10
; %bb.11:                               ;   in Loop: Header=BB371_9 Depth=2
	s_or_b64 exec, exec, s[28:29]
	global_load_dwordx2 v[2:3], v[18:19], off offset:8
	v_mul_f64 v[22:23], v[14:15], v[22:23]
	v_fmac_f64_e32 v[22:23], v[16:17], v[20:21]
	s_mov_b64 s[28:29], 0
.LBB371_12:                             ;   Parent Loop BB371_7 Depth=1
                                        ;     Parent Loop BB371_9 Depth=2
                                        ; =>    This Inner Loop Header: Depth=3
	s_waitcnt vmcnt(0)
	v_add_f64 v[0:1], v[2:3], v[22:23]
	global_atomic_cmpswap_x2 v[0:1], v[18:19], v[0:3], off offset:8 glc
	s_waitcnt vmcnt(0)
	v_cmp_eq_u64_e32 vcc, v[0:1], v[2:3]
	s_or_b64 s[28:29], vcc, s[28:29]
	v_pk_mov_b32 v[2:3], v[0:1], v[0:1] op_sel:[0,1]
	s_andn2_b64 exec, exec, s[28:29]
	s_cbranch_execnz .LBB371_12
; %bb.13:                               ;   in Loop: Header=BB371_9 Depth=2
	s_or_b64 exec, exec, s[28:29]
	v_add_u32_e32 v12, 16, v12
	v_cmp_ge_i32_e32 vcc, v12, v29
	s_or_b64 s[14:15], vcc, s[14:15]
	s_andn2_b64 exec, exec, s[14:15]
	s_cbranch_execnz .LBB371_9
	s_branch .LBB371_6
.LBB371_14:
	s_or_b64 exec, exec, s[8:9]
	s_mov_b64 s[8:9], 0
.LBB371_15:
	s_andn2_b64 vcc, exec, s[8:9]
	s_cbranch_vccnz .LBB371_27
; %bb.16:
	s_and_b64 exec, exec, s[0:1]
	s_cbranch_execz .LBB371_27
; %bb.17:
	v_subrev_u32_e32 v24, s2, v9
	s_mov_b64 s[0:1], 0
	v_mov_b32_e32 v25, s17
	v_mov_b32_e32 v26, s19
	s_branch .LBB371_19
.LBB371_18:                             ;   in Loop: Header=BB371_19 Depth=1
	s_or_b64 exec, exec, s[8:9]
	v_add_u32_e32 v8, s3, v8
	v_cmp_le_i32_e32 vcc, s5, v8
	s_or_b64 s[0:1], vcc, s[0:1]
	s_andn2_b64 exec, exec, s[0:1]
	s_cbranch_execz .LBB371_27
.LBB371_19:                             ; =>This Loop Header: Depth=1
                                        ;     Child Loop BB371_22 Depth 2
                                        ;       Child Loop BB371_24 Depth 3
                                        ;       Child Loop BB371_26 Depth 3
	v_ashrrev_i32_e32 v9, 31, v8
	v_lshlrev_b64 v[0:1], 2, v[8:9]
	v_add_co_u32_e32 v2, vcc, s16, v0
	v_addc_co_u32_e32 v3, vcc, v25, v1, vcc
	v_add_co_u32_e32 v0, vcc, s18, v0
	v_addc_co_u32_e32 v1, vcc, v26, v1, vcc
	global_load_dword v10, v[0:1], off
	global_load_dword v11, v[2:3], off
	s_waitcnt vmcnt(1)
	v_subrev_u32_e32 v27, s2, v10
	s_waitcnt vmcnt(0)
	v_add_u32_e32 v10, v11, v24
	v_cmp_lt_i32_e32 vcc, v10, v27
	s_and_saveexec_b64 s[8:9], vcc
	s_cbranch_execz .LBB371_18
; %bb.20:                               ;   in Loop: Header=BB371_19 Depth=1
	v_lshlrev_b64 v[0:1], 4, v[8:9]
	v_mov_b32_e32 v2, s25
	v_add_co_u32_e32 v0, vcc, s24, v0
	v_addc_co_u32_e32 v1, vcc, v2, v1, vcc
	global_load_dwordx4 v[0:3], v[0:1], off
	s_mov_b64 s[10:11], 0
	s_waitcnt vmcnt(0)
	v_mul_f64 v[12:13], v[2:3], -v[6:7]
	v_mul_f64 v[14:15], v[4:5], v[2:3]
	v_fmac_f64_e32 v[12:13], v[4:5], v[0:1]
	v_fmac_f64_e32 v[14:15], v[6:7], v[0:1]
	s_branch .LBB371_22
.LBB371_21:                             ;   in Loop: Header=BB371_22 Depth=2
	s_or_b64 exec, exec, s[12:13]
	v_add_u32_e32 v10, 16, v10
	v_cmp_ge_i32_e32 vcc, v10, v27
	s_or_b64 s[10:11], vcc, s[10:11]
	s_andn2_b64 exec, exec, s[10:11]
	s_cbranch_execz .LBB371_18
.LBB371_22:                             ;   Parent Loop BB371_19 Depth=1
                                        ; =>  This Loop Header: Depth=2
                                        ;       Child Loop BB371_24 Depth 3
                                        ;       Child Loop BB371_26 Depth 3
	v_ashrrev_i32_e32 v11, 31, v10
	v_lshlrev_b64 v[0:1], 2, v[10:11]
	v_mov_b32_e32 v2, s21
	v_add_co_u32_e32 v0, vcc, s20, v0
	v_addc_co_u32_e32 v1, vcc, v2, v1, vcc
	global_load_dword v0, v[0:1], off
	s_waitcnt vmcnt(0)
	v_subrev_u32_e32 v0, s2, v0
	v_cmp_ne_u32_e32 vcc, v0, v8
	s_and_saveexec_b64 s[12:13], vcc
	s_cbranch_execz .LBB371_21
; %bb.23:                               ;   in Loop: Header=BB371_22 Depth=2
	v_lshlrev_b64 v[2:3], 3, v[10:11]
	v_mov_b32_e32 v1, s23
	v_add_co_u32_e32 v2, vcc, s22, v2
	v_addc_co_u32_e32 v3, vcc, v1, v3, vcc
	global_load_dwordx2 v[18:19], v[2:3], off
	v_ashrrev_i32_e32 v1, 31, v0
	v_lshlrev_b64 v[0:1], 4, v[0:1]
	v_mov_b32_e32 v2, s27
	v_add_co_u32_e32 v16, vcc, s26, v0
	v_addc_co_u32_e32 v17, vcc, v2, v1, vcc
	global_load_dwordx2 v[2:3], v[16:17], off
	s_mov_b64 s[14:15], 0
	s_waitcnt vmcnt(1)
	v_cndmask_b32_e64 v0, v19, -v19, s[6:7]
	v_cvt_f64_f32_e32 v[20:21], v0
	v_cvt_f64_f32_e32 v[18:19], v18
	v_mul_f64 v[22:23], -v[14:15], v[20:21]
	v_fmac_f64_e32 v[22:23], v[12:13], v[18:19]
.LBB371_24:                             ;   Parent Loop BB371_19 Depth=1
                                        ;     Parent Loop BB371_22 Depth=2
                                        ; =>    This Inner Loop Header: Depth=3
	s_waitcnt vmcnt(0)
	v_add_f64 v[0:1], v[2:3], v[22:23]
	global_atomic_cmpswap_x2 v[0:1], v[16:17], v[0:3], off glc
	s_waitcnt vmcnt(0)
	v_cmp_eq_u64_e32 vcc, v[0:1], v[2:3]
	s_or_b64 s[14:15], vcc, s[14:15]
	v_pk_mov_b32 v[2:3], v[0:1], v[0:1] op_sel:[0,1]
	s_andn2_b64 exec, exec, s[14:15]
	s_cbranch_execnz .LBB371_24
; %bb.25:                               ;   in Loop: Header=BB371_22 Depth=2
	s_or_b64 exec, exec, s[14:15]
	global_load_dwordx2 v[2:3], v[16:17], off offset:8
	v_mul_f64 v[20:21], v[12:13], v[20:21]
	v_fmac_f64_e32 v[20:21], v[14:15], v[18:19]
	s_mov_b64 s[14:15], 0
.LBB371_26:                             ;   Parent Loop BB371_19 Depth=1
                                        ;     Parent Loop BB371_22 Depth=2
                                        ; =>    This Inner Loop Header: Depth=3
	s_waitcnt vmcnt(0)
	v_add_f64 v[0:1], v[2:3], v[20:21]
	global_atomic_cmpswap_x2 v[0:1], v[16:17], v[0:3], off offset:8 glc
	s_waitcnt vmcnt(0)
	v_cmp_eq_u64_e32 vcc, v[0:1], v[2:3]
	s_or_b64 s[14:15], vcc, s[14:15]
	v_pk_mov_b32 v[2:3], v[0:1], v[0:1] op_sel:[0,1]
	s_andn2_b64 exec, exec, s[14:15]
	s_cbranch_execnz .LBB371_26
	s_branch .LBB371_21
.LBB371_27:
	s_endpgm
	.section	.rodata,"a",@progbits
	.p2align	6, 0x0
	.amdhsa_kernel _ZN9rocsparseL21csrmvt_general_kernelILj256ELj16Eii21rocsparse_complex_numIfES1_IdES3_S3_EEvbbT2_NS_24const_host_device_scalarIT6_EEPKT1_SA_PKS4_PKT3_PKT4_PT5_21rocsparse_index_base_b
		.amdhsa_group_segment_fixed_size 2048
		.amdhsa_private_segment_fixed_size 0
		.amdhsa_kernarg_size 336
		.amdhsa_user_sgpr_count 8
		.amdhsa_user_sgpr_private_segment_buffer 1
		.amdhsa_user_sgpr_dispatch_ptr 1
		.amdhsa_user_sgpr_queue_ptr 0
		.amdhsa_user_sgpr_kernarg_segment_ptr 1
		.amdhsa_user_sgpr_dispatch_id 0
		.amdhsa_user_sgpr_flat_scratch_init 0
		.amdhsa_user_sgpr_kernarg_preload_length 0
		.amdhsa_user_sgpr_kernarg_preload_offset 0
		.amdhsa_user_sgpr_private_segment_size 0
		.amdhsa_uses_dynamic_stack 0
		.amdhsa_system_sgpr_private_segment_wavefront_offset 0
		.amdhsa_system_sgpr_workgroup_id_x 1
		.amdhsa_system_sgpr_workgroup_id_y 0
		.amdhsa_system_sgpr_workgroup_id_z 0
		.amdhsa_system_sgpr_workgroup_info 0
		.amdhsa_system_vgpr_workitem_id 2
		.amdhsa_next_free_vgpr 30
		.amdhsa_next_free_sgpr 30
		.amdhsa_accum_offset 32
		.amdhsa_reserve_vcc 1
		.amdhsa_reserve_flat_scratch 0
		.amdhsa_float_round_mode_32 0
		.amdhsa_float_round_mode_16_64 0
		.amdhsa_float_denorm_mode_32 3
		.amdhsa_float_denorm_mode_16_64 3
		.amdhsa_dx10_clamp 1
		.amdhsa_ieee_mode 1
		.amdhsa_fp16_overflow 0
		.amdhsa_tg_split 0
		.amdhsa_exception_fp_ieee_invalid_op 0
		.amdhsa_exception_fp_denorm_src 0
		.amdhsa_exception_fp_ieee_div_zero 0
		.amdhsa_exception_fp_ieee_overflow 0
		.amdhsa_exception_fp_ieee_underflow 0
		.amdhsa_exception_fp_ieee_inexact 0
		.amdhsa_exception_int_div_zero 0
	.end_amdhsa_kernel
	.section	.text._ZN9rocsparseL21csrmvt_general_kernelILj256ELj16Eii21rocsparse_complex_numIfES1_IdES3_S3_EEvbbT2_NS_24const_host_device_scalarIT6_EEPKT1_SA_PKS4_PKT3_PKT4_PT5_21rocsparse_index_base_b,"axG",@progbits,_ZN9rocsparseL21csrmvt_general_kernelILj256ELj16Eii21rocsparse_complex_numIfES1_IdES3_S3_EEvbbT2_NS_24const_host_device_scalarIT6_EEPKT1_SA_PKS4_PKT3_PKT4_PT5_21rocsparse_index_base_b,comdat
.Lfunc_end371:
	.size	_ZN9rocsparseL21csrmvt_general_kernelILj256ELj16Eii21rocsparse_complex_numIfES1_IdES3_S3_EEvbbT2_NS_24const_host_device_scalarIT6_EEPKT1_SA_PKS4_PKT3_PKT4_PT5_21rocsparse_index_base_b, .Lfunc_end371-_ZN9rocsparseL21csrmvt_general_kernelILj256ELj16Eii21rocsparse_complex_numIfES1_IdES3_S3_EEvbbT2_NS_24const_host_device_scalarIT6_EEPKT1_SA_PKS4_PKT3_PKT4_PT5_21rocsparse_index_base_b
                                        ; -- End function
	.section	.AMDGPU.csdata,"",@progbits
; Kernel info:
; codeLenInByte = 1268
; NumSgprs: 34
; NumVgprs: 30
; NumAgprs: 0
; TotalNumVgprs: 30
; ScratchSize: 0
; MemoryBound: 0
; FloatMode: 240
; IeeeMode: 1
; LDSByteSize: 2048 bytes/workgroup (compile time only)
; SGPRBlocks: 4
; VGPRBlocks: 3
; NumSGPRsForWavesPerEU: 34
; NumVGPRsForWavesPerEU: 30
; AccumOffset: 32
; Occupancy: 8
; WaveLimiterHint : 1
; COMPUTE_PGM_RSRC2:SCRATCH_EN: 0
; COMPUTE_PGM_RSRC2:USER_SGPR: 8
; COMPUTE_PGM_RSRC2:TRAP_HANDLER: 0
; COMPUTE_PGM_RSRC2:TGID_X_EN: 1
; COMPUTE_PGM_RSRC2:TGID_Y_EN: 0
; COMPUTE_PGM_RSRC2:TGID_Z_EN: 0
; COMPUTE_PGM_RSRC2:TIDIG_COMP_CNT: 2
; COMPUTE_PGM_RSRC3_GFX90A:ACCUM_OFFSET: 7
; COMPUTE_PGM_RSRC3_GFX90A:TG_SPLIT: 0
	.section	.text._ZN9rocsparseL21csrmvt_general_kernelILj256ELj32Eii21rocsparse_complex_numIfES1_IdES3_S3_EEvbbT2_NS_24const_host_device_scalarIT6_EEPKT1_SA_PKS4_PKT3_PKT4_PT5_21rocsparse_index_base_b,"axG",@progbits,_ZN9rocsparseL21csrmvt_general_kernelILj256ELj32Eii21rocsparse_complex_numIfES1_IdES3_S3_EEvbbT2_NS_24const_host_device_scalarIT6_EEPKT1_SA_PKS4_PKT3_PKT4_PT5_21rocsparse_index_base_b,comdat
	.globl	_ZN9rocsparseL21csrmvt_general_kernelILj256ELj32Eii21rocsparse_complex_numIfES1_IdES3_S3_EEvbbT2_NS_24const_host_device_scalarIT6_EEPKT1_SA_PKS4_PKT3_PKT4_PT5_21rocsparse_index_base_b ; -- Begin function _ZN9rocsparseL21csrmvt_general_kernelILj256ELj32Eii21rocsparse_complex_numIfES1_IdES3_S3_EEvbbT2_NS_24const_host_device_scalarIT6_EEPKT1_SA_PKS4_PKT3_PKT4_PT5_21rocsparse_index_base_b
	.p2align	8
	.type	_ZN9rocsparseL21csrmvt_general_kernelILj256ELj32Eii21rocsparse_complex_numIfES1_IdES3_S3_EEvbbT2_NS_24const_host_device_scalarIT6_EEPKT1_SA_PKS4_PKT3_PKT4_PT5_21rocsparse_index_base_b,@function
_ZN9rocsparseL21csrmvt_general_kernelILj256ELj32Eii21rocsparse_complex_numIfES1_IdES3_S3_EEvbbT2_NS_24const_host_device_scalarIT6_EEPKT1_SA_PKS4_PKT3_PKT4_PT5_21rocsparse_index_base_b: ; @_ZN9rocsparseL21csrmvt_general_kernelILj256ELj32Eii21rocsparse_complex_numIfES1_IdES3_S3_EEvbbT2_NS_24const_host_device_scalarIT6_EEPKT1_SA_PKS4_PKT3_PKT4_PT5_21rocsparse_index_base_b
; %bb.0:
	s_load_dwordx2 s[2:3], s[6:7], 0x48
	s_load_dwordx2 s[0:1], s[4:5], 0x4
	s_load_dwordx8 s[12:19], s[6:7], 0x8
	v_and_b32_e32 v1, 0x3ff, v0
	v_bfe_u32 v3, v0, 10, 10
	s_waitcnt lgkmcnt(0)
	s_and_b32 s3, 1, s3
	s_lshr_b32 s0, s0, 16
	s_mul_i32 s0, s0, s1
	v_mul_lo_u32 v2, s0, v1
	s_cmp_eq_u32 s3, 1
	v_mad_u32_u24 v2, v3, s1, v2
	v_bfe_u32 v0, v0, 20, 10
	v_add_lshl_u32 v0, v2, v0, 3
	v_pk_mov_b32 v[2:3], s[12:13], s[12:13] op_sel:[0,1]
	s_cselect_b64 vcc, -1, 0
	ds_write_b64 v0, v[2:3]
	s_mov_b64 s[0:1], src_shared_base
	v_cndmask_b32_e32 v2, v2, v0, vcc
	s_and_b64 vcc, vcc, exec
	s_cselect_b32 s0, s1, s13
	v_mov_b32_e32 v3, s0
	flat_load_dwordx2 v[4:5], v[2:3]
	v_pk_mov_b32 v[6:7], s[14:15], s[14:15] op_sel:[0,1]
	s_cbranch_vccnz .LBB372_2
; %bb.1:
	v_pk_mov_b32 v[2:3], s[12:13], s[12:13] op_sel:[0,1]
	flat_load_dwordx2 v[6:7], v[2:3] offset:8
.LBB372_2:
	s_waitcnt vmcnt(0) lgkmcnt(0)
	v_cmp_neq_f64_e32 vcc, 0, v[4:5]
	v_cmp_neq_f64_e64 s[0:1], 0, v[6:7]
	s_or_b64 s[0:1], vcc, s[0:1]
	s_and_saveexec_b64 s[4:5], s[0:1]
	s_cbranch_execz .LBB372_27
; %bb.3:
	s_load_dword s0, s[6:7], 0x0
	s_load_dwordx2 s[4:5], s[6:7], 0x0
	s_load_dword s1, s[6:7], 0x50
	s_load_dwordx8 s[20:27], s[6:7], 0x28
	v_lshl_or_b32 v0, s8, 8, v1
	s_waitcnt lgkmcnt(0)
	s_and_b32 s0, s0, 1
	s_bitcmp1_b32 s4, 8
	s_cselect_b64 s[6:7], -1, 0
	s_lshl_b32 s3, s1, 3
	v_lshrrev_b32_e32 v8, 5, v0
	s_cmp_eq_u32 s0, 0
	v_and_b32_e32 v9, 31, v1
	v_cmp_gt_i32_e64 s[0:1], s5, v8
	s_mov_b64 s[8:9], -1
	s_cbranch_scc0 .LBB372_15
; %bb.4:
	s_and_saveexec_b64 s[8:9], s[0:1]
	s_cbranch_execz .LBB372_14
; %bb.5:
	v_subrev_u32_e32 v26, s2, v9
	s_mov_b64 s[10:11], 0
	v_mov_b32_e32 v27, s17
	v_mov_b32_e32 v28, s19
	;; [unrolled: 1-line block ×3, first 2 shown]
	s_branch .LBB372_7
.LBB372_6:                              ;   in Loop: Header=BB372_7 Depth=1
	s_or_b64 exec, exec, s[12:13]
	v_add_u32_e32 v10, s3, v10
	v_cmp_le_i32_e32 vcc, s5, v10
	s_or_b64 s[10:11], vcc, s[10:11]
	s_andn2_b64 exec, exec, s[10:11]
	s_cbranch_execz .LBB372_14
.LBB372_7:                              ; =>This Loop Header: Depth=1
                                        ;     Child Loop BB372_9 Depth 2
                                        ;       Child Loop BB372_10 Depth 3
                                        ;       Child Loop BB372_12 Depth 3
	v_ashrrev_i32_e32 v11, 31, v10
	v_lshlrev_b64 v[0:1], 2, v[10:11]
	v_add_co_u32_e32 v2, vcc, s16, v0
	v_addc_co_u32_e32 v3, vcc, v27, v1, vcc
	v_add_co_u32_e32 v0, vcc, s18, v0
	v_addc_co_u32_e32 v1, vcc, v28, v1, vcc
	global_load_dword v12, v[0:1], off
	global_load_dword v13, v[2:3], off
	s_waitcnt vmcnt(1)
	v_subrev_u32_e32 v29, s2, v12
	s_waitcnt vmcnt(0)
	v_add_u32_e32 v12, v13, v26
	v_cmp_lt_i32_e32 vcc, v12, v29
	s_and_saveexec_b64 s[12:13], vcc
	s_cbranch_execz .LBB372_6
; %bb.8:                                ;   in Loop: Header=BB372_7 Depth=1
	v_lshlrev_b64 v[0:1], 4, v[10:11]
	v_mov_b32_e32 v2, s25
	v_add_co_u32_e32 v0, vcc, s24, v0
	v_addc_co_u32_e32 v1, vcc, v2, v1, vcc
	global_load_dwordx4 v[0:3], v[0:1], off
	s_mov_b64 s[14:15], 0
	s_waitcnt vmcnt(0)
	v_mul_f64 v[14:15], v[2:3], -v[6:7]
	v_mul_f64 v[16:17], v[4:5], v[2:3]
	v_fmac_f64_e32 v[14:15], v[4:5], v[0:1]
	v_fmac_f64_e32 v[16:17], v[6:7], v[0:1]
.LBB372_9:                              ;   Parent Loop BB372_7 Depth=1
                                        ; =>  This Loop Header: Depth=2
                                        ;       Child Loop BB372_10 Depth 3
                                        ;       Child Loop BB372_12 Depth 3
	v_ashrrev_i32_e32 v13, 31, v12
	v_lshlrev_b64 v[0:1], 2, v[12:13]
	v_mov_b32_e32 v2, s21
	v_add_co_u32_e32 v0, vcc, s20, v0
	v_addc_co_u32_e32 v1, vcc, v2, v1, vcc
	global_load_dword v2, v[0:1], off
	v_lshlrev_b64 v[0:1], 3, v[12:13]
	v_mov_b32_e32 v3, s23
	v_add_co_u32_e32 v0, vcc, s22, v0
	v_addc_co_u32_e32 v1, vcc, v3, v1, vcc
	global_load_dwordx2 v[0:1], v[0:1], off
	v_mov_b32_e32 v11, s27
	s_mov_b64 s[28:29], 0
	s_waitcnt vmcnt(1)
	v_subrev_u32_e32 v2, s2, v2
	v_ashrrev_i32_e32 v3, 31, v2
	v_lshlrev_b64 v[2:3], 4, v[2:3]
	v_add_co_u32_e32 v18, vcc, s26, v2
	v_addc_co_u32_e32 v19, vcc, v11, v3, vcc
	global_load_dwordx2 v[2:3], v[18:19], off
	s_waitcnt vmcnt(1)
	v_cndmask_b32_e64 v1, v1, -v1, s[6:7]
	v_cvt_f64_f32_e32 v[22:23], v1
	v_cvt_f64_f32_e32 v[20:21], v0
	v_mul_f64 v[24:25], -v[16:17], v[22:23]
	v_fmac_f64_e32 v[24:25], v[14:15], v[20:21]
.LBB372_10:                             ;   Parent Loop BB372_7 Depth=1
                                        ;     Parent Loop BB372_9 Depth=2
                                        ; =>    This Inner Loop Header: Depth=3
	s_waitcnt vmcnt(0)
	v_add_f64 v[0:1], v[2:3], v[24:25]
	global_atomic_cmpswap_x2 v[0:1], v[18:19], v[0:3], off glc
	s_waitcnt vmcnt(0)
	v_cmp_eq_u64_e32 vcc, v[0:1], v[2:3]
	s_or_b64 s[28:29], vcc, s[28:29]
	v_pk_mov_b32 v[2:3], v[0:1], v[0:1] op_sel:[0,1]
	s_andn2_b64 exec, exec, s[28:29]
	s_cbranch_execnz .LBB372_10
; %bb.11:                               ;   in Loop: Header=BB372_9 Depth=2
	s_or_b64 exec, exec, s[28:29]
	global_load_dwordx2 v[2:3], v[18:19], off offset:8
	v_mul_f64 v[22:23], v[14:15], v[22:23]
	v_fmac_f64_e32 v[22:23], v[16:17], v[20:21]
	s_mov_b64 s[28:29], 0
.LBB372_12:                             ;   Parent Loop BB372_7 Depth=1
                                        ;     Parent Loop BB372_9 Depth=2
                                        ; =>    This Inner Loop Header: Depth=3
	s_waitcnt vmcnt(0)
	v_add_f64 v[0:1], v[2:3], v[22:23]
	global_atomic_cmpswap_x2 v[0:1], v[18:19], v[0:3], off offset:8 glc
	s_waitcnt vmcnt(0)
	v_cmp_eq_u64_e32 vcc, v[0:1], v[2:3]
	s_or_b64 s[28:29], vcc, s[28:29]
	v_pk_mov_b32 v[2:3], v[0:1], v[0:1] op_sel:[0,1]
	s_andn2_b64 exec, exec, s[28:29]
	s_cbranch_execnz .LBB372_12
; %bb.13:                               ;   in Loop: Header=BB372_9 Depth=2
	s_or_b64 exec, exec, s[28:29]
	v_add_u32_e32 v12, 32, v12
	v_cmp_ge_i32_e32 vcc, v12, v29
	s_or_b64 s[14:15], vcc, s[14:15]
	s_andn2_b64 exec, exec, s[14:15]
	s_cbranch_execnz .LBB372_9
	s_branch .LBB372_6
.LBB372_14:
	s_or_b64 exec, exec, s[8:9]
	s_mov_b64 s[8:9], 0
.LBB372_15:
	s_andn2_b64 vcc, exec, s[8:9]
	s_cbranch_vccnz .LBB372_27
; %bb.16:
	s_and_b64 exec, exec, s[0:1]
	s_cbranch_execz .LBB372_27
; %bb.17:
	v_subrev_u32_e32 v24, s2, v9
	s_mov_b64 s[0:1], 0
	v_mov_b32_e32 v25, s17
	v_mov_b32_e32 v26, s19
	s_branch .LBB372_19
.LBB372_18:                             ;   in Loop: Header=BB372_19 Depth=1
	s_or_b64 exec, exec, s[8:9]
	v_add_u32_e32 v8, s3, v8
	v_cmp_le_i32_e32 vcc, s5, v8
	s_or_b64 s[0:1], vcc, s[0:1]
	s_andn2_b64 exec, exec, s[0:1]
	s_cbranch_execz .LBB372_27
.LBB372_19:                             ; =>This Loop Header: Depth=1
                                        ;     Child Loop BB372_22 Depth 2
                                        ;       Child Loop BB372_24 Depth 3
                                        ;       Child Loop BB372_26 Depth 3
	v_ashrrev_i32_e32 v9, 31, v8
	v_lshlrev_b64 v[0:1], 2, v[8:9]
	v_add_co_u32_e32 v2, vcc, s16, v0
	v_addc_co_u32_e32 v3, vcc, v25, v1, vcc
	v_add_co_u32_e32 v0, vcc, s18, v0
	v_addc_co_u32_e32 v1, vcc, v26, v1, vcc
	global_load_dword v10, v[0:1], off
	global_load_dword v11, v[2:3], off
	s_waitcnt vmcnt(1)
	v_subrev_u32_e32 v27, s2, v10
	s_waitcnt vmcnt(0)
	v_add_u32_e32 v10, v11, v24
	v_cmp_lt_i32_e32 vcc, v10, v27
	s_and_saveexec_b64 s[8:9], vcc
	s_cbranch_execz .LBB372_18
; %bb.20:                               ;   in Loop: Header=BB372_19 Depth=1
	v_lshlrev_b64 v[0:1], 4, v[8:9]
	v_mov_b32_e32 v2, s25
	v_add_co_u32_e32 v0, vcc, s24, v0
	v_addc_co_u32_e32 v1, vcc, v2, v1, vcc
	global_load_dwordx4 v[0:3], v[0:1], off
	s_mov_b64 s[10:11], 0
	s_waitcnt vmcnt(0)
	v_mul_f64 v[12:13], v[2:3], -v[6:7]
	v_mul_f64 v[14:15], v[4:5], v[2:3]
	v_fmac_f64_e32 v[12:13], v[4:5], v[0:1]
	v_fmac_f64_e32 v[14:15], v[6:7], v[0:1]
	s_branch .LBB372_22
.LBB372_21:                             ;   in Loop: Header=BB372_22 Depth=2
	s_or_b64 exec, exec, s[12:13]
	v_add_u32_e32 v10, 32, v10
	v_cmp_ge_i32_e32 vcc, v10, v27
	s_or_b64 s[10:11], vcc, s[10:11]
	s_andn2_b64 exec, exec, s[10:11]
	s_cbranch_execz .LBB372_18
.LBB372_22:                             ;   Parent Loop BB372_19 Depth=1
                                        ; =>  This Loop Header: Depth=2
                                        ;       Child Loop BB372_24 Depth 3
                                        ;       Child Loop BB372_26 Depth 3
	v_ashrrev_i32_e32 v11, 31, v10
	v_lshlrev_b64 v[0:1], 2, v[10:11]
	v_mov_b32_e32 v2, s21
	v_add_co_u32_e32 v0, vcc, s20, v0
	v_addc_co_u32_e32 v1, vcc, v2, v1, vcc
	global_load_dword v0, v[0:1], off
	s_waitcnt vmcnt(0)
	v_subrev_u32_e32 v0, s2, v0
	v_cmp_ne_u32_e32 vcc, v0, v8
	s_and_saveexec_b64 s[12:13], vcc
	s_cbranch_execz .LBB372_21
; %bb.23:                               ;   in Loop: Header=BB372_22 Depth=2
	v_lshlrev_b64 v[2:3], 3, v[10:11]
	v_mov_b32_e32 v1, s23
	v_add_co_u32_e32 v2, vcc, s22, v2
	v_addc_co_u32_e32 v3, vcc, v1, v3, vcc
	global_load_dwordx2 v[18:19], v[2:3], off
	v_ashrrev_i32_e32 v1, 31, v0
	v_lshlrev_b64 v[0:1], 4, v[0:1]
	v_mov_b32_e32 v2, s27
	v_add_co_u32_e32 v16, vcc, s26, v0
	v_addc_co_u32_e32 v17, vcc, v2, v1, vcc
	global_load_dwordx2 v[2:3], v[16:17], off
	s_mov_b64 s[14:15], 0
	s_waitcnt vmcnt(1)
	v_cndmask_b32_e64 v0, v19, -v19, s[6:7]
	v_cvt_f64_f32_e32 v[20:21], v0
	v_cvt_f64_f32_e32 v[18:19], v18
	v_mul_f64 v[22:23], -v[14:15], v[20:21]
	v_fmac_f64_e32 v[22:23], v[12:13], v[18:19]
.LBB372_24:                             ;   Parent Loop BB372_19 Depth=1
                                        ;     Parent Loop BB372_22 Depth=2
                                        ; =>    This Inner Loop Header: Depth=3
	s_waitcnt vmcnt(0)
	v_add_f64 v[0:1], v[2:3], v[22:23]
	global_atomic_cmpswap_x2 v[0:1], v[16:17], v[0:3], off glc
	s_waitcnt vmcnt(0)
	v_cmp_eq_u64_e32 vcc, v[0:1], v[2:3]
	s_or_b64 s[14:15], vcc, s[14:15]
	v_pk_mov_b32 v[2:3], v[0:1], v[0:1] op_sel:[0,1]
	s_andn2_b64 exec, exec, s[14:15]
	s_cbranch_execnz .LBB372_24
; %bb.25:                               ;   in Loop: Header=BB372_22 Depth=2
	s_or_b64 exec, exec, s[14:15]
	global_load_dwordx2 v[2:3], v[16:17], off offset:8
	v_mul_f64 v[20:21], v[12:13], v[20:21]
	v_fmac_f64_e32 v[20:21], v[14:15], v[18:19]
	s_mov_b64 s[14:15], 0
.LBB372_26:                             ;   Parent Loop BB372_19 Depth=1
                                        ;     Parent Loop BB372_22 Depth=2
                                        ; =>    This Inner Loop Header: Depth=3
	s_waitcnt vmcnt(0)
	v_add_f64 v[0:1], v[2:3], v[20:21]
	global_atomic_cmpswap_x2 v[0:1], v[16:17], v[0:3], off offset:8 glc
	s_waitcnt vmcnt(0)
	v_cmp_eq_u64_e32 vcc, v[0:1], v[2:3]
	s_or_b64 s[14:15], vcc, s[14:15]
	v_pk_mov_b32 v[2:3], v[0:1], v[0:1] op_sel:[0,1]
	s_andn2_b64 exec, exec, s[14:15]
	s_cbranch_execnz .LBB372_26
	s_branch .LBB372_21
.LBB372_27:
	s_endpgm
	.section	.rodata,"a",@progbits
	.p2align	6, 0x0
	.amdhsa_kernel _ZN9rocsparseL21csrmvt_general_kernelILj256ELj32Eii21rocsparse_complex_numIfES1_IdES3_S3_EEvbbT2_NS_24const_host_device_scalarIT6_EEPKT1_SA_PKS4_PKT3_PKT4_PT5_21rocsparse_index_base_b
		.amdhsa_group_segment_fixed_size 2048
		.amdhsa_private_segment_fixed_size 0
		.amdhsa_kernarg_size 336
		.amdhsa_user_sgpr_count 8
		.amdhsa_user_sgpr_private_segment_buffer 1
		.amdhsa_user_sgpr_dispatch_ptr 1
		.amdhsa_user_sgpr_queue_ptr 0
		.amdhsa_user_sgpr_kernarg_segment_ptr 1
		.amdhsa_user_sgpr_dispatch_id 0
		.amdhsa_user_sgpr_flat_scratch_init 0
		.amdhsa_user_sgpr_kernarg_preload_length 0
		.amdhsa_user_sgpr_kernarg_preload_offset 0
		.amdhsa_user_sgpr_private_segment_size 0
		.amdhsa_uses_dynamic_stack 0
		.amdhsa_system_sgpr_private_segment_wavefront_offset 0
		.amdhsa_system_sgpr_workgroup_id_x 1
		.amdhsa_system_sgpr_workgroup_id_y 0
		.amdhsa_system_sgpr_workgroup_id_z 0
		.amdhsa_system_sgpr_workgroup_info 0
		.amdhsa_system_vgpr_workitem_id 2
		.amdhsa_next_free_vgpr 30
		.amdhsa_next_free_sgpr 30
		.amdhsa_accum_offset 32
		.amdhsa_reserve_vcc 1
		.amdhsa_reserve_flat_scratch 0
		.amdhsa_float_round_mode_32 0
		.amdhsa_float_round_mode_16_64 0
		.amdhsa_float_denorm_mode_32 3
		.amdhsa_float_denorm_mode_16_64 3
		.amdhsa_dx10_clamp 1
		.amdhsa_ieee_mode 1
		.amdhsa_fp16_overflow 0
		.amdhsa_tg_split 0
		.amdhsa_exception_fp_ieee_invalid_op 0
		.amdhsa_exception_fp_denorm_src 0
		.amdhsa_exception_fp_ieee_div_zero 0
		.amdhsa_exception_fp_ieee_overflow 0
		.amdhsa_exception_fp_ieee_underflow 0
		.amdhsa_exception_fp_ieee_inexact 0
		.amdhsa_exception_int_div_zero 0
	.end_amdhsa_kernel
	.section	.text._ZN9rocsparseL21csrmvt_general_kernelILj256ELj32Eii21rocsparse_complex_numIfES1_IdES3_S3_EEvbbT2_NS_24const_host_device_scalarIT6_EEPKT1_SA_PKS4_PKT3_PKT4_PT5_21rocsparse_index_base_b,"axG",@progbits,_ZN9rocsparseL21csrmvt_general_kernelILj256ELj32Eii21rocsparse_complex_numIfES1_IdES3_S3_EEvbbT2_NS_24const_host_device_scalarIT6_EEPKT1_SA_PKS4_PKT3_PKT4_PT5_21rocsparse_index_base_b,comdat
.Lfunc_end372:
	.size	_ZN9rocsparseL21csrmvt_general_kernelILj256ELj32Eii21rocsparse_complex_numIfES1_IdES3_S3_EEvbbT2_NS_24const_host_device_scalarIT6_EEPKT1_SA_PKS4_PKT3_PKT4_PT5_21rocsparse_index_base_b, .Lfunc_end372-_ZN9rocsparseL21csrmvt_general_kernelILj256ELj32Eii21rocsparse_complex_numIfES1_IdES3_S3_EEvbbT2_NS_24const_host_device_scalarIT6_EEPKT1_SA_PKS4_PKT3_PKT4_PT5_21rocsparse_index_base_b
                                        ; -- End function
	.section	.AMDGPU.csdata,"",@progbits
; Kernel info:
; codeLenInByte = 1268
; NumSgprs: 34
; NumVgprs: 30
; NumAgprs: 0
; TotalNumVgprs: 30
; ScratchSize: 0
; MemoryBound: 0
; FloatMode: 240
; IeeeMode: 1
; LDSByteSize: 2048 bytes/workgroup (compile time only)
; SGPRBlocks: 4
; VGPRBlocks: 3
; NumSGPRsForWavesPerEU: 34
; NumVGPRsForWavesPerEU: 30
; AccumOffset: 32
; Occupancy: 8
; WaveLimiterHint : 1
; COMPUTE_PGM_RSRC2:SCRATCH_EN: 0
; COMPUTE_PGM_RSRC2:USER_SGPR: 8
; COMPUTE_PGM_RSRC2:TRAP_HANDLER: 0
; COMPUTE_PGM_RSRC2:TGID_X_EN: 1
; COMPUTE_PGM_RSRC2:TGID_Y_EN: 0
; COMPUTE_PGM_RSRC2:TGID_Z_EN: 0
; COMPUTE_PGM_RSRC2:TIDIG_COMP_CNT: 2
; COMPUTE_PGM_RSRC3_GFX90A:ACCUM_OFFSET: 7
; COMPUTE_PGM_RSRC3_GFX90A:TG_SPLIT: 0
	.section	.text._ZN9rocsparseL21csrmvt_general_kernelILj256ELj64Eii21rocsparse_complex_numIfES1_IdES3_S3_EEvbbT2_NS_24const_host_device_scalarIT6_EEPKT1_SA_PKS4_PKT3_PKT4_PT5_21rocsparse_index_base_b,"axG",@progbits,_ZN9rocsparseL21csrmvt_general_kernelILj256ELj64Eii21rocsparse_complex_numIfES1_IdES3_S3_EEvbbT2_NS_24const_host_device_scalarIT6_EEPKT1_SA_PKS4_PKT3_PKT4_PT5_21rocsparse_index_base_b,comdat
	.globl	_ZN9rocsparseL21csrmvt_general_kernelILj256ELj64Eii21rocsparse_complex_numIfES1_IdES3_S3_EEvbbT2_NS_24const_host_device_scalarIT6_EEPKT1_SA_PKS4_PKT3_PKT4_PT5_21rocsparse_index_base_b ; -- Begin function _ZN9rocsparseL21csrmvt_general_kernelILj256ELj64Eii21rocsparse_complex_numIfES1_IdES3_S3_EEvbbT2_NS_24const_host_device_scalarIT6_EEPKT1_SA_PKS4_PKT3_PKT4_PT5_21rocsparse_index_base_b
	.p2align	8
	.type	_ZN9rocsparseL21csrmvt_general_kernelILj256ELj64Eii21rocsparse_complex_numIfES1_IdES3_S3_EEvbbT2_NS_24const_host_device_scalarIT6_EEPKT1_SA_PKS4_PKT3_PKT4_PT5_21rocsparse_index_base_b,@function
_ZN9rocsparseL21csrmvt_general_kernelILj256ELj64Eii21rocsparse_complex_numIfES1_IdES3_S3_EEvbbT2_NS_24const_host_device_scalarIT6_EEPKT1_SA_PKS4_PKT3_PKT4_PT5_21rocsparse_index_base_b: ; @_ZN9rocsparseL21csrmvt_general_kernelILj256ELj64Eii21rocsparse_complex_numIfES1_IdES3_S3_EEvbbT2_NS_24const_host_device_scalarIT6_EEPKT1_SA_PKS4_PKT3_PKT4_PT5_21rocsparse_index_base_b
; %bb.0:
	s_load_dwordx2 s[2:3], s[6:7], 0x48
	s_load_dwordx2 s[0:1], s[4:5], 0x4
	s_load_dwordx8 s[12:19], s[6:7], 0x8
	v_and_b32_e32 v1, 0x3ff, v0
	v_bfe_u32 v3, v0, 10, 10
	s_waitcnt lgkmcnt(0)
	s_and_b32 s3, 1, s3
	s_lshr_b32 s0, s0, 16
	s_mul_i32 s0, s0, s1
	v_mul_lo_u32 v2, s0, v1
	s_cmp_eq_u32 s3, 1
	v_mad_u32_u24 v2, v3, s1, v2
	v_bfe_u32 v0, v0, 20, 10
	v_add_lshl_u32 v0, v2, v0, 3
	v_pk_mov_b32 v[2:3], s[12:13], s[12:13] op_sel:[0,1]
	s_cselect_b64 vcc, -1, 0
	ds_write_b64 v0, v[2:3]
	s_mov_b64 s[0:1], src_shared_base
	v_cndmask_b32_e32 v2, v2, v0, vcc
	s_and_b64 vcc, vcc, exec
	s_cselect_b32 s0, s1, s13
	v_mov_b32_e32 v3, s0
	flat_load_dwordx2 v[4:5], v[2:3]
	v_pk_mov_b32 v[6:7], s[14:15], s[14:15] op_sel:[0,1]
	s_cbranch_vccnz .LBB373_2
; %bb.1:
	v_pk_mov_b32 v[2:3], s[12:13], s[12:13] op_sel:[0,1]
	flat_load_dwordx2 v[6:7], v[2:3] offset:8
.LBB373_2:
	s_waitcnt vmcnt(0) lgkmcnt(0)
	v_cmp_neq_f64_e32 vcc, 0, v[4:5]
	v_cmp_neq_f64_e64 s[0:1], 0, v[6:7]
	s_or_b64 s[0:1], vcc, s[0:1]
	s_and_saveexec_b64 s[4:5], s[0:1]
	s_cbranch_execz .LBB373_27
; %bb.3:
	s_load_dword s0, s[6:7], 0x0
	s_load_dwordx2 s[4:5], s[6:7], 0x0
	s_load_dword s1, s[6:7], 0x50
	s_load_dwordx8 s[20:27], s[6:7], 0x28
	v_lshl_or_b32 v0, s8, 8, v1
	s_waitcnt lgkmcnt(0)
	s_and_b32 s0, s0, 1
	s_bitcmp1_b32 s4, 8
	s_cselect_b64 s[6:7], -1, 0
	s_lshl_b32 s3, s1, 2
	v_lshrrev_b32_e32 v8, 6, v0
	s_cmp_eq_u32 s0, 0
	v_and_b32_e32 v9, 63, v1
	v_cmp_gt_i32_e64 s[0:1], s5, v8
	s_mov_b64 s[8:9], -1
	s_cbranch_scc0 .LBB373_15
; %bb.4:
	s_and_saveexec_b64 s[8:9], s[0:1]
	s_cbranch_execz .LBB373_14
; %bb.5:
	v_subrev_u32_e32 v26, s2, v9
	s_mov_b64 s[10:11], 0
	v_mov_b32_e32 v27, s17
	v_mov_b32_e32 v28, s19
	;; [unrolled: 1-line block ×3, first 2 shown]
	s_branch .LBB373_7
.LBB373_6:                              ;   in Loop: Header=BB373_7 Depth=1
	s_or_b64 exec, exec, s[12:13]
	v_add_u32_e32 v10, s3, v10
	v_cmp_le_i32_e32 vcc, s5, v10
	s_or_b64 s[10:11], vcc, s[10:11]
	s_andn2_b64 exec, exec, s[10:11]
	s_cbranch_execz .LBB373_14
.LBB373_7:                              ; =>This Loop Header: Depth=1
                                        ;     Child Loop BB373_9 Depth 2
                                        ;       Child Loop BB373_10 Depth 3
                                        ;       Child Loop BB373_12 Depth 3
	v_ashrrev_i32_e32 v11, 31, v10
	v_lshlrev_b64 v[0:1], 2, v[10:11]
	v_add_co_u32_e32 v2, vcc, s16, v0
	v_addc_co_u32_e32 v3, vcc, v27, v1, vcc
	v_add_co_u32_e32 v0, vcc, s18, v0
	v_addc_co_u32_e32 v1, vcc, v28, v1, vcc
	global_load_dword v12, v[0:1], off
	global_load_dword v13, v[2:3], off
	s_waitcnt vmcnt(1)
	v_subrev_u32_e32 v29, s2, v12
	s_waitcnt vmcnt(0)
	v_add_u32_e32 v12, v13, v26
	v_cmp_lt_i32_e32 vcc, v12, v29
	s_and_saveexec_b64 s[12:13], vcc
	s_cbranch_execz .LBB373_6
; %bb.8:                                ;   in Loop: Header=BB373_7 Depth=1
	v_lshlrev_b64 v[0:1], 4, v[10:11]
	v_mov_b32_e32 v2, s25
	v_add_co_u32_e32 v0, vcc, s24, v0
	v_addc_co_u32_e32 v1, vcc, v2, v1, vcc
	global_load_dwordx4 v[0:3], v[0:1], off
	s_mov_b64 s[14:15], 0
	s_waitcnt vmcnt(0)
	v_mul_f64 v[14:15], v[2:3], -v[6:7]
	v_mul_f64 v[16:17], v[4:5], v[2:3]
	v_fmac_f64_e32 v[14:15], v[4:5], v[0:1]
	v_fmac_f64_e32 v[16:17], v[6:7], v[0:1]
.LBB373_9:                              ;   Parent Loop BB373_7 Depth=1
                                        ; =>  This Loop Header: Depth=2
                                        ;       Child Loop BB373_10 Depth 3
                                        ;       Child Loop BB373_12 Depth 3
	v_ashrrev_i32_e32 v13, 31, v12
	v_lshlrev_b64 v[0:1], 2, v[12:13]
	v_mov_b32_e32 v2, s21
	v_add_co_u32_e32 v0, vcc, s20, v0
	v_addc_co_u32_e32 v1, vcc, v2, v1, vcc
	global_load_dword v2, v[0:1], off
	v_lshlrev_b64 v[0:1], 3, v[12:13]
	v_mov_b32_e32 v3, s23
	v_add_co_u32_e32 v0, vcc, s22, v0
	v_addc_co_u32_e32 v1, vcc, v3, v1, vcc
	global_load_dwordx2 v[0:1], v[0:1], off
	v_mov_b32_e32 v11, s27
	s_mov_b64 s[28:29], 0
	s_waitcnt vmcnt(1)
	v_subrev_u32_e32 v2, s2, v2
	v_ashrrev_i32_e32 v3, 31, v2
	v_lshlrev_b64 v[2:3], 4, v[2:3]
	v_add_co_u32_e32 v18, vcc, s26, v2
	v_addc_co_u32_e32 v19, vcc, v11, v3, vcc
	global_load_dwordx2 v[2:3], v[18:19], off
	s_waitcnt vmcnt(1)
	v_cndmask_b32_e64 v1, v1, -v1, s[6:7]
	v_cvt_f64_f32_e32 v[22:23], v1
	v_cvt_f64_f32_e32 v[20:21], v0
	v_mul_f64 v[24:25], -v[16:17], v[22:23]
	v_fmac_f64_e32 v[24:25], v[14:15], v[20:21]
.LBB373_10:                             ;   Parent Loop BB373_7 Depth=1
                                        ;     Parent Loop BB373_9 Depth=2
                                        ; =>    This Inner Loop Header: Depth=3
	s_waitcnt vmcnt(0)
	v_add_f64 v[0:1], v[2:3], v[24:25]
	global_atomic_cmpswap_x2 v[0:1], v[18:19], v[0:3], off glc
	s_waitcnt vmcnt(0)
	v_cmp_eq_u64_e32 vcc, v[0:1], v[2:3]
	s_or_b64 s[28:29], vcc, s[28:29]
	v_pk_mov_b32 v[2:3], v[0:1], v[0:1] op_sel:[0,1]
	s_andn2_b64 exec, exec, s[28:29]
	s_cbranch_execnz .LBB373_10
; %bb.11:                               ;   in Loop: Header=BB373_9 Depth=2
	s_or_b64 exec, exec, s[28:29]
	global_load_dwordx2 v[2:3], v[18:19], off offset:8
	v_mul_f64 v[22:23], v[14:15], v[22:23]
	v_fmac_f64_e32 v[22:23], v[16:17], v[20:21]
	s_mov_b64 s[28:29], 0
.LBB373_12:                             ;   Parent Loop BB373_7 Depth=1
                                        ;     Parent Loop BB373_9 Depth=2
                                        ; =>    This Inner Loop Header: Depth=3
	s_waitcnt vmcnt(0)
	v_add_f64 v[0:1], v[2:3], v[22:23]
	global_atomic_cmpswap_x2 v[0:1], v[18:19], v[0:3], off offset:8 glc
	s_waitcnt vmcnt(0)
	v_cmp_eq_u64_e32 vcc, v[0:1], v[2:3]
	s_or_b64 s[28:29], vcc, s[28:29]
	v_pk_mov_b32 v[2:3], v[0:1], v[0:1] op_sel:[0,1]
	s_andn2_b64 exec, exec, s[28:29]
	s_cbranch_execnz .LBB373_12
; %bb.13:                               ;   in Loop: Header=BB373_9 Depth=2
	s_or_b64 exec, exec, s[28:29]
	v_add_u32_e32 v12, 64, v12
	v_cmp_ge_i32_e32 vcc, v12, v29
	s_or_b64 s[14:15], vcc, s[14:15]
	s_andn2_b64 exec, exec, s[14:15]
	s_cbranch_execnz .LBB373_9
	s_branch .LBB373_6
.LBB373_14:
	s_or_b64 exec, exec, s[8:9]
	s_mov_b64 s[8:9], 0
.LBB373_15:
	s_andn2_b64 vcc, exec, s[8:9]
	s_cbranch_vccnz .LBB373_27
; %bb.16:
	s_and_b64 exec, exec, s[0:1]
	s_cbranch_execz .LBB373_27
; %bb.17:
	v_subrev_u32_e32 v24, s2, v9
	s_mov_b64 s[0:1], 0
	v_mov_b32_e32 v25, s17
	v_mov_b32_e32 v26, s19
	s_branch .LBB373_19
.LBB373_18:                             ;   in Loop: Header=BB373_19 Depth=1
	s_or_b64 exec, exec, s[8:9]
	v_add_u32_e32 v8, s3, v8
	v_cmp_le_i32_e32 vcc, s5, v8
	s_or_b64 s[0:1], vcc, s[0:1]
	s_andn2_b64 exec, exec, s[0:1]
	s_cbranch_execz .LBB373_27
.LBB373_19:                             ; =>This Loop Header: Depth=1
                                        ;     Child Loop BB373_22 Depth 2
                                        ;       Child Loop BB373_24 Depth 3
                                        ;       Child Loop BB373_26 Depth 3
	v_ashrrev_i32_e32 v9, 31, v8
	v_lshlrev_b64 v[0:1], 2, v[8:9]
	v_add_co_u32_e32 v2, vcc, s16, v0
	v_addc_co_u32_e32 v3, vcc, v25, v1, vcc
	v_add_co_u32_e32 v0, vcc, s18, v0
	v_addc_co_u32_e32 v1, vcc, v26, v1, vcc
	global_load_dword v10, v[0:1], off
	global_load_dword v11, v[2:3], off
	s_waitcnt vmcnt(1)
	v_subrev_u32_e32 v27, s2, v10
	s_waitcnt vmcnt(0)
	v_add_u32_e32 v10, v11, v24
	v_cmp_lt_i32_e32 vcc, v10, v27
	s_and_saveexec_b64 s[8:9], vcc
	s_cbranch_execz .LBB373_18
; %bb.20:                               ;   in Loop: Header=BB373_19 Depth=1
	v_lshlrev_b64 v[0:1], 4, v[8:9]
	v_mov_b32_e32 v2, s25
	v_add_co_u32_e32 v0, vcc, s24, v0
	v_addc_co_u32_e32 v1, vcc, v2, v1, vcc
	global_load_dwordx4 v[0:3], v[0:1], off
	s_mov_b64 s[10:11], 0
	s_waitcnt vmcnt(0)
	v_mul_f64 v[12:13], v[2:3], -v[6:7]
	v_mul_f64 v[14:15], v[4:5], v[2:3]
	v_fmac_f64_e32 v[12:13], v[4:5], v[0:1]
	v_fmac_f64_e32 v[14:15], v[6:7], v[0:1]
	s_branch .LBB373_22
.LBB373_21:                             ;   in Loop: Header=BB373_22 Depth=2
	s_or_b64 exec, exec, s[12:13]
	v_add_u32_e32 v10, 64, v10
	v_cmp_ge_i32_e32 vcc, v10, v27
	s_or_b64 s[10:11], vcc, s[10:11]
	s_andn2_b64 exec, exec, s[10:11]
	s_cbranch_execz .LBB373_18
.LBB373_22:                             ;   Parent Loop BB373_19 Depth=1
                                        ; =>  This Loop Header: Depth=2
                                        ;       Child Loop BB373_24 Depth 3
                                        ;       Child Loop BB373_26 Depth 3
	v_ashrrev_i32_e32 v11, 31, v10
	v_lshlrev_b64 v[0:1], 2, v[10:11]
	v_mov_b32_e32 v2, s21
	v_add_co_u32_e32 v0, vcc, s20, v0
	v_addc_co_u32_e32 v1, vcc, v2, v1, vcc
	global_load_dword v0, v[0:1], off
	s_waitcnt vmcnt(0)
	v_subrev_u32_e32 v0, s2, v0
	v_cmp_ne_u32_e32 vcc, v0, v8
	s_and_saveexec_b64 s[12:13], vcc
	s_cbranch_execz .LBB373_21
; %bb.23:                               ;   in Loop: Header=BB373_22 Depth=2
	v_lshlrev_b64 v[2:3], 3, v[10:11]
	v_mov_b32_e32 v1, s23
	v_add_co_u32_e32 v2, vcc, s22, v2
	v_addc_co_u32_e32 v3, vcc, v1, v3, vcc
	global_load_dwordx2 v[18:19], v[2:3], off
	v_ashrrev_i32_e32 v1, 31, v0
	v_lshlrev_b64 v[0:1], 4, v[0:1]
	v_mov_b32_e32 v2, s27
	v_add_co_u32_e32 v16, vcc, s26, v0
	v_addc_co_u32_e32 v17, vcc, v2, v1, vcc
	global_load_dwordx2 v[2:3], v[16:17], off
	s_mov_b64 s[14:15], 0
	s_waitcnt vmcnt(1)
	v_cndmask_b32_e64 v0, v19, -v19, s[6:7]
	v_cvt_f64_f32_e32 v[20:21], v0
	v_cvt_f64_f32_e32 v[18:19], v18
	v_mul_f64 v[22:23], -v[14:15], v[20:21]
	v_fmac_f64_e32 v[22:23], v[12:13], v[18:19]
.LBB373_24:                             ;   Parent Loop BB373_19 Depth=1
                                        ;     Parent Loop BB373_22 Depth=2
                                        ; =>    This Inner Loop Header: Depth=3
	s_waitcnt vmcnt(0)
	v_add_f64 v[0:1], v[2:3], v[22:23]
	global_atomic_cmpswap_x2 v[0:1], v[16:17], v[0:3], off glc
	s_waitcnt vmcnt(0)
	v_cmp_eq_u64_e32 vcc, v[0:1], v[2:3]
	s_or_b64 s[14:15], vcc, s[14:15]
	v_pk_mov_b32 v[2:3], v[0:1], v[0:1] op_sel:[0,1]
	s_andn2_b64 exec, exec, s[14:15]
	s_cbranch_execnz .LBB373_24
; %bb.25:                               ;   in Loop: Header=BB373_22 Depth=2
	s_or_b64 exec, exec, s[14:15]
	global_load_dwordx2 v[2:3], v[16:17], off offset:8
	v_mul_f64 v[20:21], v[12:13], v[20:21]
	v_fmac_f64_e32 v[20:21], v[14:15], v[18:19]
	s_mov_b64 s[14:15], 0
.LBB373_26:                             ;   Parent Loop BB373_19 Depth=1
                                        ;     Parent Loop BB373_22 Depth=2
                                        ; =>    This Inner Loop Header: Depth=3
	s_waitcnt vmcnt(0)
	v_add_f64 v[0:1], v[2:3], v[20:21]
	global_atomic_cmpswap_x2 v[0:1], v[16:17], v[0:3], off offset:8 glc
	s_waitcnt vmcnt(0)
	v_cmp_eq_u64_e32 vcc, v[0:1], v[2:3]
	s_or_b64 s[14:15], vcc, s[14:15]
	v_pk_mov_b32 v[2:3], v[0:1], v[0:1] op_sel:[0,1]
	s_andn2_b64 exec, exec, s[14:15]
	s_cbranch_execnz .LBB373_26
	s_branch .LBB373_21
.LBB373_27:
	s_endpgm
	.section	.rodata,"a",@progbits
	.p2align	6, 0x0
	.amdhsa_kernel _ZN9rocsparseL21csrmvt_general_kernelILj256ELj64Eii21rocsparse_complex_numIfES1_IdES3_S3_EEvbbT2_NS_24const_host_device_scalarIT6_EEPKT1_SA_PKS4_PKT3_PKT4_PT5_21rocsparse_index_base_b
		.amdhsa_group_segment_fixed_size 2048
		.amdhsa_private_segment_fixed_size 0
		.amdhsa_kernarg_size 336
		.amdhsa_user_sgpr_count 8
		.amdhsa_user_sgpr_private_segment_buffer 1
		.amdhsa_user_sgpr_dispatch_ptr 1
		.amdhsa_user_sgpr_queue_ptr 0
		.amdhsa_user_sgpr_kernarg_segment_ptr 1
		.amdhsa_user_sgpr_dispatch_id 0
		.amdhsa_user_sgpr_flat_scratch_init 0
		.amdhsa_user_sgpr_kernarg_preload_length 0
		.amdhsa_user_sgpr_kernarg_preload_offset 0
		.amdhsa_user_sgpr_private_segment_size 0
		.amdhsa_uses_dynamic_stack 0
		.amdhsa_system_sgpr_private_segment_wavefront_offset 0
		.amdhsa_system_sgpr_workgroup_id_x 1
		.amdhsa_system_sgpr_workgroup_id_y 0
		.amdhsa_system_sgpr_workgroup_id_z 0
		.amdhsa_system_sgpr_workgroup_info 0
		.amdhsa_system_vgpr_workitem_id 2
		.amdhsa_next_free_vgpr 30
		.amdhsa_next_free_sgpr 30
		.amdhsa_accum_offset 32
		.amdhsa_reserve_vcc 1
		.amdhsa_reserve_flat_scratch 0
		.amdhsa_float_round_mode_32 0
		.amdhsa_float_round_mode_16_64 0
		.amdhsa_float_denorm_mode_32 3
		.amdhsa_float_denorm_mode_16_64 3
		.amdhsa_dx10_clamp 1
		.amdhsa_ieee_mode 1
		.amdhsa_fp16_overflow 0
		.amdhsa_tg_split 0
		.amdhsa_exception_fp_ieee_invalid_op 0
		.amdhsa_exception_fp_denorm_src 0
		.amdhsa_exception_fp_ieee_div_zero 0
		.amdhsa_exception_fp_ieee_overflow 0
		.amdhsa_exception_fp_ieee_underflow 0
		.amdhsa_exception_fp_ieee_inexact 0
		.amdhsa_exception_int_div_zero 0
	.end_amdhsa_kernel
	.section	.text._ZN9rocsparseL21csrmvt_general_kernelILj256ELj64Eii21rocsparse_complex_numIfES1_IdES3_S3_EEvbbT2_NS_24const_host_device_scalarIT6_EEPKT1_SA_PKS4_PKT3_PKT4_PT5_21rocsparse_index_base_b,"axG",@progbits,_ZN9rocsparseL21csrmvt_general_kernelILj256ELj64Eii21rocsparse_complex_numIfES1_IdES3_S3_EEvbbT2_NS_24const_host_device_scalarIT6_EEPKT1_SA_PKS4_PKT3_PKT4_PT5_21rocsparse_index_base_b,comdat
.Lfunc_end373:
	.size	_ZN9rocsparseL21csrmvt_general_kernelILj256ELj64Eii21rocsparse_complex_numIfES1_IdES3_S3_EEvbbT2_NS_24const_host_device_scalarIT6_EEPKT1_SA_PKS4_PKT3_PKT4_PT5_21rocsparse_index_base_b, .Lfunc_end373-_ZN9rocsparseL21csrmvt_general_kernelILj256ELj64Eii21rocsparse_complex_numIfES1_IdES3_S3_EEvbbT2_NS_24const_host_device_scalarIT6_EEPKT1_SA_PKS4_PKT3_PKT4_PT5_21rocsparse_index_base_b
                                        ; -- End function
	.section	.AMDGPU.csdata,"",@progbits
; Kernel info:
; codeLenInByte = 1268
; NumSgprs: 34
; NumVgprs: 30
; NumAgprs: 0
; TotalNumVgprs: 30
; ScratchSize: 0
; MemoryBound: 0
; FloatMode: 240
; IeeeMode: 1
; LDSByteSize: 2048 bytes/workgroup (compile time only)
; SGPRBlocks: 4
; VGPRBlocks: 3
; NumSGPRsForWavesPerEU: 34
; NumVGPRsForWavesPerEU: 30
; AccumOffset: 32
; Occupancy: 8
; WaveLimiterHint : 1
; COMPUTE_PGM_RSRC2:SCRATCH_EN: 0
; COMPUTE_PGM_RSRC2:USER_SGPR: 8
; COMPUTE_PGM_RSRC2:TRAP_HANDLER: 0
; COMPUTE_PGM_RSRC2:TGID_X_EN: 1
; COMPUTE_PGM_RSRC2:TGID_Y_EN: 0
; COMPUTE_PGM_RSRC2:TGID_Z_EN: 0
; COMPUTE_PGM_RSRC2:TIDIG_COMP_CNT: 2
; COMPUTE_PGM_RSRC3_GFX90A:ACCUM_OFFSET: 7
; COMPUTE_PGM_RSRC3_GFX90A:TG_SPLIT: 0
	.section	.text._ZN9rocsparseL21csrmvn_general_kernelILj256ELj2Eli21rocsparse_complex_numIfES1_IdES3_S3_EEvbT2_NS_24const_host_device_scalarIT6_EEPKT1_SA_PKS4_PKT3_PKT4_S7_PT5_21rocsparse_index_base_b,"axG",@progbits,_ZN9rocsparseL21csrmvn_general_kernelILj256ELj2Eli21rocsparse_complex_numIfES1_IdES3_S3_EEvbT2_NS_24const_host_device_scalarIT6_EEPKT1_SA_PKS4_PKT3_PKT4_S7_PT5_21rocsparse_index_base_b,comdat
	.globl	_ZN9rocsparseL21csrmvn_general_kernelILj256ELj2Eli21rocsparse_complex_numIfES1_IdES3_S3_EEvbT2_NS_24const_host_device_scalarIT6_EEPKT1_SA_PKS4_PKT3_PKT4_S7_PT5_21rocsparse_index_base_b ; -- Begin function _ZN9rocsparseL21csrmvn_general_kernelILj256ELj2Eli21rocsparse_complex_numIfES1_IdES3_S3_EEvbT2_NS_24const_host_device_scalarIT6_EEPKT1_SA_PKS4_PKT3_PKT4_S7_PT5_21rocsparse_index_base_b
	.p2align	8
	.type	_ZN9rocsparseL21csrmvn_general_kernelILj256ELj2Eli21rocsparse_complex_numIfES1_IdES3_S3_EEvbT2_NS_24const_host_device_scalarIT6_EEPKT1_SA_PKS4_PKT3_PKT4_S7_PT5_21rocsparse_index_base_b,@function
_ZN9rocsparseL21csrmvn_general_kernelILj256ELj2Eli21rocsparse_complex_numIfES1_IdES3_S3_EEvbT2_NS_24const_host_device_scalarIT6_EEPKT1_SA_PKS4_PKT3_PKT4_S7_PT5_21rocsparse_index_base_b: ; @_ZN9rocsparseL21csrmvn_general_kernelILj256ELj2Eli21rocsparse_complex_numIfES1_IdES3_S3_EEvbT2_NS_24const_host_device_scalarIT6_EEPKT1_SA_PKS4_PKT3_PKT4_S7_PT5_21rocsparse_index_base_b
; %bb.0:
	s_load_dwordx2 s[24:25], s[6:7], 0x58
	s_load_dwordx8 s[12:19], s[6:7], 0x8
	s_load_dwordx4 s[20:23], s[6:7], 0x40
	s_mov_b64 s[2:3], src_shared_base
	s_load_dwordx2 s[4:5], s[4:5], 0x4
	s_waitcnt lgkmcnt(0)
	s_bitcmp1_b32 s25, 0
	s_cselect_b64 s[0:1], -1, 0
	s_and_b64 vcc, s[0:1], exec
	s_cselect_b32 s2, s3, s13
	s_lshr_b32 s4, s4, 16
	v_and_b32_e32 v1, 0x3ff, v0
	s_mul_i32 s4, s4, s5
	v_mul_lo_u32 v2, s4, v1
	v_bfe_u32 v3, v0, 10, 10
	v_mad_u32_u24 v2, v3, s5, v2
	v_bfe_u32 v0, v0, 20, 10
	v_add_lshl_u32 v0, v2, v0, 3
	v_mov_b32_e32 v6, s12
	v_add_u32_e32 v7, 0x800, v0
	v_pk_mov_b32 v[2:3], s[12:13], s[12:13] op_sel:[0,1]
	v_pk_mov_b32 v[4:5], s[20:21], s[20:21] op_sel:[0,1]
	ds_write2st64_b64 v0, v[4:5], v[2:3] offset1:4
	v_cndmask_b32_e64 v2, v6, v7, s[0:1]
	v_mov_b32_e32 v3, s2
	flat_load_dwordx2 v[4:5], v[2:3]
	s_xor_b64 s[4:5], s[0:1], -1
	v_pk_mov_b32 v[6:7], s[14:15], s[14:15] op_sel:[0,1]
	s_cbranch_vccnz .LBB374_2
; %bb.1:
	v_pk_mov_b32 v[2:3], s[12:13], s[12:13] op_sel:[0,1]
	flat_load_dwordx2 v[6:7], v[2:3] offset:8
.LBB374_2:
	s_and_b64 s[10:11], s[0:1], exec
	s_cselect_b32 s2, s3, s21
	v_mov_b32_e32 v2, s20
	v_cndmask_b32_e64 v2, v2, v0, s[0:1]
	v_mov_b32_e32 v3, s2
	flat_load_dwordx2 v[8:9], v[2:3]
	s_andn2_b64 vcc, exec, s[4:5]
	v_pk_mov_b32 v[10:11], s[22:23], s[22:23] op_sel:[0,1]
	s_cbranch_vccnz .LBB374_4
; %bb.3:
	v_pk_mov_b32 v[2:3], s[20:21], s[20:21] op_sel:[0,1]
	flat_load_dwordx2 v[10:11], v[2:3] offset:8
.LBB374_4:
	s_waitcnt vmcnt(0) lgkmcnt(0)
	v_cmp_eq_f64_e32 vcc, 0, v[4:5]
	v_cmp_eq_f64_e64 s[0:1], 0, v[6:7]
	s_and_b64 s[4:5], vcc, s[0:1]
	s_mov_b64 s[0:1], -1
	s_and_saveexec_b64 s[2:3], s[4:5]
; %bb.5:
	v_cmp_neq_f64_e32 vcc, 1.0, v[8:9]
	v_cmp_neq_f64_e64 s[0:1], 0, v[10:11]
	s_or_b64 s[0:1], vcc, s[0:1]
	s_orn2_b64 s[0:1], s[0:1], exec
; %bb.6:
	s_or_b64 exec, exec, s[2:3]
	s_and_saveexec_b64 s[2:3], s[0:1]
	s_cbranch_execz .LBB374_18
; %bb.7:
	s_load_dwordx2 s[4:5], s[6:7], 0x0
	v_lshl_or_b32 v0, s8, 8, v1
	v_lshrrev_b32_e32 v12, 1, v0
	s_waitcnt lgkmcnt(0)
	v_cmp_gt_i32_e32 vcc, s5, v12
	s_and_b64 exec, exec, vcc
	s_cbranch_execz .LBB374_18
; %bb.8:
	s_load_dword s2, s[6:7], 0x60
	s_load_dwordx2 s[12:13], s[6:7], 0x50
	s_load_dwordx4 s[8:11], s[6:7], 0x28
	s_load_dwordx2 s[0:1], s[6:7], 0x38
	v_and_b32_e32 v0, 1, v1
	s_waitcnt lgkmcnt(0)
	s_lshl_b32 s22, s2, 7
	v_subrev_co_u32_e32 v22, vcc, s24, v0
	s_bitcmp1_b32 s4, 0
	v_subb_co_u32_e64 v23, s[2:3], 0, 0, vcc
	s_cselect_b64 s[6:7], -1, 0
	s_ashr_i32 s3, s24, 31
	s_mov_b32 s2, s24
	s_lshl_b64 s[2:3], s[2:3], 4
	s_sub_u32 s4, s0, s2
	s_subb_u32 s21, s1, s3
	v_cmp_neq_f64_e64 s[0:1], 0, v[8:9]
	v_cmp_neq_f64_e64 s[2:3], 0, v[10:11]
	s_or_b64 s[2:3], s[0:1], s[2:3]
	s_mov_b32 s20, 0
	s_add_u32 s23, s10, 4
	v_cmp_eq_u32_e32 vcc, 1, v0
	s_mov_b64 s[14:15], 0
	s_addc_u32 s25, s11, 0
	v_mov_b32_e32 v24, s17
	v_mov_b32_e32 v25, s19
	;; [unrolled: 1-line block ×4, first 2 shown]
	s_branch .LBB374_11
.LBB374_9:                              ;   in Loop: Header=BB374_11 Depth=1
	s_or_b64 exec, exec, s[0:1]
	global_store_dwordx4 v[14:15], v[0:3], off
.LBB374_10:                             ;   in Loop: Header=BB374_11 Depth=1
	s_or_b64 exec, exec, s[10:11]
	v_add_u32_e32 v12, s22, v12
	v_cmp_le_i32_e64 s[0:1], s5, v12
	s_or_b64 s[14:15], s[0:1], s[14:15]
	s_andn2_b64 exec, exec, s[14:15]
	s_cbranch_execz .LBB374_18
.LBB374_11:                             ; =>This Loop Header: Depth=1
                                        ;     Child Loop BB374_13 Depth 2
	v_ashrrev_i32_e32 v13, 31, v12
	v_lshlrev_b64 v[0:1], 3, v[12:13]
	v_add_co_u32_e64 v2, s[0:1], s18, v0
	v_addc_co_u32_e64 v3, s[0:1], v25, v1, s[0:1]
	global_load_dwordx2 v[14:15], v[2:3], off
	v_add_co_u32_e64 v0, s[0:1], s16, v0
	v_addc_co_u32_e64 v1, s[0:1], v24, v1, s[0:1]
	global_load_dwordx2 v[16:17], v[0:1], off
	v_pk_mov_b32 v[2:3], 0, 0
	s_waitcnt vmcnt(1)
	v_subrev_co_u32_e64 v0, s[0:1], s24, v14
	v_subb_co_u32_e64 v1, s[0:1], v15, v26, s[0:1]
	s_waitcnt vmcnt(0)
	v_add_co_u32_e64 v14, s[0:1], v16, v22
	v_addc_co_u32_e64 v15, s[0:1], v17, v23, s[0:1]
	v_cmp_lt_i64_e64 s[0:1], v[14:15], v[0:1]
	v_pk_mov_b32 v[16:17], v[2:3], v[2:3] op_sel:[0,1]
	s_and_saveexec_b64 s[10:11], s[0:1]
	s_cbranch_execz .LBB374_15
; %bb.12:                               ;   in Loop: Header=BB374_11 Depth=1
	v_lshlrev_b64 v[2:3], 3, v[14:15]
	v_mov_b32_e32 v16, s25
	v_add_co_u32_e64 v18, s[0:1], s23, v2
	v_addc_co_u32_e64 v19, s[0:1], v16, v3, s[0:1]
	v_lshlrev_b64 v[2:3], 2, v[14:15]
	v_mov_b32_e32 v16, s9
	v_add_co_u32_e64 v20, s[0:1], s8, v2
	v_addc_co_u32_e64 v21, s[0:1], v16, v3, s[0:1]
	v_pk_mov_b32 v[2:3], 0, 0
	s_mov_b64 s[20:21], 0
	v_pk_mov_b32 v[16:17], v[2:3], v[2:3] op_sel:[0,1]
.LBB374_13:                             ;   Parent Loop BB374_11 Depth=1
                                        ; =>  This Inner Loop Header: Depth=2
	global_load_dword v28, v[20:21], off
	global_load_dwordx2 v[32:33], v[18:19], off offset:-4
	s_waitcnt vmcnt(1)
	v_ashrrev_i32_e32 v29, 31, v28
	v_lshlrev_b64 v[28:29], 4, v[28:29]
	v_add_co_u32_e64 v28, s[0:1], s4, v28
	v_addc_co_u32_e64 v29, s[0:1], v27, v29, s[0:1]
	global_load_dwordx4 v[28:31], v[28:29], off
	v_add_co_u32_e64 v14, s[0:1], 2, v14
	v_addc_co_u32_e64 v15, s[0:1], 0, v15, s[0:1]
	v_add_co_u32_e64 v18, s[0:1], 16, v18
	s_waitcnt vmcnt(1)
	v_cndmask_b32_e64 v34, v33, -v33, s[6:7]
	v_addc_co_u32_e64 v19, s[0:1], 0, v19, s[0:1]
	v_cvt_f64_f32_e32 v[34:35], v34
	v_add_co_u32_e64 v20, s[0:1], 8, v20
	v_cvt_f64_f32_e32 v[32:33], v32
	v_mul_f64 v[36:37], -v[6:7], v[34:35]
	v_mul_f64 v[34:35], v[4:5], v[34:35]
	v_addc_co_u32_e64 v21, s[0:1], 0, v21, s[0:1]
	v_fmac_f64_e32 v[36:37], v[4:5], v[32:33]
	v_fmac_f64_e32 v[34:35], v[6:7], v[32:33]
	v_cmp_ge_i64_e64 s[0:1], v[14:15], v[0:1]
	s_or_b64 s[20:21], s[0:1], s[20:21]
	s_waitcnt vmcnt(0)
	v_fmac_f64_e32 v[16:17], v[36:37], v[28:29]
	v_fmac_f64_e32 v[2:3], v[34:35], v[28:29]
	v_fma_f64 v[16:17], -v[34:35], v[30:31], v[16:17]
	v_fmac_f64_e32 v[2:3], v[36:37], v[30:31]
	s_andn2_b64 exec, exec, s[20:21]
	s_cbranch_execnz .LBB374_13
; %bb.14:                               ;   in Loop: Header=BB374_11 Depth=1
	s_or_b64 exec, exec, s[20:21]
.LBB374_15:                             ;   in Loop: Header=BB374_11 Depth=1
	s_or_b64 exec, exec, s[10:11]
	v_mov_b32_dpp v0, v16 row_shr:1 row_mask:0xf bank_mask:0xf
	v_mov_b32_dpp v1, v17 row_shr:1 row_mask:0xf bank_mask:0xf
	v_mov_b32_dpp v14, v2 row_shr:1 row_mask:0xf bank_mask:0xf
	v_mov_b32_dpp v15, v3 row_shr:1 row_mask:0xf bank_mask:0xf
	s_and_saveexec_b64 s[10:11], vcc
	s_cbranch_execz .LBB374_10
; %bb.16:                               ;   in Loop: Header=BB374_11 Depth=1
	v_add_f64 v[2:3], v[2:3], v[14:15]
	v_lshlrev_b64 v[14:15], 4, v[12:13]
	v_mov_b32_e32 v13, s13
	v_add_co_u32_e64 v14, s[0:1], s12, v14
	v_add_f64 v[0:1], v[16:17], v[0:1]
	v_addc_co_u32_e64 v15, s[0:1], v13, v15, s[0:1]
	s_and_saveexec_b64 s[0:1], s[2:3]
	s_cbranch_execz .LBB374_9
; %bb.17:                               ;   in Loop: Header=BB374_11 Depth=1
	global_load_dwordx4 v[16:19], v[14:15], off
	s_waitcnt vmcnt(0)
	v_fmac_f64_e32 v[0:1], v[8:9], v[16:17]
	v_fmac_f64_e32 v[2:3], v[10:11], v[16:17]
	v_fma_f64 v[0:1], -v[10:11], v[18:19], v[0:1]
	v_fmac_f64_e32 v[2:3], v[8:9], v[18:19]
	s_branch .LBB374_9
.LBB374_18:
	s_endpgm
	.section	.rodata,"a",@progbits
	.p2align	6, 0x0
	.amdhsa_kernel _ZN9rocsparseL21csrmvn_general_kernelILj256ELj2Eli21rocsparse_complex_numIfES1_IdES3_S3_EEvbT2_NS_24const_host_device_scalarIT6_EEPKT1_SA_PKS4_PKT3_PKT4_S7_PT5_21rocsparse_index_base_b
		.amdhsa_group_segment_fixed_size 4096
		.amdhsa_private_segment_fixed_size 0
		.amdhsa_kernarg_size 352
		.amdhsa_user_sgpr_count 8
		.amdhsa_user_sgpr_private_segment_buffer 1
		.amdhsa_user_sgpr_dispatch_ptr 1
		.amdhsa_user_sgpr_queue_ptr 0
		.amdhsa_user_sgpr_kernarg_segment_ptr 1
		.amdhsa_user_sgpr_dispatch_id 0
		.amdhsa_user_sgpr_flat_scratch_init 0
		.amdhsa_user_sgpr_kernarg_preload_length 0
		.amdhsa_user_sgpr_kernarg_preload_offset 0
		.amdhsa_user_sgpr_private_segment_size 0
		.amdhsa_uses_dynamic_stack 0
		.amdhsa_system_sgpr_private_segment_wavefront_offset 0
		.amdhsa_system_sgpr_workgroup_id_x 1
		.amdhsa_system_sgpr_workgroup_id_y 0
		.amdhsa_system_sgpr_workgroup_id_z 0
		.amdhsa_system_sgpr_workgroup_info 0
		.amdhsa_system_vgpr_workitem_id 2
		.amdhsa_next_free_vgpr 38
		.amdhsa_next_free_sgpr 26
		.amdhsa_accum_offset 40
		.amdhsa_reserve_vcc 1
		.amdhsa_reserve_flat_scratch 0
		.amdhsa_float_round_mode_32 0
		.amdhsa_float_round_mode_16_64 0
		.amdhsa_float_denorm_mode_32 3
		.amdhsa_float_denorm_mode_16_64 3
		.amdhsa_dx10_clamp 1
		.amdhsa_ieee_mode 1
		.amdhsa_fp16_overflow 0
		.amdhsa_tg_split 0
		.amdhsa_exception_fp_ieee_invalid_op 0
		.amdhsa_exception_fp_denorm_src 0
		.amdhsa_exception_fp_ieee_div_zero 0
		.amdhsa_exception_fp_ieee_overflow 0
		.amdhsa_exception_fp_ieee_underflow 0
		.amdhsa_exception_fp_ieee_inexact 0
		.amdhsa_exception_int_div_zero 0
	.end_amdhsa_kernel
	.section	.text._ZN9rocsparseL21csrmvn_general_kernelILj256ELj2Eli21rocsparse_complex_numIfES1_IdES3_S3_EEvbT2_NS_24const_host_device_scalarIT6_EEPKT1_SA_PKS4_PKT3_PKT4_S7_PT5_21rocsparse_index_base_b,"axG",@progbits,_ZN9rocsparseL21csrmvn_general_kernelILj256ELj2Eli21rocsparse_complex_numIfES1_IdES3_S3_EEvbT2_NS_24const_host_device_scalarIT6_EEPKT1_SA_PKS4_PKT3_PKT4_S7_PT5_21rocsparse_index_base_b,comdat
.Lfunc_end374:
	.size	_ZN9rocsparseL21csrmvn_general_kernelILj256ELj2Eli21rocsparse_complex_numIfES1_IdES3_S3_EEvbT2_NS_24const_host_device_scalarIT6_EEPKT1_SA_PKS4_PKT3_PKT4_S7_PT5_21rocsparse_index_base_b, .Lfunc_end374-_ZN9rocsparseL21csrmvn_general_kernelILj256ELj2Eli21rocsparse_complex_numIfES1_IdES3_S3_EEvbT2_NS_24const_host_device_scalarIT6_EEPKT1_SA_PKS4_PKT3_PKT4_S7_PT5_21rocsparse_index_base_b
                                        ; -- End function
	.section	.AMDGPU.csdata,"",@progbits
; Kernel info:
; codeLenInByte = 1084
; NumSgprs: 30
; NumVgprs: 38
; NumAgprs: 0
; TotalNumVgprs: 38
; ScratchSize: 0
; MemoryBound: 0
; FloatMode: 240
; IeeeMode: 1
; LDSByteSize: 4096 bytes/workgroup (compile time only)
; SGPRBlocks: 3
; VGPRBlocks: 4
; NumSGPRsForWavesPerEU: 30
; NumVGPRsForWavesPerEU: 38
; AccumOffset: 40
; Occupancy: 8
; WaveLimiterHint : 1
; COMPUTE_PGM_RSRC2:SCRATCH_EN: 0
; COMPUTE_PGM_RSRC2:USER_SGPR: 8
; COMPUTE_PGM_RSRC2:TRAP_HANDLER: 0
; COMPUTE_PGM_RSRC2:TGID_X_EN: 1
; COMPUTE_PGM_RSRC2:TGID_Y_EN: 0
; COMPUTE_PGM_RSRC2:TGID_Z_EN: 0
; COMPUTE_PGM_RSRC2:TIDIG_COMP_CNT: 2
; COMPUTE_PGM_RSRC3_GFX90A:ACCUM_OFFSET: 9
; COMPUTE_PGM_RSRC3_GFX90A:TG_SPLIT: 0
	.section	.text._ZN9rocsparseL21csrmvn_general_kernelILj256ELj4Eli21rocsparse_complex_numIfES1_IdES3_S3_EEvbT2_NS_24const_host_device_scalarIT6_EEPKT1_SA_PKS4_PKT3_PKT4_S7_PT5_21rocsparse_index_base_b,"axG",@progbits,_ZN9rocsparseL21csrmvn_general_kernelILj256ELj4Eli21rocsparse_complex_numIfES1_IdES3_S3_EEvbT2_NS_24const_host_device_scalarIT6_EEPKT1_SA_PKS4_PKT3_PKT4_S7_PT5_21rocsparse_index_base_b,comdat
	.globl	_ZN9rocsparseL21csrmvn_general_kernelILj256ELj4Eli21rocsparse_complex_numIfES1_IdES3_S3_EEvbT2_NS_24const_host_device_scalarIT6_EEPKT1_SA_PKS4_PKT3_PKT4_S7_PT5_21rocsparse_index_base_b ; -- Begin function _ZN9rocsparseL21csrmvn_general_kernelILj256ELj4Eli21rocsparse_complex_numIfES1_IdES3_S3_EEvbT2_NS_24const_host_device_scalarIT6_EEPKT1_SA_PKS4_PKT3_PKT4_S7_PT5_21rocsparse_index_base_b
	.p2align	8
	.type	_ZN9rocsparseL21csrmvn_general_kernelILj256ELj4Eli21rocsparse_complex_numIfES1_IdES3_S3_EEvbT2_NS_24const_host_device_scalarIT6_EEPKT1_SA_PKS4_PKT3_PKT4_S7_PT5_21rocsparse_index_base_b,@function
_ZN9rocsparseL21csrmvn_general_kernelILj256ELj4Eli21rocsparse_complex_numIfES1_IdES3_S3_EEvbT2_NS_24const_host_device_scalarIT6_EEPKT1_SA_PKS4_PKT3_PKT4_S7_PT5_21rocsparse_index_base_b: ; @_ZN9rocsparseL21csrmvn_general_kernelILj256ELj4Eli21rocsparse_complex_numIfES1_IdES3_S3_EEvbT2_NS_24const_host_device_scalarIT6_EEPKT1_SA_PKS4_PKT3_PKT4_S7_PT5_21rocsparse_index_base_b
; %bb.0:
	s_load_dwordx2 s[24:25], s[6:7], 0x58
	s_load_dwordx8 s[12:19], s[6:7], 0x8
	s_load_dwordx4 s[20:23], s[6:7], 0x40
	s_mov_b64 s[2:3], src_shared_base
	s_load_dwordx2 s[4:5], s[4:5], 0x4
	s_waitcnt lgkmcnt(0)
	s_bitcmp1_b32 s25, 0
	s_cselect_b64 s[0:1], -1, 0
	s_and_b64 vcc, s[0:1], exec
	s_cselect_b32 s2, s3, s13
	s_lshr_b32 s4, s4, 16
	v_and_b32_e32 v1, 0x3ff, v0
	s_mul_i32 s4, s4, s5
	v_mul_lo_u32 v2, s4, v1
	v_bfe_u32 v3, v0, 10, 10
	v_mad_u32_u24 v2, v3, s5, v2
	v_bfe_u32 v0, v0, 20, 10
	v_add_lshl_u32 v0, v2, v0, 3
	v_mov_b32_e32 v6, s12
	v_add_u32_e32 v7, 0x800, v0
	v_pk_mov_b32 v[2:3], s[12:13], s[12:13] op_sel:[0,1]
	v_pk_mov_b32 v[4:5], s[20:21], s[20:21] op_sel:[0,1]
	ds_write2st64_b64 v0, v[4:5], v[2:3] offset1:4
	v_cndmask_b32_e64 v2, v6, v7, s[0:1]
	v_mov_b32_e32 v3, s2
	flat_load_dwordx2 v[4:5], v[2:3]
	s_xor_b64 s[4:5], s[0:1], -1
	v_pk_mov_b32 v[6:7], s[14:15], s[14:15] op_sel:[0,1]
	s_cbranch_vccnz .LBB375_2
; %bb.1:
	v_pk_mov_b32 v[2:3], s[12:13], s[12:13] op_sel:[0,1]
	flat_load_dwordx2 v[6:7], v[2:3] offset:8
.LBB375_2:
	s_and_b64 s[10:11], s[0:1], exec
	s_cselect_b32 s2, s3, s21
	v_mov_b32_e32 v2, s20
	v_cndmask_b32_e64 v2, v2, v0, s[0:1]
	v_mov_b32_e32 v3, s2
	flat_load_dwordx2 v[8:9], v[2:3]
	s_andn2_b64 vcc, exec, s[4:5]
	v_pk_mov_b32 v[10:11], s[22:23], s[22:23] op_sel:[0,1]
	s_cbranch_vccnz .LBB375_4
; %bb.3:
	v_pk_mov_b32 v[2:3], s[20:21], s[20:21] op_sel:[0,1]
	flat_load_dwordx2 v[10:11], v[2:3] offset:8
.LBB375_4:
	s_waitcnt vmcnt(0) lgkmcnt(0)
	v_cmp_eq_f64_e32 vcc, 0, v[4:5]
	v_cmp_eq_f64_e64 s[0:1], 0, v[6:7]
	s_and_b64 s[4:5], vcc, s[0:1]
	s_mov_b64 s[0:1], -1
	s_and_saveexec_b64 s[2:3], s[4:5]
; %bb.5:
	v_cmp_neq_f64_e32 vcc, 1.0, v[8:9]
	v_cmp_neq_f64_e64 s[0:1], 0, v[10:11]
	s_or_b64 s[0:1], vcc, s[0:1]
	s_orn2_b64 s[0:1], s[0:1], exec
; %bb.6:
	s_or_b64 exec, exec, s[2:3]
	s_and_saveexec_b64 s[2:3], s[0:1]
	s_cbranch_execz .LBB375_18
; %bb.7:
	s_load_dwordx2 s[4:5], s[6:7], 0x0
	v_lshl_or_b32 v0, s8, 8, v1
	v_lshrrev_b32_e32 v12, 2, v0
	s_waitcnt lgkmcnt(0)
	v_cmp_gt_i32_e32 vcc, s5, v12
	s_and_b64 exec, exec, vcc
	s_cbranch_execz .LBB375_18
; %bb.8:
	s_load_dword s2, s[6:7], 0x60
	s_load_dwordx2 s[12:13], s[6:7], 0x50
	s_load_dwordx4 s[8:11], s[6:7], 0x28
	s_load_dwordx2 s[0:1], s[6:7], 0x38
	v_and_b32_e32 v0, 3, v1
	s_waitcnt lgkmcnt(0)
	s_lshl_b32 s22, s2, 6
	v_subrev_co_u32_e32 v22, vcc, s24, v0
	s_bitcmp1_b32 s4, 0
	v_subb_co_u32_e64 v23, s[2:3], 0, 0, vcc
	s_cselect_b64 s[6:7], -1, 0
	s_ashr_i32 s3, s24, 31
	s_mov_b32 s2, s24
	s_lshl_b64 s[2:3], s[2:3], 4
	s_sub_u32 s4, s0, s2
	s_subb_u32 s21, s1, s3
	v_cmp_neq_f64_e64 s[0:1], 0, v[8:9]
	v_cmp_neq_f64_e64 s[2:3], 0, v[10:11]
	s_or_b64 s[2:3], s[0:1], s[2:3]
	s_mov_b32 s20, 0
	s_add_u32 s23, s10, 4
	v_cmp_eq_u32_e32 vcc, 3, v0
	s_mov_b64 s[14:15], 0
	s_addc_u32 s25, s11, 0
	v_mov_b32_e32 v24, s17
	v_mov_b32_e32 v25, s19
	;; [unrolled: 1-line block ×4, first 2 shown]
	s_branch .LBB375_11
.LBB375_9:                              ;   in Loop: Header=BB375_11 Depth=1
	s_or_b64 exec, exec, s[0:1]
	global_store_dwordx4 v[14:15], v[0:3], off
.LBB375_10:                             ;   in Loop: Header=BB375_11 Depth=1
	s_or_b64 exec, exec, s[10:11]
	v_add_u32_e32 v12, s22, v12
	v_cmp_le_i32_e64 s[0:1], s5, v12
	s_or_b64 s[14:15], s[0:1], s[14:15]
	s_andn2_b64 exec, exec, s[14:15]
	s_cbranch_execz .LBB375_18
.LBB375_11:                             ; =>This Loop Header: Depth=1
                                        ;     Child Loop BB375_13 Depth 2
	v_ashrrev_i32_e32 v13, 31, v12
	v_lshlrev_b64 v[0:1], 3, v[12:13]
	v_add_co_u32_e64 v2, s[0:1], s18, v0
	v_addc_co_u32_e64 v3, s[0:1], v25, v1, s[0:1]
	global_load_dwordx2 v[2:3], v[2:3], off
	v_add_co_u32_e64 v0, s[0:1], s16, v0
	v_addc_co_u32_e64 v1, s[0:1], v24, v1, s[0:1]
	global_load_dwordx2 v[14:15], v[0:1], off
	v_pk_mov_b32 v[0:1], 0, 0
	v_pk_mov_b32 v[16:17], v[0:1], v[0:1] op_sel:[0,1]
	s_waitcnt vmcnt(1)
	v_subrev_co_u32_e64 v2, s[0:1], s24, v2
	v_subb_co_u32_e64 v3, s[0:1], v3, v26, s[0:1]
	s_waitcnt vmcnt(0)
	v_add_co_u32_e64 v14, s[0:1], v14, v22
	v_addc_co_u32_e64 v15, s[0:1], v15, v23, s[0:1]
	v_cmp_lt_i64_e64 s[0:1], v[14:15], v[2:3]
	s_and_saveexec_b64 s[10:11], s[0:1]
	s_cbranch_execz .LBB375_15
; %bb.12:                               ;   in Loop: Header=BB375_11 Depth=1
	v_lshlrev_b64 v[0:1], 3, v[14:15]
	v_mov_b32_e32 v16, s25
	v_add_co_u32_e64 v18, s[0:1], s23, v0
	v_addc_co_u32_e64 v19, s[0:1], v16, v1, s[0:1]
	v_lshlrev_b64 v[0:1], 2, v[14:15]
	v_mov_b32_e32 v16, s9
	v_add_co_u32_e64 v20, s[0:1], s8, v0
	v_addc_co_u32_e64 v21, s[0:1], v16, v1, s[0:1]
	v_pk_mov_b32 v[0:1], 0, 0
	s_mov_b64 s[20:21], 0
	v_pk_mov_b32 v[16:17], v[0:1], v[0:1] op_sel:[0,1]
.LBB375_13:                             ;   Parent Loop BB375_11 Depth=1
                                        ; =>  This Inner Loop Header: Depth=2
	global_load_dword v28, v[20:21], off
	global_load_dwordx2 v[32:33], v[18:19], off offset:-4
	s_waitcnt vmcnt(1)
	v_ashrrev_i32_e32 v29, 31, v28
	v_lshlrev_b64 v[28:29], 4, v[28:29]
	v_add_co_u32_e64 v28, s[0:1], s4, v28
	v_addc_co_u32_e64 v29, s[0:1], v27, v29, s[0:1]
	global_load_dwordx4 v[28:31], v[28:29], off
	v_add_co_u32_e64 v14, s[0:1], 4, v14
	v_addc_co_u32_e64 v15, s[0:1], 0, v15, s[0:1]
	v_add_co_u32_e64 v18, s[0:1], 32, v18
	s_waitcnt vmcnt(1)
	v_cndmask_b32_e64 v34, v33, -v33, s[6:7]
	v_addc_co_u32_e64 v19, s[0:1], 0, v19, s[0:1]
	v_cvt_f64_f32_e32 v[34:35], v34
	v_add_co_u32_e64 v20, s[0:1], 16, v20
	v_cvt_f64_f32_e32 v[32:33], v32
	v_mul_f64 v[36:37], -v[6:7], v[34:35]
	v_mul_f64 v[34:35], v[4:5], v[34:35]
	v_addc_co_u32_e64 v21, s[0:1], 0, v21, s[0:1]
	v_fmac_f64_e32 v[36:37], v[4:5], v[32:33]
	v_fmac_f64_e32 v[34:35], v[6:7], v[32:33]
	v_cmp_ge_i64_e64 s[0:1], v[14:15], v[2:3]
	s_or_b64 s[20:21], s[0:1], s[20:21]
	s_waitcnt vmcnt(0)
	v_fmac_f64_e32 v[16:17], v[36:37], v[28:29]
	v_fmac_f64_e32 v[0:1], v[34:35], v[28:29]
	v_fma_f64 v[16:17], -v[34:35], v[30:31], v[16:17]
	v_fmac_f64_e32 v[0:1], v[36:37], v[30:31]
	s_andn2_b64 exec, exec, s[20:21]
	s_cbranch_execnz .LBB375_13
; %bb.14:                               ;   in Loop: Header=BB375_11 Depth=1
	s_or_b64 exec, exec, s[20:21]
.LBB375_15:                             ;   in Loop: Header=BB375_11 Depth=1
	s_or_b64 exec, exec, s[10:11]
	v_mov_b32_dpp v2, v16 row_shr:1 row_mask:0xf bank_mask:0xf
	v_mov_b32_dpp v3, v17 row_shr:1 row_mask:0xf bank_mask:0xf
	v_add_f64 v[2:3], v[16:17], v[2:3]
	v_mov_b32_dpp v16, v0 row_shr:1 row_mask:0xf bank_mask:0xf
	v_mov_b32_dpp v17, v1 row_shr:1 row_mask:0xf bank_mask:0xf
	v_add_f64 v[16:17], v[0:1], v[16:17]
	v_mov_b32_dpp v14, v2 row_shr:2 row_mask:0xf bank_mask:0xf
	v_mov_b32_dpp v15, v3 row_shr:2 row_mask:0xf bank_mask:0xf
	;; [unrolled: 1-line block ×4, first 2 shown]
	s_and_saveexec_b64 s[10:11], vcc
	s_cbranch_execz .LBB375_10
; %bb.16:                               ;   in Loop: Header=BB375_11 Depth=1
	v_add_f64 v[0:1], v[2:3], v[14:15]
	v_lshlrev_b64 v[14:15], 4, v[12:13]
	v_mov_b32_e32 v13, s13
	v_add_co_u32_e64 v14, s[0:1], s12, v14
	v_add_f64 v[2:3], v[16:17], v[18:19]
	v_addc_co_u32_e64 v15, s[0:1], v13, v15, s[0:1]
	s_and_saveexec_b64 s[0:1], s[2:3]
	s_cbranch_execz .LBB375_9
; %bb.17:                               ;   in Loop: Header=BB375_11 Depth=1
	global_load_dwordx4 v[16:19], v[14:15], off
	s_waitcnt vmcnt(0)
	v_fmac_f64_e32 v[0:1], v[8:9], v[16:17]
	v_fmac_f64_e32 v[2:3], v[10:11], v[16:17]
	v_fma_f64 v[0:1], -v[10:11], v[18:19], v[0:1]
	v_fmac_f64_e32 v[2:3], v[8:9], v[18:19]
	s_branch .LBB375_9
.LBB375_18:
	s_endpgm
	.section	.rodata,"a",@progbits
	.p2align	6, 0x0
	.amdhsa_kernel _ZN9rocsparseL21csrmvn_general_kernelILj256ELj4Eli21rocsparse_complex_numIfES1_IdES3_S3_EEvbT2_NS_24const_host_device_scalarIT6_EEPKT1_SA_PKS4_PKT3_PKT4_S7_PT5_21rocsparse_index_base_b
		.amdhsa_group_segment_fixed_size 4096
		.amdhsa_private_segment_fixed_size 0
		.amdhsa_kernarg_size 352
		.amdhsa_user_sgpr_count 8
		.amdhsa_user_sgpr_private_segment_buffer 1
		.amdhsa_user_sgpr_dispatch_ptr 1
		.amdhsa_user_sgpr_queue_ptr 0
		.amdhsa_user_sgpr_kernarg_segment_ptr 1
		.amdhsa_user_sgpr_dispatch_id 0
		.amdhsa_user_sgpr_flat_scratch_init 0
		.amdhsa_user_sgpr_kernarg_preload_length 0
		.amdhsa_user_sgpr_kernarg_preload_offset 0
		.amdhsa_user_sgpr_private_segment_size 0
		.amdhsa_uses_dynamic_stack 0
		.amdhsa_system_sgpr_private_segment_wavefront_offset 0
		.amdhsa_system_sgpr_workgroup_id_x 1
		.amdhsa_system_sgpr_workgroup_id_y 0
		.amdhsa_system_sgpr_workgroup_id_z 0
		.amdhsa_system_sgpr_workgroup_info 0
		.amdhsa_system_vgpr_workitem_id 2
		.amdhsa_next_free_vgpr 38
		.amdhsa_next_free_sgpr 26
		.amdhsa_accum_offset 40
		.amdhsa_reserve_vcc 1
		.amdhsa_reserve_flat_scratch 0
		.amdhsa_float_round_mode_32 0
		.amdhsa_float_round_mode_16_64 0
		.amdhsa_float_denorm_mode_32 3
		.amdhsa_float_denorm_mode_16_64 3
		.amdhsa_dx10_clamp 1
		.amdhsa_ieee_mode 1
		.amdhsa_fp16_overflow 0
		.amdhsa_tg_split 0
		.amdhsa_exception_fp_ieee_invalid_op 0
		.amdhsa_exception_fp_denorm_src 0
		.amdhsa_exception_fp_ieee_div_zero 0
		.amdhsa_exception_fp_ieee_overflow 0
		.amdhsa_exception_fp_ieee_underflow 0
		.amdhsa_exception_fp_ieee_inexact 0
		.amdhsa_exception_int_div_zero 0
	.end_amdhsa_kernel
	.section	.text._ZN9rocsparseL21csrmvn_general_kernelILj256ELj4Eli21rocsparse_complex_numIfES1_IdES3_S3_EEvbT2_NS_24const_host_device_scalarIT6_EEPKT1_SA_PKS4_PKT3_PKT4_S7_PT5_21rocsparse_index_base_b,"axG",@progbits,_ZN9rocsparseL21csrmvn_general_kernelILj256ELj4Eli21rocsparse_complex_numIfES1_IdES3_S3_EEvbT2_NS_24const_host_device_scalarIT6_EEPKT1_SA_PKS4_PKT3_PKT4_S7_PT5_21rocsparse_index_base_b,comdat
.Lfunc_end375:
	.size	_ZN9rocsparseL21csrmvn_general_kernelILj256ELj4Eli21rocsparse_complex_numIfES1_IdES3_S3_EEvbT2_NS_24const_host_device_scalarIT6_EEPKT1_SA_PKS4_PKT3_PKT4_S7_PT5_21rocsparse_index_base_b, .Lfunc_end375-_ZN9rocsparseL21csrmvn_general_kernelILj256ELj4Eli21rocsparse_complex_numIfES1_IdES3_S3_EEvbT2_NS_24const_host_device_scalarIT6_EEPKT1_SA_PKS4_PKT3_PKT4_S7_PT5_21rocsparse_index_base_b
                                        ; -- End function
	.section	.AMDGPU.csdata,"",@progbits
; Kernel info:
; codeLenInByte = 1132
; NumSgprs: 30
; NumVgprs: 38
; NumAgprs: 0
; TotalNumVgprs: 38
; ScratchSize: 0
; MemoryBound: 0
; FloatMode: 240
; IeeeMode: 1
; LDSByteSize: 4096 bytes/workgroup (compile time only)
; SGPRBlocks: 3
; VGPRBlocks: 4
; NumSGPRsForWavesPerEU: 30
; NumVGPRsForWavesPerEU: 38
; AccumOffset: 40
; Occupancy: 8
; WaveLimiterHint : 1
; COMPUTE_PGM_RSRC2:SCRATCH_EN: 0
; COMPUTE_PGM_RSRC2:USER_SGPR: 8
; COMPUTE_PGM_RSRC2:TRAP_HANDLER: 0
; COMPUTE_PGM_RSRC2:TGID_X_EN: 1
; COMPUTE_PGM_RSRC2:TGID_Y_EN: 0
; COMPUTE_PGM_RSRC2:TGID_Z_EN: 0
; COMPUTE_PGM_RSRC2:TIDIG_COMP_CNT: 2
; COMPUTE_PGM_RSRC3_GFX90A:ACCUM_OFFSET: 9
; COMPUTE_PGM_RSRC3_GFX90A:TG_SPLIT: 0
	.section	.text._ZN9rocsparseL21csrmvn_general_kernelILj256ELj8Eli21rocsparse_complex_numIfES1_IdES3_S3_EEvbT2_NS_24const_host_device_scalarIT6_EEPKT1_SA_PKS4_PKT3_PKT4_S7_PT5_21rocsparse_index_base_b,"axG",@progbits,_ZN9rocsparseL21csrmvn_general_kernelILj256ELj8Eli21rocsparse_complex_numIfES1_IdES3_S3_EEvbT2_NS_24const_host_device_scalarIT6_EEPKT1_SA_PKS4_PKT3_PKT4_S7_PT5_21rocsparse_index_base_b,comdat
	.globl	_ZN9rocsparseL21csrmvn_general_kernelILj256ELj8Eli21rocsparse_complex_numIfES1_IdES3_S3_EEvbT2_NS_24const_host_device_scalarIT6_EEPKT1_SA_PKS4_PKT3_PKT4_S7_PT5_21rocsparse_index_base_b ; -- Begin function _ZN9rocsparseL21csrmvn_general_kernelILj256ELj8Eli21rocsparse_complex_numIfES1_IdES3_S3_EEvbT2_NS_24const_host_device_scalarIT6_EEPKT1_SA_PKS4_PKT3_PKT4_S7_PT5_21rocsparse_index_base_b
	.p2align	8
	.type	_ZN9rocsparseL21csrmvn_general_kernelILj256ELj8Eli21rocsparse_complex_numIfES1_IdES3_S3_EEvbT2_NS_24const_host_device_scalarIT6_EEPKT1_SA_PKS4_PKT3_PKT4_S7_PT5_21rocsparse_index_base_b,@function
_ZN9rocsparseL21csrmvn_general_kernelILj256ELj8Eli21rocsparse_complex_numIfES1_IdES3_S3_EEvbT2_NS_24const_host_device_scalarIT6_EEPKT1_SA_PKS4_PKT3_PKT4_S7_PT5_21rocsparse_index_base_b: ; @_ZN9rocsparseL21csrmvn_general_kernelILj256ELj8Eli21rocsparse_complex_numIfES1_IdES3_S3_EEvbT2_NS_24const_host_device_scalarIT6_EEPKT1_SA_PKS4_PKT3_PKT4_S7_PT5_21rocsparse_index_base_b
; %bb.0:
	s_load_dwordx2 s[24:25], s[6:7], 0x58
	s_load_dwordx8 s[12:19], s[6:7], 0x8
	s_load_dwordx4 s[20:23], s[6:7], 0x40
	s_mov_b64 s[2:3], src_shared_base
	s_load_dwordx2 s[4:5], s[4:5], 0x4
	s_waitcnt lgkmcnt(0)
	s_bitcmp1_b32 s25, 0
	s_cselect_b64 s[0:1], -1, 0
	s_and_b64 vcc, s[0:1], exec
	s_cselect_b32 s2, s3, s13
	s_lshr_b32 s4, s4, 16
	v_and_b32_e32 v1, 0x3ff, v0
	s_mul_i32 s4, s4, s5
	v_mul_lo_u32 v2, s4, v1
	v_bfe_u32 v3, v0, 10, 10
	v_mad_u32_u24 v2, v3, s5, v2
	v_bfe_u32 v0, v0, 20, 10
	v_add_lshl_u32 v0, v2, v0, 3
	v_mov_b32_e32 v6, s12
	v_add_u32_e32 v7, 0x800, v0
	v_pk_mov_b32 v[2:3], s[12:13], s[12:13] op_sel:[0,1]
	v_pk_mov_b32 v[4:5], s[20:21], s[20:21] op_sel:[0,1]
	ds_write2st64_b64 v0, v[4:5], v[2:3] offset1:4
	v_cndmask_b32_e64 v2, v6, v7, s[0:1]
	v_mov_b32_e32 v3, s2
	flat_load_dwordx2 v[4:5], v[2:3]
	s_xor_b64 s[4:5], s[0:1], -1
	v_pk_mov_b32 v[6:7], s[14:15], s[14:15] op_sel:[0,1]
	s_cbranch_vccnz .LBB376_2
; %bb.1:
	v_pk_mov_b32 v[2:3], s[12:13], s[12:13] op_sel:[0,1]
	flat_load_dwordx2 v[6:7], v[2:3] offset:8
.LBB376_2:
	s_and_b64 s[10:11], s[0:1], exec
	s_cselect_b32 s2, s3, s21
	v_mov_b32_e32 v2, s20
	v_cndmask_b32_e64 v2, v2, v0, s[0:1]
	v_mov_b32_e32 v3, s2
	flat_load_dwordx2 v[8:9], v[2:3]
	s_andn2_b64 vcc, exec, s[4:5]
	v_pk_mov_b32 v[10:11], s[22:23], s[22:23] op_sel:[0,1]
	s_cbranch_vccnz .LBB376_4
; %bb.3:
	v_pk_mov_b32 v[2:3], s[20:21], s[20:21] op_sel:[0,1]
	flat_load_dwordx2 v[10:11], v[2:3] offset:8
.LBB376_4:
	s_waitcnt vmcnt(0) lgkmcnt(0)
	v_cmp_eq_f64_e32 vcc, 0, v[4:5]
	v_cmp_eq_f64_e64 s[0:1], 0, v[6:7]
	s_and_b64 s[4:5], vcc, s[0:1]
	s_mov_b64 s[0:1], -1
	s_and_saveexec_b64 s[2:3], s[4:5]
; %bb.5:
	v_cmp_neq_f64_e32 vcc, 1.0, v[8:9]
	v_cmp_neq_f64_e64 s[0:1], 0, v[10:11]
	s_or_b64 s[0:1], vcc, s[0:1]
	s_orn2_b64 s[0:1], s[0:1], exec
; %bb.6:
	s_or_b64 exec, exec, s[2:3]
	s_and_saveexec_b64 s[2:3], s[0:1]
	s_cbranch_execz .LBB376_18
; %bb.7:
	s_load_dwordx2 s[4:5], s[6:7], 0x0
	v_lshl_or_b32 v0, s8, 8, v1
	v_lshrrev_b32_e32 v12, 3, v0
	s_waitcnt lgkmcnt(0)
	v_cmp_gt_i32_e32 vcc, s5, v12
	s_and_b64 exec, exec, vcc
	s_cbranch_execz .LBB376_18
; %bb.8:
	s_load_dword s2, s[6:7], 0x60
	s_load_dwordx2 s[12:13], s[6:7], 0x50
	s_load_dwordx4 s[8:11], s[6:7], 0x28
	s_load_dwordx2 s[0:1], s[6:7], 0x38
	v_and_b32_e32 v0, 7, v1
	s_waitcnt lgkmcnt(0)
	s_lshl_b32 s22, s2, 5
	v_subrev_co_u32_e32 v22, vcc, s24, v0
	s_bitcmp1_b32 s4, 0
	v_subb_co_u32_e64 v23, s[2:3], 0, 0, vcc
	s_cselect_b64 s[6:7], -1, 0
	s_ashr_i32 s3, s24, 31
	s_mov_b32 s2, s24
	s_lshl_b64 s[2:3], s[2:3], 4
	s_sub_u32 s4, s0, s2
	s_subb_u32 s21, s1, s3
	v_cmp_neq_f64_e64 s[0:1], 0, v[8:9]
	v_cmp_neq_f64_e64 s[2:3], 0, v[10:11]
	s_or_b64 s[2:3], s[0:1], s[2:3]
	s_mov_b32 s20, 0
	s_add_u32 s23, s10, 4
	v_cmp_eq_u32_e32 vcc, 7, v0
	s_mov_b64 s[14:15], 0
	s_addc_u32 s25, s11, 0
	v_mov_b32_e32 v24, s17
	v_mov_b32_e32 v25, s19
	;; [unrolled: 1-line block ×4, first 2 shown]
	s_branch .LBB376_11
.LBB376_9:                              ;   in Loop: Header=BB376_11 Depth=1
	s_or_b64 exec, exec, s[0:1]
	global_store_dwordx4 v[14:15], v[0:3], off
.LBB376_10:                             ;   in Loop: Header=BB376_11 Depth=1
	s_or_b64 exec, exec, s[10:11]
	v_add_u32_e32 v12, s22, v12
	v_cmp_le_i32_e64 s[0:1], s5, v12
	s_or_b64 s[14:15], s[0:1], s[14:15]
	s_andn2_b64 exec, exec, s[14:15]
	s_cbranch_execz .LBB376_18
.LBB376_11:                             ; =>This Loop Header: Depth=1
                                        ;     Child Loop BB376_13 Depth 2
	v_ashrrev_i32_e32 v13, 31, v12
	v_lshlrev_b64 v[0:1], 3, v[12:13]
	v_add_co_u32_e64 v2, s[0:1], s18, v0
	v_addc_co_u32_e64 v3, s[0:1], v25, v1, s[0:1]
	global_load_dwordx2 v[2:3], v[2:3], off
	v_add_co_u32_e64 v0, s[0:1], s16, v0
	v_addc_co_u32_e64 v1, s[0:1], v24, v1, s[0:1]
	global_load_dwordx2 v[14:15], v[0:1], off
	v_pk_mov_b32 v[0:1], 0, 0
	v_pk_mov_b32 v[16:17], v[0:1], v[0:1] op_sel:[0,1]
	s_waitcnt vmcnt(1)
	v_subrev_co_u32_e64 v2, s[0:1], s24, v2
	v_subb_co_u32_e64 v3, s[0:1], v3, v26, s[0:1]
	s_waitcnt vmcnt(0)
	v_add_co_u32_e64 v14, s[0:1], v14, v22
	v_addc_co_u32_e64 v15, s[0:1], v15, v23, s[0:1]
	v_cmp_lt_i64_e64 s[0:1], v[14:15], v[2:3]
	s_and_saveexec_b64 s[10:11], s[0:1]
	s_cbranch_execz .LBB376_15
; %bb.12:                               ;   in Loop: Header=BB376_11 Depth=1
	v_lshlrev_b64 v[0:1], 3, v[14:15]
	v_mov_b32_e32 v16, s25
	v_add_co_u32_e64 v18, s[0:1], s23, v0
	v_addc_co_u32_e64 v19, s[0:1], v16, v1, s[0:1]
	v_lshlrev_b64 v[0:1], 2, v[14:15]
	v_mov_b32_e32 v16, s9
	v_add_co_u32_e64 v20, s[0:1], s8, v0
	v_addc_co_u32_e64 v21, s[0:1], v16, v1, s[0:1]
	v_pk_mov_b32 v[0:1], 0, 0
	s_mov_b64 s[20:21], 0
	v_pk_mov_b32 v[16:17], v[0:1], v[0:1] op_sel:[0,1]
.LBB376_13:                             ;   Parent Loop BB376_11 Depth=1
                                        ; =>  This Inner Loop Header: Depth=2
	global_load_dword v28, v[20:21], off
	global_load_dwordx2 v[32:33], v[18:19], off offset:-4
	s_waitcnt vmcnt(1)
	v_ashrrev_i32_e32 v29, 31, v28
	v_lshlrev_b64 v[28:29], 4, v[28:29]
	v_add_co_u32_e64 v28, s[0:1], s4, v28
	v_addc_co_u32_e64 v29, s[0:1], v27, v29, s[0:1]
	global_load_dwordx4 v[28:31], v[28:29], off
	v_add_co_u32_e64 v14, s[0:1], 8, v14
	v_addc_co_u32_e64 v15, s[0:1], 0, v15, s[0:1]
	v_add_co_u32_e64 v18, s[0:1], 64, v18
	s_waitcnt vmcnt(1)
	v_cndmask_b32_e64 v34, v33, -v33, s[6:7]
	v_addc_co_u32_e64 v19, s[0:1], 0, v19, s[0:1]
	v_cvt_f64_f32_e32 v[34:35], v34
	v_add_co_u32_e64 v20, s[0:1], 32, v20
	v_cvt_f64_f32_e32 v[32:33], v32
	v_mul_f64 v[36:37], -v[6:7], v[34:35]
	v_mul_f64 v[34:35], v[4:5], v[34:35]
	v_addc_co_u32_e64 v21, s[0:1], 0, v21, s[0:1]
	v_fmac_f64_e32 v[36:37], v[4:5], v[32:33]
	v_fmac_f64_e32 v[34:35], v[6:7], v[32:33]
	v_cmp_ge_i64_e64 s[0:1], v[14:15], v[2:3]
	s_or_b64 s[20:21], s[0:1], s[20:21]
	s_waitcnt vmcnt(0)
	v_fmac_f64_e32 v[16:17], v[36:37], v[28:29]
	v_fmac_f64_e32 v[0:1], v[34:35], v[28:29]
	v_fma_f64 v[16:17], -v[34:35], v[30:31], v[16:17]
	v_fmac_f64_e32 v[0:1], v[36:37], v[30:31]
	s_andn2_b64 exec, exec, s[20:21]
	s_cbranch_execnz .LBB376_13
; %bb.14:                               ;   in Loop: Header=BB376_11 Depth=1
	s_or_b64 exec, exec, s[20:21]
.LBB376_15:                             ;   in Loop: Header=BB376_11 Depth=1
	s_or_b64 exec, exec, s[10:11]
	v_mov_b32_dpp v2, v16 row_shr:1 row_mask:0xf bank_mask:0xf
	v_mov_b32_dpp v3, v17 row_shr:1 row_mask:0xf bank_mask:0xf
	v_add_f64 v[2:3], v[16:17], v[2:3]
	v_mov_b32_dpp v16, v0 row_shr:1 row_mask:0xf bank_mask:0xf
	v_mov_b32_dpp v17, v1 row_shr:1 row_mask:0xf bank_mask:0xf
	v_add_f64 v[0:1], v[0:1], v[16:17]
	v_mov_b32_dpp v14, v2 row_shr:2 row_mask:0xf bank_mask:0xf
	v_mov_b32_dpp v15, v3 row_shr:2 row_mask:0xf bank_mask:0xf
	;; [unrolled: 1-line block ×4, first 2 shown]
	v_add_f64 v[2:3], v[2:3], v[14:15]
	v_add_f64 v[16:17], v[0:1], v[16:17]
	s_nop 0
	v_mov_b32_dpp v14, v2 row_shr:4 row_mask:0xf bank_mask:0xe
	v_mov_b32_dpp v15, v3 row_shr:4 row_mask:0xf bank_mask:0xe
	;; [unrolled: 1-line block ×4, first 2 shown]
	s_and_saveexec_b64 s[10:11], vcc
	s_cbranch_execz .LBB376_10
; %bb.16:                               ;   in Loop: Header=BB376_11 Depth=1
	v_add_f64 v[0:1], v[2:3], v[14:15]
	v_lshlrev_b64 v[14:15], 4, v[12:13]
	v_mov_b32_e32 v13, s13
	v_add_co_u32_e64 v14, s[0:1], s12, v14
	v_add_f64 v[2:3], v[16:17], v[18:19]
	v_addc_co_u32_e64 v15, s[0:1], v13, v15, s[0:1]
	s_and_saveexec_b64 s[0:1], s[2:3]
	s_cbranch_execz .LBB376_9
; %bb.17:                               ;   in Loop: Header=BB376_11 Depth=1
	global_load_dwordx4 v[16:19], v[14:15], off
	s_waitcnt vmcnt(0)
	v_fmac_f64_e32 v[0:1], v[8:9], v[16:17]
	v_fmac_f64_e32 v[2:3], v[10:11], v[16:17]
	v_fma_f64 v[0:1], -v[10:11], v[18:19], v[0:1]
	v_fmac_f64_e32 v[2:3], v[8:9], v[18:19]
	s_branch .LBB376_9
.LBB376_18:
	s_endpgm
	.section	.rodata,"a",@progbits
	.p2align	6, 0x0
	.amdhsa_kernel _ZN9rocsparseL21csrmvn_general_kernelILj256ELj8Eli21rocsparse_complex_numIfES1_IdES3_S3_EEvbT2_NS_24const_host_device_scalarIT6_EEPKT1_SA_PKS4_PKT3_PKT4_S7_PT5_21rocsparse_index_base_b
		.amdhsa_group_segment_fixed_size 4096
		.amdhsa_private_segment_fixed_size 0
		.amdhsa_kernarg_size 352
		.amdhsa_user_sgpr_count 8
		.amdhsa_user_sgpr_private_segment_buffer 1
		.amdhsa_user_sgpr_dispatch_ptr 1
		.amdhsa_user_sgpr_queue_ptr 0
		.amdhsa_user_sgpr_kernarg_segment_ptr 1
		.amdhsa_user_sgpr_dispatch_id 0
		.amdhsa_user_sgpr_flat_scratch_init 0
		.amdhsa_user_sgpr_kernarg_preload_length 0
		.amdhsa_user_sgpr_kernarg_preload_offset 0
		.amdhsa_user_sgpr_private_segment_size 0
		.amdhsa_uses_dynamic_stack 0
		.amdhsa_system_sgpr_private_segment_wavefront_offset 0
		.amdhsa_system_sgpr_workgroup_id_x 1
		.amdhsa_system_sgpr_workgroup_id_y 0
		.amdhsa_system_sgpr_workgroup_id_z 0
		.amdhsa_system_sgpr_workgroup_info 0
		.amdhsa_system_vgpr_workitem_id 2
		.amdhsa_next_free_vgpr 38
		.amdhsa_next_free_sgpr 26
		.amdhsa_accum_offset 40
		.amdhsa_reserve_vcc 1
		.amdhsa_reserve_flat_scratch 0
		.amdhsa_float_round_mode_32 0
		.amdhsa_float_round_mode_16_64 0
		.amdhsa_float_denorm_mode_32 3
		.amdhsa_float_denorm_mode_16_64 3
		.amdhsa_dx10_clamp 1
		.amdhsa_ieee_mode 1
		.amdhsa_fp16_overflow 0
		.amdhsa_tg_split 0
		.amdhsa_exception_fp_ieee_invalid_op 0
		.amdhsa_exception_fp_denorm_src 0
		.amdhsa_exception_fp_ieee_div_zero 0
		.amdhsa_exception_fp_ieee_overflow 0
		.amdhsa_exception_fp_ieee_underflow 0
		.amdhsa_exception_fp_ieee_inexact 0
		.amdhsa_exception_int_div_zero 0
	.end_amdhsa_kernel
	.section	.text._ZN9rocsparseL21csrmvn_general_kernelILj256ELj8Eli21rocsparse_complex_numIfES1_IdES3_S3_EEvbT2_NS_24const_host_device_scalarIT6_EEPKT1_SA_PKS4_PKT3_PKT4_S7_PT5_21rocsparse_index_base_b,"axG",@progbits,_ZN9rocsparseL21csrmvn_general_kernelILj256ELj8Eli21rocsparse_complex_numIfES1_IdES3_S3_EEvbT2_NS_24const_host_device_scalarIT6_EEPKT1_SA_PKS4_PKT3_PKT4_S7_PT5_21rocsparse_index_base_b,comdat
.Lfunc_end376:
	.size	_ZN9rocsparseL21csrmvn_general_kernelILj256ELj8Eli21rocsparse_complex_numIfES1_IdES3_S3_EEvbT2_NS_24const_host_device_scalarIT6_EEPKT1_SA_PKS4_PKT3_PKT4_S7_PT5_21rocsparse_index_base_b, .Lfunc_end376-_ZN9rocsparseL21csrmvn_general_kernelILj256ELj8Eli21rocsparse_complex_numIfES1_IdES3_S3_EEvbT2_NS_24const_host_device_scalarIT6_EEPKT1_SA_PKS4_PKT3_PKT4_S7_PT5_21rocsparse_index_base_b
                                        ; -- End function
	.section	.AMDGPU.csdata,"",@progbits
; Kernel info:
; codeLenInByte = 1184
; NumSgprs: 30
; NumVgprs: 38
; NumAgprs: 0
; TotalNumVgprs: 38
; ScratchSize: 0
; MemoryBound: 0
; FloatMode: 240
; IeeeMode: 1
; LDSByteSize: 4096 bytes/workgroup (compile time only)
; SGPRBlocks: 3
; VGPRBlocks: 4
; NumSGPRsForWavesPerEU: 30
; NumVGPRsForWavesPerEU: 38
; AccumOffset: 40
; Occupancy: 8
; WaveLimiterHint : 1
; COMPUTE_PGM_RSRC2:SCRATCH_EN: 0
; COMPUTE_PGM_RSRC2:USER_SGPR: 8
; COMPUTE_PGM_RSRC2:TRAP_HANDLER: 0
; COMPUTE_PGM_RSRC2:TGID_X_EN: 1
; COMPUTE_PGM_RSRC2:TGID_Y_EN: 0
; COMPUTE_PGM_RSRC2:TGID_Z_EN: 0
; COMPUTE_PGM_RSRC2:TIDIG_COMP_CNT: 2
; COMPUTE_PGM_RSRC3_GFX90A:ACCUM_OFFSET: 9
; COMPUTE_PGM_RSRC3_GFX90A:TG_SPLIT: 0
	.section	.text._ZN9rocsparseL21csrmvn_general_kernelILj256ELj16Eli21rocsparse_complex_numIfES1_IdES3_S3_EEvbT2_NS_24const_host_device_scalarIT6_EEPKT1_SA_PKS4_PKT3_PKT4_S7_PT5_21rocsparse_index_base_b,"axG",@progbits,_ZN9rocsparseL21csrmvn_general_kernelILj256ELj16Eli21rocsparse_complex_numIfES1_IdES3_S3_EEvbT2_NS_24const_host_device_scalarIT6_EEPKT1_SA_PKS4_PKT3_PKT4_S7_PT5_21rocsparse_index_base_b,comdat
	.globl	_ZN9rocsparseL21csrmvn_general_kernelILj256ELj16Eli21rocsparse_complex_numIfES1_IdES3_S3_EEvbT2_NS_24const_host_device_scalarIT6_EEPKT1_SA_PKS4_PKT3_PKT4_S7_PT5_21rocsparse_index_base_b ; -- Begin function _ZN9rocsparseL21csrmvn_general_kernelILj256ELj16Eli21rocsparse_complex_numIfES1_IdES3_S3_EEvbT2_NS_24const_host_device_scalarIT6_EEPKT1_SA_PKS4_PKT3_PKT4_S7_PT5_21rocsparse_index_base_b
	.p2align	8
	.type	_ZN9rocsparseL21csrmvn_general_kernelILj256ELj16Eli21rocsparse_complex_numIfES1_IdES3_S3_EEvbT2_NS_24const_host_device_scalarIT6_EEPKT1_SA_PKS4_PKT3_PKT4_S7_PT5_21rocsparse_index_base_b,@function
_ZN9rocsparseL21csrmvn_general_kernelILj256ELj16Eli21rocsparse_complex_numIfES1_IdES3_S3_EEvbT2_NS_24const_host_device_scalarIT6_EEPKT1_SA_PKS4_PKT3_PKT4_S7_PT5_21rocsparse_index_base_b: ; @_ZN9rocsparseL21csrmvn_general_kernelILj256ELj16Eli21rocsparse_complex_numIfES1_IdES3_S3_EEvbT2_NS_24const_host_device_scalarIT6_EEPKT1_SA_PKS4_PKT3_PKT4_S7_PT5_21rocsparse_index_base_b
; %bb.0:
	s_load_dwordx2 s[24:25], s[6:7], 0x58
	s_load_dwordx8 s[12:19], s[6:7], 0x8
	s_load_dwordx4 s[20:23], s[6:7], 0x40
	s_mov_b64 s[2:3], src_shared_base
	s_load_dwordx2 s[4:5], s[4:5], 0x4
	s_waitcnt lgkmcnt(0)
	s_bitcmp1_b32 s25, 0
	s_cselect_b64 s[0:1], -1, 0
	s_and_b64 vcc, s[0:1], exec
	s_cselect_b32 s2, s3, s13
	s_lshr_b32 s4, s4, 16
	v_and_b32_e32 v1, 0x3ff, v0
	s_mul_i32 s4, s4, s5
	v_mul_lo_u32 v2, s4, v1
	v_bfe_u32 v3, v0, 10, 10
	v_mad_u32_u24 v2, v3, s5, v2
	v_bfe_u32 v0, v0, 20, 10
	v_add_lshl_u32 v0, v2, v0, 3
	v_mov_b32_e32 v6, s12
	v_add_u32_e32 v7, 0x800, v0
	v_pk_mov_b32 v[2:3], s[12:13], s[12:13] op_sel:[0,1]
	v_pk_mov_b32 v[4:5], s[20:21], s[20:21] op_sel:[0,1]
	ds_write2st64_b64 v0, v[4:5], v[2:3] offset1:4
	v_cndmask_b32_e64 v2, v6, v7, s[0:1]
	v_mov_b32_e32 v3, s2
	flat_load_dwordx2 v[4:5], v[2:3]
	s_xor_b64 s[4:5], s[0:1], -1
	v_pk_mov_b32 v[6:7], s[14:15], s[14:15] op_sel:[0,1]
	s_cbranch_vccnz .LBB377_2
; %bb.1:
	v_pk_mov_b32 v[2:3], s[12:13], s[12:13] op_sel:[0,1]
	flat_load_dwordx2 v[6:7], v[2:3] offset:8
.LBB377_2:
	s_and_b64 s[10:11], s[0:1], exec
	s_cselect_b32 s2, s3, s21
	v_mov_b32_e32 v2, s20
	v_cndmask_b32_e64 v2, v2, v0, s[0:1]
	v_mov_b32_e32 v3, s2
	flat_load_dwordx2 v[8:9], v[2:3]
	s_andn2_b64 vcc, exec, s[4:5]
	v_pk_mov_b32 v[10:11], s[22:23], s[22:23] op_sel:[0,1]
	s_cbranch_vccnz .LBB377_4
; %bb.3:
	v_pk_mov_b32 v[2:3], s[20:21], s[20:21] op_sel:[0,1]
	flat_load_dwordx2 v[10:11], v[2:3] offset:8
.LBB377_4:
	s_waitcnt vmcnt(0) lgkmcnt(0)
	v_cmp_eq_f64_e32 vcc, 0, v[4:5]
	v_cmp_eq_f64_e64 s[0:1], 0, v[6:7]
	s_and_b64 s[4:5], vcc, s[0:1]
	s_mov_b64 s[0:1], -1
	s_and_saveexec_b64 s[2:3], s[4:5]
; %bb.5:
	v_cmp_neq_f64_e32 vcc, 1.0, v[8:9]
	v_cmp_neq_f64_e64 s[0:1], 0, v[10:11]
	s_or_b64 s[0:1], vcc, s[0:1]
	s_orn2_b64 s[0:1], s[0:1], exec
; %bb.6:
	s_or_b64 exec, exec, s[2:3]
	s_and_saveexec_b64 s[2:3], s[0:1]
	s_cbranch_execz .LBB377_18
; %bb.7:
	s_load_dwordx2 s[4:5], s[6:7], 0x0
	v_lshl_or_b32 v0, s8, 8, v1
	v_lshrrev_b32_e32 v12, 4, v0
	s_waitcnt lgkmcnt(0)
	v_cmp_gt_i32_e32 vcc, s5, v12
	s_and_b64 exec, exec, vcc
	s_cbranch_execz .LBB377_18
; %bb.8:
	s_load_dword s2, s[6:7], 0x60
	s_load_dwordx2 s[12:13], s[6:7], 0x50
	s_load_dwordx4 s[8:11], s[6:7], 0x28
	s_load_dwordx2 s[0:1], s[6:7], 0x38
	v_and_b32_e32 v0, 15, v1
	s_waitcnt lgkmcnt(0)
	s_lshl_b32 s25, s2, 4
	v_subrev_co_u32_e32 v22, vcc, s24, v0
	s_bitcmp1_b32 s4, 0
	v_subb_co_u32_e64 v23, s[2:3], 0, 0, vcc
	s_cselect_b64 s[6:7], -1, 0
	s_ashr_i32 s3, s24, 31
	s_mov_b32 s2, s24
	s_lshl_b64 s[2:3], s[2:3], 4
	s_sub_u32 s4, s0, s2
	s_subb_u32 s23, s1, s3
	v_cmp_neq_f64_e32 vcc, 0, v[8:9]
	v_cmp_neq_f64_e64 s[2:3], 0, v[10:11]
	s_or_b64 s[20:21], vcc, s[2:3]
	s_mov_b32 s22, 0
	s_add_u32 s26, s10, 4
	v_cmp_eq_u32_e64 s[0:1], 15, v0
	s_mov_b64 s[14:15], 0
	s_addc_u32 s27, s11, 0
	v_mov_b32_e32 v24, s17
	v_mov_b32_e32 v25, s19
	;; [unrolled: 1-line block ×4, first 2 shown]
	s_branch .LBB377_11
.LBB377_9:                              ;   in Loop: Header=BB377_11 Depth=1
	s_or_b64 exec, exec, s[10:11]
	global_store_dwordx4 v[14:15], v[0:3], off
.LBB377_10:                             ;   in Loop: Header=BB377_11 Depth=1
	s_or_b64 exec, exec, s[2:3]
	v_add_u32_e32 v12, s25, v12
	v_cmp_le_i32_e32 vcc, s5, v12
	s_or_b64 s[14:15], vcc, s[14:15]
	s_andn2_b64 exec, exec, s[14:15]
	s_cbranch_execz .LBB377_18
.LBB377_11:                             ; =>This Loop Header: Depth=1
                                        ;     Child Loop BB377_13 Depth 2
	v_ashrrev_i32_e32 v13, 31, v12
	v_lshlrev_b64 v[0:1], 3, v[12:13]
	v_add_co_u32_e32 v2, vcc, s18, v0
	v_addc_co_u32_e32 v3, vcc, v25, v1, vcc
	global_load_dwordx2 v[2:3], v[2:3], off
	v_add_co_u32_e32 v0, vcc, s16, v0
	v_addc_co_u32_e32 v1, vcc, v24, v1, vcc
	global_load_dwordx2 v[14:15], v[0:1], off
	v_pk_mov_b32 v[0:1], 0, 0
	v_pk_mov_b32 v[16:17], v[0:1], v[0:1] op_sel:[0,1]
	s_waitcnt vmcnt(1)
	v_subrev_co_u32_e32 v2, vcc, s24, v2
	v_subb_co_u32_e32 v3, vcc, v3, v26, vcc
	s_waitcnt vmcnt(0)
	v_add_co_u32_e32 v14, vcc, v14, v22
	v_addc_co_u32_e32 v15, vcc, v15, v23, vcc
	v_cmp_lt_i64_e32 vcc, v[14:15], v[2:3]
	s_and_saveexec_b64 s[10:11], vcc
	s_cbranch_execz .LBB377_15
; %bb.12:                               ;   in Loop: Header=BB377_11 Depth=1
	v_lshlrev_b64 v[0:1], 3, v[14:15]
	v_mov_b32_e32 v16, s27
	v_add_co_u32_e32 v18, vcc, s26, v0
	v_addc_co_u32_e32 v19, vcc, v16, v1, vcc
	v_lshlrev_b64 v[0:1], 2, v[14:15]
	v_mov_b32_e32 v16, s9
	v_add_co_u32_e32 v20, vcc, s8, v0
	v_addc_co_u32_e32 v21, vcc, v16, v1, vcc
	v_pk_mov_b32 v[0:1], 0, 0
	s_mov_b64 s[22:23], 0
	v_pk_mov_b32 v[16:17], v[0:1], v[0:1] op_sel:[0,1]
.LBB377_13:                             ;   Parent Loop BB377_11 Depth=1
                                        ; =>  This Inner Loop Header: Depth=2
	global_load_dword v28, v[20:21], off
	global_load_dwordx2 v[32:33], v[18:19], off offset:-4
	v_add_co_u32_e64 v20, s[2:3], 64, v20
	v_addc_co_u32_e64 v21, s[2:3], 0, v21, s[2:3]
	s_waitcnt vmcnt(1)
	v_ashrrev_i32_e32 v29, 31, v28
	v_lshlrev_b64 v[28:29], 4, v[28:29]
	v_add_co_u32_e32 v28, vcc, s4, v28
	v_addc_co_u32_e32 v29, vcc, v27, v29, vcc
	global_load_dwordx4 v[28:31], v[28:29], off
	v_add_co_u32_e32 v14, vcc, 16, v14
	s_waitcnt vmcnt(1)
	v_cndmask_b32_e64 v34, v33, -v33, s[6:7]
	v_addc_co_u32_e32 v15, vcc, 0, v15, vcc
	v_cvt_f64_f32_e32 v[34:35], v34
	v_add_co_u32_e32 v18, vcc, 0x80, v18
	v_cvt_f64_f32_e32 v[32:33], v32
	v_mul_f64 v[36:37], -v[6:7], v[34:35]
	v_mul_f64 v[34:35], v[4:5], v[34:35]
	v_addc_co_u32_e32 v19, vcc, 0, v19, vcc
	v_fmac_f64_e32 v[36:37], v[4:5], v[32:33]
	v_fmac_f64_e32 v[34:35], v[6:7], v[32:33]
	v_cmp_ge_i64_e32 vcc, v[14:15], v[2:3]
	s_or_b64 s[22:23], vcc, s[22:23]
	s_waitcnt vmcnt(0)
	v_fmac_f64_e32 v[16:17], v[36:37], v[28:29]
	v_fmac_f64_e32 v[0:1], v[34:35], v[28:29]
	v_fma_f64 v[16:17], -v[34:35], v[30:31], v[16:17]
	v_fmac_f64_e32 v[0:1], v[36:37], v[30:31]
	s_andn2_b64 exec, exec, s[22:23]
	s_cbranch_execnz .LBB377_13
; %bb.14:                               ;   in Loop: Header=BB377_11 Depth=1
	s_or_b64 exec, exec, s[22:23]
.LBB377_15:                             ;   in Loop: Header=BB377_11 Depth=1
	s_or_b64 exec, exec, s[10:11]
	v_mov_b32_dpp v2, v16 row_shr:1 row_mask:0xf bank_mask:0xf
	v_mov_b32_dpp v3, v17 row_shr:1 row_mask:0xf bank_mask:0xf
	v_add_f64 v[2:3], v[16:17], v[2:3]
	v_mov_b32_dpp v16, v0 row_shr:1 row_mask:0xf bank_mask:0xf
	v_mov_b32_dpp v17, v1 row_shr:1 row_mask:0xf bank_mask:0xf
	v_add_f64 v[0:1], v[0:1], v[16:17]
	v_mov_b32_dpp v14, v2 row_shr:2 row_mask:0xf bank_mask:0xf
	v_mov_b32_dpp v15, v3 row_shr:2 row_mask:0xf bank_mask:0xf
	;; [unrolled: 1-line block ×4, first 2 shown]
	v_add_f64 v[2:3], v[2:3], v[14:15]
	v_add_f64 v[0:1], v[0:1], v[16:17]
	s_nop 0
	v_mov_b32_dpp v14, v2 row_shr:4 row_mask:0xf bank_mask:0xe
	v_mov_b32_dpp v15, v3 row_shr:4 row_mask:0xf bank_mask:0xe
	;; [unrolled: 1-line block ×4, first 2 shown]
	v_add_f64 v[2:3], v[2:3], v[14:15]
	v_add_f64 v[16:17], v[0:1], v[16:17]
	s_nop 0
	v_mov_b32_dpp v14, v2 row_shr:8 row_mask:0xf bank_mask:0xc
	v_mov_b32_dpp v15, v3 row_shr:8 row_mask:0xf bank_mask:0xc
	;; [unrolled: 1-line block ×4, first 2 shown]
	s_and_saveexec_b64 s[2:3], s[0:1]
	s_cbranch_execz .LBB377_10
; %bb.16:                               ;   in Loop: Header=BB377_11 Depth=1
	v_add_f64 v[0:1], v[2:3], v[14:15]
	v_lshlrev_b64 v[14:15], 4, v[12:13]
	v_mov_b32_e32 v13, s13
	v_add_co_u32_e32 v14, vcc, s12, v14
	v_add_f64 v[2:3], v[16:17], v[18:19]
	v_addc_co_u32_e32 v15, vcc, v13, v15, vcc
	s_and_saveexec_b64 s[10:11], s[20:21]
	s_cbranch_execz .LBB377_9
; %bb.17:                               ;   in Loop: Header=BB377_11 Depth=1
	global_load_dwordx4 v[16:19], v[14:15], off
	s_waitcnt vmcnt(0)
	v_fmac_f64_e32 v[0:1], v[8:9], v[16:17]
	v_fmac_f64_e32 v[2:3], v[10:11], v[16:17]
	v_fma_f64 v[0:1], -v[10:11], v[18:19], v[0:1]
	v_fmac_f64_e32 v[2:3], v[8:9], v[18:19]
	s_branch .LBB377_9
.LBB377_18:
	s_endpgm
	.section	.rodata,"a",@progbits
	.p2align	6, 0x0
	.amdhsa_kernel _ZN9rocsparseL21csrmvn_general_kernelILj256ELj16Eli21rocsparse_complex_numIfES1_IdES3_S3_EEvbT2_NS_24const_host_device_scalarIT6_EEPKT1_SA_PKS4_PKT3_PKT4_S7_PT5_21rocsparse_index_base_b
		.amdhsa_group_segment_fixed_size 4096
		.amdhsa_private_segment_fixed_size 0
		.amdhsa_kernarg_size 352
		.amdhsa_user_sgpr_count 8
		.amdhsa_user_sgpr_private_segment_buffer 1
		.amdhsa_user_sgpr_dispatch_ptr 1
		.amdhsa_user_sgpr_queue_ptr 0
		.amdhsa_user_sgpr_kernarg_segment_ptr 1
		.amdhsa_user_sgpr_dispatch_id 0
		.amdhsa_user_sgpr_flat_scratch_init 0
		.amdhsa_user_sgpr_kernarg_preload_length 0
		.amdhsa_user_sgpr_kernarg_preload_offset 0
		.amdhsa_user_sgpr_private_segment_size 0
		.amdhsa_uses_dynamic_stack 0
		.amdhsa_system_sgpr_private_segment_wavefront_offset 0
		.amdhsa_system_sgpr_workgroup_id_x 1
		.amdhsa_system_sgpr_workgroup_id_y 0
		.amdhsa_system_sgpr_workgroup_id_z 0
		.amdhsa_system_sgpr_workgroup_info 0
		.amdhsa_system_vgpr_workitem_id 2
		.amdhsa_next_free_vgpr 38
		.amdhsa_next_free_sgpr 28
		.amdhsa_accum_offset 40
		.amdhsa_reserve_vcc 1
		.amdhsa_reserve_flat_scratch 0
		.amdhsa_float_round_mode_32 0
		.amdhsa_float_round_mode_16_64 0
		.amdhsa_float_denorm_mode_32 3
		.amdhsa_float_denorm_mode_16_64 3
		.amdhsa_dx10_clamp 1
		.amdhsa_ieee_mode 1
		.amdhsa_fp16_overflow 0
		.amdhsa_tg_split 0
		.amdhsa_exception_fp_ieee_invalid_op 0
		.amdhsa_exception_fp_denorm_src 0
		.amdhsa_exception_fp_ieee_div_zero 0
		.amdhsa_exception_fp_ieee_overflow 0
		.amdhsa_exception_fp_ieee_underflow 0
		.amdhsa_exception_fp_ieee_inexact 0
		.amdhsa_exception_int_div_zero 0
	.end_amdhsa_kernel
	.section	.text._ZN9rocsparseL21csrmvn_general_kernelILj256ELj16Eli21rocsparse_complex_numIfES1_IdES3_S3_EEvbT2_NS_24const_host_device_scalarIT6_EEPKT1_SA_PKS4_PKT3_PKT4_S7_PT5_21rocsparse_index_base_b,"axG",@progbits,_ZN9rocsparseL21csrmvn_general_kernelILj256ELj16Eli21rocsparse_complex_numIfES1_IdES3_S3_EEvbT2_NS_24const_host_device_scalarIT6_EEPKT1_SA_PKS4_PKT3_PKT4_S7_PT5_21rocsparse_index_base_b,comdat
.Lfunc_end377:
	.size	_ZN9rocsparseL21csrmvn_general_kernelILj256ELj16Eli21rocsparse_complex_numIfES1_IdES3_S3_EEvbT2_NS_24const_host_device_scalarIT6_EEPKT1_SA_PKS4_PKT3_PKT4_S7_PT5_21rocsparse_index_base_b, .Lfunc_end377-_ZN9rocsparseL21csrmvn_general_kernelILj256ELj16Eli21rocsparse_complex_numIfES1_IdES3_S3_EEvbT2_NS_24const_host_device_scalarIT6_EEPKT1_SA_PKS4_PKT3_PKT4_S7_PT5_21rocsparse_index_base_b
                                        ; -- End function
	.section	.AMDGPU.csdata,"",@progbits
; Kernel info:
; codeLenInByte = 1148
; NumSgprs: 32
; NumVgprs: 38
; NumAgprs: 0
; TotalNumVgprs: 38
; ScratchSize: 0
; MemoryBound: 0
; FloatMode: 240
; IeeeMode: 1
; LDSByteSize: 4096 bytes/workgroup (compile time only)
; SGPRBlocks: 3
; VGPRBlocks: 4
; NumSGPRsForWavesPerEU: 32
; NumVGPRsForWavesPerEU: 38
; AccumOffset: 40
; Occupancy: 8
; WaveLimiterHint : 1
; COMPUTE_PGM_RSRC2:SCRATCH_EN: 0
; COMPUTE_PGM_RSRC2:USER_SGPR: 8
; COMPUTE_PGM_RSRC2:TRAP_HANDLER: 0
; COMPUTE_PGM_RSRC2:TGID_X_EN: 1
; COMPUTE_PGM_RSRC2:TGID_Y_EN: 0
; COMPUTE_PGM_RSRC2:TGID_Z_EN: 0
; COMPUTE_PGM_RSRC2:TIDIG_COMP_CNT: 2
; COMPUTE_PGM_RSRC3_GFX90A:ACCUM_OFFSET: 9
; COMPUTE_PGM_RSRC3_GFX90A:TG_SPLIT: 0
	.section	.text._ZN9rocsparseL21csrmvn_general_kernelILj256ELj32Eli21rocsparse_complex_numIfES1_IdES3_S3_EEvbT2_NS_24const_host_device_scalarIT6_EEPKT1_SA_PKS4_PKT3_PKT4_S7_PT5_21rocsparse_index_base_b,"axG",@progbits,_ZN9rocsparseL21csrmvn_general_kernelILj256ELj32Eli21rocsparse_complex_numIfES1_IdES3_S3_EEvbT2_NS_24const_host_device_scalarIT6_EEPKT1_SA_PKS4_PKT3_PKT4_S7_PT5_21rocsparse_index_base_b,comdat
	.globl	_ZN9rocsparseL21csrmvn_general_kernelILj256ELj32Eli21rocsparse_complex_numIfES1_IdES3_S3_EEvbT2_NS_24const_host_device_scalarIT6_EEPKT1_SA_PKS4_PKT3_PKT4_S7_PT5_21rocsparse_index_base_b ; -- Begin function _ZN9rocsparseL21csrmvn_general_kernelILj256ELj32Eli21rocsparse_complex_numIfES1_IdES3_S3_EEvbT2_NS_24const_host_device_scalarIT6_EEPKT1_SA_PKS4_PKT3_PKT4_S7_PT5_21rocsparse_index_base_b
	.p2align	8
	.type	_ZN9rocsparseL21csrmvn_general_kernelILj256ELj32Eli21rocsparse_complex_numIfES1_IdES3_S3_EEvbT2_NS_24const_host_device_scalarIT6_EEPKT1_SA_PKS4_PKT3_PKT4_S7_PT5_21rocsparse_index_base_b,@function
_ZN9rocsparseL21csrmvn_general_kernelILj256ELj32Eli21rocsparse_complex_numIfES1_IdES3_S3_EEvbT2_NS_24const_host_device_scalarIT6_EEPKT1_SA_PKS4_PKT3_PKT4_S7_PT5_21rocsparse_index_base_b: ; @_ZN9rocsparseL21csrmvn_general_kernelILj256ELj32Eli21rocsparse_complex_numIfES1_IdES3_S3_EEvbT2_NS_24const_host_device_scalarIT6_EEPKT1_SA_PKS4_PKT3_PKT4_S7_PT5_21rocsparse_index_base_b
; %bb.0:
	s_load_dwordx2 s[24:25], s[6:7], 0x58
	s_load_dwordx8 s[12:19], s[6:7], 0x8
	s_load_dwordx4 s[20:23], s[6:7], 0x40
	s_mov_b64 s[2:3], src_shared_base
	s_load_dwordx2 s[4:5], s[4:5], 0x4
	s_waitcnt lgkmcnt(0)
	s_bitcmp1_b32 s25, 0
	s_cselect_b64 s[0:1], -1, 0
	s_and_b64 vcc, s[0:1], exec
	s_cselect_b32 s2, s3, s13
	s_lshr_b32 s4, s4, 16
	v_and_b32_e32 v1, 0x3ff, v0
	s_mul_i32 s4, s4, s5
	v_mul_lo_u32 v2, s4, v1
	v_bfe_u32 v3, v0, 10, 10
	v_mad_u32_u24 v2, v3, s5, v2
	v_bfe_u32 v0, v0, 20, 10
	v_add_lshl_u32 v0, v2, v0, 3
	v_mov_b32_e32 v6, s12
	v_add_u32_e32 v7, 0x800, v0
	v_pk_mov_b32 v[2:3], s[12:13], s[12:13] op_sel:[0,1]
	v_pk_mov_b32 v[4:5], s[20:21], s[20:21] op_sel:[0,1]
	ds_write2st64_b64 v0, v[4:5], v[2:3] offset1:4
	v_cndmask_b32_e64 v2, v6, v7, s[0:1]
	v_mov_b32_e32 v3, s2
	flat_load_dwordx2 v[4:5], v[2:3]
	s_xor_b64 s[4:5], s[0:1], -1
	v_pk_mov_b32 v[6:7], s[14:15], s[14:15] op_sel:[0,1]
	s_cbranch_vccnz .LBB378_2
; %bb.1:
	v_pk_mov_b32 v[2:3], s[12:13], s[12:13] op_sel:[0,1]
	flat_load_dwordx2 v[6:7], v[2:3] offset:8
.LBB378_2:
	s_and_b64 s[10:11], s[0:1], exec
	s_cselect_b32 s2, s3, s21
	v_mov_b32_e32 v2, s20
	v_cndmask_b32_e64 v2, v2, v0, s[0:1]
	v_mov_b32_e32 v3, s2
	flat_load_dwordx2 v[8:9], v[2:3]
	s_andn2_b64 vcc, exec, s[4:5]
	v_pk_mov_b32 v[10:11], s[22:23], s[22:23] op_sel:[0,1]
	s_cbranch_vccnz .LBB378_4
; %bb.3:
	v_pk_mov_b32 v[2:3], s[20:21], s[20:21] op_sel:[0,1]
	flat_load_dwordx2 v[10:11], v[2:3] offset:8
.LBB378_4:
	s_waitcnt vmcnt(0) lgkmcnt(0)
	v_cmp_eq_f64_e32 vcc, 0, v[4:5]
	v_cmp_eq_f64_e64 s[0:1], 0, v[6:7]
	s_and_b64 s[4:5], vcc, s[0:1]
	s_mov_b64 s[0:1], -1
	s_and_saveexec_b64 s[2:3], s[4:5]
; %bb.5:
	v_cmp_neq_f64_e32 vcc, 1.0, v[8:9]
	v_cmp_neq_f64_e64 s[0:1], 0, v[10:11]
	s_or_b64 s[0:1], vcc, s[0:1]
	s_orn2_b64 s[0:1], s[0:1], exec
; %bb.6:
	s_or_b64 exec, exec, s[2:3]
	s_and_saveexec_b64 s[2:3], s[0:1]
	s_cbranch_execz .LBB378_18
; %bb.7:
	s_load_dwordx2 s[4:5], s[6:7], 0x0
	v_lshl_or_b32 v0, s8, 8, v1
	v_lshrrev_b32_e32 v12, 5, v0
	s_waitcnt lgkmcnt(0)
	v_cmp_gt_i32_e32 vcc, s5, v12
	s_and_b64 exec, exec, vcc
	s_cbranch_execz .LBB378_18
; %bb.8:
	s_load_dword s2, s[6:7], 0x60
	s_load_dwordx2 s[12:13], s[6:7], 0x50
	s_load_dwordx4 s[8:11], s[6:7], 0x28
	s_load_dwordx2 s[0:1], s[6:7], 0x38
	v_and_b32_e32 v0, 31, v1
	s_waitcnt lgkmcnt(0)
	s_lshl_b32 s25, s2, 3
	v_subrev_co_u32_e32 v22, vcc, s24, v0
	s_bitcmp1_b32 s4, 0
	v_subb_co_u32_e64 v23, s[2:3], 0, 0, vcc
	s_cselect_b64 s[6:7], -1, 0
	s_ashr_i32 s3, s24, 31
	s_mov_b32 s2, s24
	s_lshl_b64 s[2:3], s[2:3], 4
	s_sub_u32 s4, s0, s2
	s_subb_u32 s23, s1, s3
	v_cmp_neq_f64_e32 vcc, 0, v[8:9]
	v_cmp_neq_f64_e64 s[2:3], 0, v[10:11]
	s_or_b64 s[20:21], vcc, s[2:3]
	s_mov_b32 s22, 0
	s_add_u32 s26, s10, 4
	v_cmp_eq_u32_e64 s[0:1], 31, v0
	s_mov_b64 s[14:15], 0
	s_addc_u32 s27, s11, 0
	v_mov_b32_e32 v24, s17
	v_mov_b32_e32 v25, s19
	;; [unrolled: 1-line block ×4, first 2 shown]
	s_branch .LBB378_11
.LBB378_9:                              ;   in Loop: Header=BB378_11 Depth=1
	s_or_b64 exec, exec, s[10:11]
	global_store_dwordx4 v[14:15], v[0:3], off
.LBB378_10:                             ;   in Loop: Header=BB378_11 Depth=1
	s_or_b64 exec, exec, s[2:3]
	v_add_u32_e32 v12, s25, v12
	v_cmp_le_i32_e32 vcc, s5, v12
	s_or_b64 s[14:15], vcc, s[14:15]
	s_andn2_b64 exec, exec, s[14:15]
	s_cbranch_execz .LBB378_18
.LBB378_11:                             ; =>This Loop Header: Depth=1
                                        ;     Child Loop BB378_13 Depth 2
	v_ashrrev_i32_e32 v13, 31, v12
	v_lshlrev_b64 v[0:1], 3, v[12:13]
	v_add_co_u32_e32 v2, vcc, s18, v0
	v_addc_co_u32_e32 v3, vcc, v25, v1, vcc
	global_load_dwordx2 v[2:3], v[2:3], off
	v_add_co_u32_e32 v0, vcc, s16, v0
	v_addc_co_u32_e32 v1, vcc, v24, v1, vcc
	global_load_dwordx2 v[14:15], v[0:1], off
	v_pk_mov_b32 v[0:1], 0, 0
	v_pk_mov_b32 v[16:17], v[0:1], v[0:1] op_sel:[0,1]
	s_waitcnt vmcnt(1)
	v_subrev_co_u32_e32 v2, vcc, s24, v2
	v_subb_co_u32_e32 v3, vcc, v3, v26, vcc
	s_waitcnt vmcnt(0)
	v_add_co_u32_e32 v14, vcc, v14, v22
	v_addc_co_u32_e32 v15, vcc, v15, v23, vcc
	v_cmp_lt_i64_e32 vcc, v[14:15], v[2:3]
	s_and_saveexec_b64 s[10:11], vcc
	s_cbranch_execz .LBB378_15
; %bb.12:                               ;   in Loop: Header=BB378_11 Depth=1
	v_lshlrev_b64 v[0:1], 3, v[14:15]
	v_mov_b32_e32 v16, s27
	v_add_co_u32_e32 v18, vcc, s26, v0
	v_addc_co_u32_e32 v19, vcc, v16, v1, vcc
	v_lshlrev_b64 v[0:1], 2, v[14:15]
	v_mov_b32_e32 v16, s9
	v_add_co_u32_e32 v20, vcc, s8, v0
	v_addc_co_u32_e32 v21, vcc, v16, v1, vcc
	v_pk_mov_b32 v[0:1], 0, 0
	s_mov_b64 s[22:23], 0
	v_pk_mov_b32 v[16:17], v[0:1], v[0:1] op_sel:[0,1]
.LBB378_13:                             ;   Parent Loop BB378_11 Depth=1
                                        ; =>  This Inner Loop Header: Depth=2
	global_load_dword v28, v[20:21], off
	global_load_dwordx2 v[32:33], v[18:19], off offset:-4
	s_waitcnt vmcnt(1)
	v_ashrrev_i32_e32 v29, 31, v28
	v_lshlrev_b64 v[28:29], 4, v[28:29]
	v_add_co_u32_e32 v28, vcc, s4, v28
	v_addc_co_u32_e32 v29, vcc, v27, v29, vcc
	global_load_dwordx4 v[28:31], v[28:29], off
	v_add_co_u32_e32 v14, vcc, 32, v14
	s_waitcnt vmcnt(1)
	v_cndmask_b32_e64 v34, v33, -v33, s[6:7]
	v_addc_co_u32_e32 v15, vcc, 0, v15, vcc
	v_cvt_f64_f32_e32 v[34:35], v34
	v_add_co_u32_e32 v18, vcc, 0x100, v18
	v_cvt_f64_f32_e32 v[32:33], v32
	v_mul_f64 v[36:37], -v[6:7], v[34:35]
	v_mul_f64 v[34:35], v[4:5], v[34:35]
	v_addc_co_u32_e32 v19, vcc, 0, v19, vcc
	v_fmac_f64_e32 v[36:37], v[4:5], v[32:33]
	v_fmac_f64_e32 v[34:35], v[6:7], v[32:33]
	v_add_co_u32_e32 v20, vcc, 0x80, v20
	v_cmp_ge_i64_e64 s[2:3], v[14:15], v[2:3]
	v_addc_co_u32_e32 v21, vcc, 0, v21, vcc
	s_or_b64 s[22:23], s[2:3], s[22:23]
	s_waitcnt vmcnt(0)
	v_fmac_f64_e32 v[16:17], v[36:37], v[28:29]
	v_fmac_f64_e32 v[0:1], v[34:35], v[28:29]
	v_fma_f64 v[16:17], -v[34:35], v[30:31], v[16:17]
	v_fmac_f64_e32 v[0:1], v[36:37], v[30:31]
	s_andn2_b64 exec, exec, s[22:23]
	s_cbranch_execnz .LBB378_13
; %bb.14:                               ;   in Loop: Header=BB378_11 Depth=1
	s_or_b64 exec, exec, s[22:23]
.LBB378_15:                             ;   in Loop: Header=BB378_11 Depth=1
	s_or_b64 exec, exec, s[10:11]
	v_mov_b32_dpp v2, v16 row_shr:1 row_mask:0xf bank_mask:0xf
	v_mov_b32_dpp v3, v17 row_shr:1 row_mask:0xf bank_mask:0xf
	v_add_f64 v[2:3], v[16:17], v[2:3]
	v_mov_b32_dpp v16, v0 row_shr:1 row_mask:0xf bank_mask:0xf
	v_mov_b32_dpp v17, v1 row_shr:1 row_mask:0xf bank_mask:0xf
	v_add_f64 v[0:1], v[0:1], v[16:17]
	v_mov_b32_dpp v14, v2 row_shr:2 row_mask:0xf bank_mask:0xf
	v_mov_b32_dpp v15, v3 row_shr:2 row_mask:0xf bank_mask:0xf
	v_mov_b32_dpp v16, v0 row_shr:2 row_mask:0xf bank_mask:0xf
	v_mov_b32_dpp v17, v1 row_shr:2 row_mask:0xf bank_mask:0xf
	v_add_f64 v[2:3], v[2:3], v[14:15]
	v_add_f64 v[0:1], v[0:1], v[16:17]
	s_nop 0
	v_mov_b32_dpp v14, v2 row_shr:4 row_mask:0xf bank_mask:0xe
	v_mov_b32_dpp v15, v3 row_shr:4 row_mask:0xf bank_mask:0xe
	v_mov_b32_dpp v16, v0 row_shr:4 row_mask:0xf bank_mask:0xe
	v_mov_b32_dpp v17, v1 row_shr:4 row_mask:0xf bank_mask:0xe
	v_add_f64 v[2:3], v[2:3], v[14:15]
	v_add_f64 v[0:1], v[0:1], v[16:17]
	s_nop 0
	;; [unrolled: 7-line block ×3, first 2 shown]
	v_mov_b32_dpp v14, v2 row_bcast:15 row_mask:0xa bank_mask:0xf
	v_mov_b32_dpp v15, v3 row_bcast:15 row_mask:0xa bank_mask:0xf
	;; [unrolled: 1-line block ×4, first 2 shown]
	s_and_saveexec_b64 s[2:3], s[0:1]
	s_cbranch_execz .LBB378_10
; %bb.16:                               ;   in Loop: Header=BB378_11 Depth=1
	v_add_f64 v[0:1], v[2:3], v[14:15]
	v_lshlrev_b64 v[14:15], 4, v[12:13]
	v_mov_b32_e32 v13, s13
	v_add_co_u32_e32 v14, vcc, s12, v14
	v_add_f64 v[2:3], v[16:17], v[18:19]
	v_addc_co_u32_e32 v15, vcc, v13, v15, vcc
	s_and_saveexec_b64 s[10:11], s[20:21]
	s_cbranch_execz .LBB378_9
; %bb.17:                               ;   in Loop: Header=BB378_11 Depth=1
	global_load_dwordx4 v[16:19], v[14:15], off
	s_waitcnt vmcnt(0)
	v_fmac_f64_e32 v[0:1], v[8:9], v[16:17]
	v_fmac_f64_e32 v[2:3], v[10:11], v[16:17]
	v_fma_f64 v[0:1], -v[10:11], v[18:19], v[0:1]
	v_fmac_f64_e32 v[2:3], v[8:9], v[18:19]
	s_branch .LBB378_9
.LBB378_18:
	s_endpgm
	.section	.rodata,"a",@progbits
	.p2align	6, 0x0
	.amdhsa_kernel _ZN9rocsparseL21csrmvn_general_kernelILj256ELj32Eli21rocsparse_complex_numIfES1_IdES3_S3_EEvbT2_NS_24const_host_device_scalarIT6_EEPKT1_SA_PKS4_PKT3_PKT4_S7_PT5_21rocsparse_index_base_b
		.amdhsa_group_segment_fixed_size 4096
		.amdhsa_private_segment_fixed_size 0
		.amdhsa_kernarg_size 352
		.amdhsa_user_sgpr_count 8
		.amdhsa_user_sgpr_private_segment_buffer 1
		.amdhsa_user_sgpr_dispatch_ptr 1
		.amdhsa_user_sgpr_queue_ptr 0
		.amdhsa_user_sgpr_kernarg_segment_ptr 1
		.amdhsa_user_sgpr_dispatch_id 0
		.amdhsa_user_sgpr_flat_scratch_init 0
		.amdhsa_user_sgpr_kernarg_preload_length 0
		.amdhsa_user_sgpr_kernarg_preload_offset 0
		.amdhsa_user_sgpr_private_segment_size 0
		.amdhsa_uses_dynamic_stack 0
		.amdhsa_system_sgpr_private_segment_wavefront_offset 0
		.amdhsa_system_sgpr_workgroup_id_x 1
		.amdhsa_system_sgpr_workgroup_id_y 0
		.amdhsa_system_sgpr_workgroup_id_z 0
		.amdhsa_system_sgpr_workgroup_info 0
		.amdhsa_system_vgpr_workitem_id 2
		.amdhsa_next_free_vgpr 38
		.amdhsa_next_free_sgpr 28
		.amdhsa_accum_offset 40
		.amdhsa_reserve_vcc 1
		.amdhsa_reserve_flat_scratch 0
		.amdhsa_float_round_mode_32 0
		.amdhsa_float_round_mode_16_64 0
		.amdhsa_float_denorm_mode_32 3
		.amdhsa_float_denorm_mode_16_64 3
		.amdhsa_dx10_clamp 1
		.amdhsa_ieee_mode 1
		.amdhsa_fp16_overflow 0
		.amdhsa_tg_split 0
		.amdhsa_exception_fp_ieee_invalid_op 0
		.amdhsa_exception_fp_denorm_src 0
		.amdhsa_exception_fp_ieee_div_zero 0
		.amdhsa_exception_fp_ieee_overflow 0
		.amdhsa_exception_fp_ieee_underflow 0
		.amdhsa_exception_fp_ieee_inexact 0
		.amdhsa_exception_int_div_zero 0
	.end_amdhsa_kernel
	.section	.text._ZN9rocsparseL21csrmvn_general_kernelILj256ELj32Eli21rocsparse_complex_numIfES1_IdES3_S3_EEvbT2_NS_24const_host_device_scalarIT6_EEPKT1_SA_PKS4_PKT3_PKT4_S7_PT5_21rocsparse_index_base_b,"axG",@progbits,_ZN9rocsparseL21csrmvn_general_kernelILj256ELj32Eli21rocsparse_complex_numIfES1_IdES3_S3_EEvbT2_NS_24const_host_device_scalarIT6_EEPKT1_SA_PKS4_PKT3_PKT4_S7_PT5_21rocsparse_index_base_b,comdat
.Lfunc_end378:
	.size	_ZN9rocsparseL21csrmvn_general_kernelILj256ELj32Eli21rocsparse_complex_numIfES1_IdES3_S3_EEvbT2_NS_24const_host_device_scalarIT6_EEPKT1_SA_PKS4_PKT3_PKT4_S7_PT5_21rocsparse_index_base_b, .Lfunc_end378-_ZN9rocsparseL21csrmvn_general_kernelILj256ELj32Eli21rocsparse_complex_numIfES1_IdES3_S3_EEvbT2_NS_24const_host_device_scalarIT6_EEPKT1_SA_PKS4_PKT3_PKT4_S7_PT5_21rocsparse_index_base_b
                                        ; -- End function
	.section	.AMDGPU.csdata,"",@progbits
; Kernel info:
; codeLenInByte = 1200
; NumSgprs: 32
; NumVgprs: 38
; NumAgprs: 0
; TotalNumVgprs: 38
; ScratchSize: 0
; MemoryBound: 0
; FloatMode: 240
; IeeeMode: 1
; LDSByteSize: 4096 bytes/workgroup (compile time only)
; SGPRBlocks: 3
; VGPRBlocks: 4
; NumSGPRsForWavesPerEU: 32
; NumVGPRsForWavesPerEU: 38
; AccumOffset: 40
; Occupancy: 8
; WaveLimiterHint : 1
; COMPUTE_PGM_RSRC2:SCRATCH_EN: 0
; COMPUTE_PGM_RSRC2:USER_SGPR: 8
; COMPUTE_PGM_RSRC2:TRAP_HANDLER: 0
; COMPUTE_PGM_RSRC2:TGID_X_EN: 1
; COMPUTE_PGM_RSRC2:TGID_Y_EN: 0
; COMPUTE_PGM_RSRC2:TGID_Z_EN: 0
; COMPUTE_PGM_RSRC2:TIDIG_COMP_CNT: 2
; COMPUTE_PGM_RSRC3_GFX90A:ACCUM_OFFSET: 9
; COMPUTE_PGM_RSRC3_GFX90A:TG_SPLIT: 0
	.section	.text._ZN9rocsparseL21csrmvn_general_kernelILj256ELj64Eli21rocsparse_complex_numIfES1_IdES3_S3_EEvbT2_NS_24const_host_device_scalarIT6_EEPKT1_SA_PKS4_PKT3_PKT4_S7_PT5_21rocsparse_index_base_b,"axG",@progbits,_ZN9rocsparseL21csrmvn_general_kernelILj256ELj64Eli21rocsparse_complex_numIfES1_IdES3_S3_EEvbT2_NS_24const_host_device_scalarIT6_EEPKT1_SA_PKS4_PKT3_PKT4_S7_PT5_21rocsparse_index_base_b,comdat
	.globl	_ZN9rocsparseL21csrmvn_general_kernelILj256ELj64Eli21rocsparse_complex_numIfES1_IdES3_S3_EEvbT2_NS_24const_host_device_scalarIT6_EEPKT1_SA_PKS4_PKT3_PKT4_S7_PT5_21rocsparse_index_base_b ; -- Begin function _ZN9rocsparseL21csrmvn_general_kernelILj256ELj64Eli21rocsparse_complex_numIfES1_IdES3_S3_EEvbT2_NS_24const_host_device_scalarIT6_EEPKT1_SA_PKS4_PKT3_PKT4_S7_PT5_21rocsparse_index_base_b
	.p2align	8
	.type	_ZN9rocsparseL21csrmvn_general_kernelILj256ELj64Eli21rocsparse_complex_numIfES1_IdES3_S3_EEvbT2_NS_24const_host_device_scalarIT6_EEPKT1_SA_PKS4_PKT3_PKT4_S7_PT5_21rocsparse_index_base_b,@function
_ZN9rocsparseL21csrmvn_general_kernelILj256ELj64Eli21rocsparse_complex_numIfES1_IdES3_S3_EEvbT2_NS_24const_host_device_scalarIT6_EEPKT1_SA_PKS4_PKT3_PKT4_S7_PT5_21rocsparse_index_base_b: ; @_ZN9rocsparseL21csrmvn_general_kernelILj256ELj64Eli21rocsparse_complex_numIfES1_IdES3_S3_EEvbT2_NS_24const_host_device_scalarIT6_EEPKT1_SA_PKS4_PKT3_PKT4_S7_PT5_21rocsparse_index_base_b
; %bb.0:
	s_load_dwordx2 s[24:25], s[6:7], 0x58
	s_load_dwordx8 s[12:19], s[6:7], 0x8
	s_load_dwordx4 s[20:23], s[6:7], 0x40
	s_mov_b64 s[2:3], src_shared_base
	s_load_dwordx2 s[4:5], s[4:5], 0x4
	s_waitcnt lgkmcnt(0)
	s_bitcmp1_b32 s25, 0
	s_cselect_b64 s[0:1], -1, 0
	s_and_b64 vcc, s[0:1], exec
	s_cselect_b32 s2, s3, s13
	s_lshr_b32 s4, s4, 16
	v_and_b32_e32 v1, 0x3ff, v0
	s_mul_i32 s4, s4, s5
	v_mul_lo_u32 v2, s4, v1
	v_bfe_u32 v3, v0, 10, 10
	v_mad_u32_u24 v2, v3, s5, v2
	v_bfe_u32 v0, v0, 20, 10
	v_add_lshl_u32 v0, v2, v0, 3
	v_mov_b32_e32 v6, s12
	v_add_u32_e32 v7, 0x800, v0
	v_pk_mov_b32 v[2:3], s[12:13], s[12:13] op_sel:[0,1]
	v_pk_mov_b32 v[4:5], s[20:21], s[20:21] op_sel:[0,1]
	ds_write2st64_b64 v0, v[4:5], v[2:3] offset1:4
	v_cndmask_b32_e64 v2, v6, v7, s[0:1]
	v_mov_b32_e32 v3, s2
	flat_load_dwordx2 v[4:5], v[2:3]
	s_xor_b64 s[4:5], s[0:1], -1
	v_pk_mov_b32 v[6:7], s[14:15], s[14:15] op_sel:[0,1]
	s_cbranch_vccnz .LBB379_2
; %bb.1:
	v_pk_mov_b32 v[2:3], s[12:13], s[12:13] op_sel:[0,1]
	flat_load_dwordx2 v[6:7], v[2:3] offset:8
.LBB379_2:
	s_and_b64 s[10:11], s[0:1], exec
	s_cselect_b32 s2, s3, s21
	v_mov_b32_e32 v2, s20
	v_cndmask_b32_e64 v2, v2, v0, s[0:1]
	v_mov_b32_e32 v3, s2
	flat_load_dwordx2 v[8:9], v[2:3]
	s_andn2_b64 vcc, exec, s[4:5]
	v_pk_mov_b32 v[10:11], s[22:23], s[22:23] op_sel:[0,1]
	s_cbranch_vccnz .LBB379_4
; %bb.3:
	v_pk_mov_b32 v[2:3], s[20:21], s[20:21] op_sel:[0,1]
	flat_load_dwordx2 v[10:11], v[2:3] offset:8
.LBB379_4:
	s_waitcnt vmcnt(0) lgkmcnt(0)
	v_cmp_eq_f64_e32 vcc, 0, v[4:5]
	v_cmp_eq_f64_e64 s[0:1], 0, v[6:7]
	s_and_b64 s[4:5], vcc, s[0:1]
	s_mov_b64 s[0:1], -1
	s_and_saveexec_b64 s[2:3], s[4:5]
; %bb.5:
	v_cmp_neq_f64_e32 vcc, 1.0, v[8:9]
	v_cmp_neq_f64_e64 s[0:1], 0, v[10:11]
	s_or_b64 s[0:1], vcc, s[0:1]
	s_orn2_b64 s[0:1], s[0:1], exec
; %bb.6:
	s_or_b64 exec, exec, s[2:3]
	s_and_saveexec_b64 s[2:3], s[0:1]
	s_cbranch_execz .LBB379_18
; %bb.7:
	s_load_dwordx2 s[4:5], s[6:7], 0x0
	v_lshl_or_b32 v0, s8, 8, v1
	v_lshrrev_b32_e32 v12, 6, v0
	s_waitcnt lgkmcnt(0)
	v_cmp_gt_i32_e32 vcc, s5, v12
	s_and_b64 exec, exec, vcc
	s_cbranch_execz .LBB379_18
; %bb.8:
	s_load_dword s2, s[6:7], 0x60
	s_load_dwordx2 s[12:13], s[6:7], 0x50
	s_load_dwordx4 s[8:11], s[6:7], 0x28
	s_load_dwordx2 s[0:1], s[6:7], 0x38
	v_and_b32_e32 v0, 63, v1
	s_waitcnt lgkmcnt(0)
	s_lshl_b32 s25, s2, 2
	v_subrev_co_u32_e32 v22, vcc, s24, v0
	s_bitcmp1_b32 s4, 0
	v_subb_co_u32_e64 v23, s[2:3], 0, 0, vcc
	s_cselect_b64 s[6:7], -1, 0
	s_ashr_i32 s3, s24, 31
	s_mov_b32 s2, s24
	s_lshl_b64 s[2:3], s[2:3], 4
	s_sub_u32 s4, s0, s2
	s_subb_u32 s23, s1, s3
	v_cmp_neq_f64_e32 vcc, 0, v[8:9]
	v_cmp_neq_f64_e64 s[2:3], 0, v[10:11]
	s_or_b64 s[20:21], vcc, s[2:3]
	s_mov_b32 s22, 0
	s_add_u32 s26, s10, 4
	v_cmp_eq_u32_e64 s[0:1], 63, v0
	s_mov_b64 s[14:15], 0
	s_addc_u32 s27, s11, 0
	v_mov_b32_e32 v24, s17
	v_mov_b32_e32 v25, s19
	;; [unrolled: 1-line block ×4, first 2 shown]
	s_branch .LBB379_11
.LBB379_9:                              ;   in Loop: Header=BB379_11 Depth=1
	s_or_b64 exec, exec, s[10:11]
	global_store_dwordx4 v[14:15], v[0:3], off
.LBB379_10:                             ;   in Loop: Header=BB379_11 Depth=1
	s_or_b64 exec, exec, s[2:3]
	v_add_u32_e32 v12, s25, v12
	v_cmp_le_i32_e32 vcc, s5, v12
	s_or_b64 s[14:15], vcc, s[14:15]
	s_andn2_b64 exec, exec, s[14:15]
	s_cbranch_execz .LBB379_18
.LBB379_11:                             ; =>This Loop Header: Depth=1
                                        ;     Child Loop BB379_13 Depth 2
	v_ashrrev_i32_e32 v13, 31, v12
	v_lshlrev_b64 v[0:1], 3, v[12:13]
	v_add_co_u32_e32 v2, vcc, s18, v0
	v_addc_co_u32_e32 v3, vcc, v25, v1, vcc
	global_load_dwordx2 v[2:3], v[2:3], off
	v_add_co_u32_e32 v0, vcc, s16, v0
	v_addc_co_u32_e32 v1, vcc, v24, v1, vcc
	global_load_dwordx2 v[14:15], v[0:1], off
	v_pk_mov_b32 v[0:1], 0, 0
	v_pk_mov_b32 v[16:17], v[0:1], v[0:1] op_sel:[0,1]
	s_waitcnt vmcnt(1)
	v_subrev_co_u32_e32 v2, vcc, s24, v2
	v_subb_co_u32_e32 v3, vcc, v3, v26, vcc
	s_waitcnt vmcnt(0)
	v_add_co_u32_e32 v14, vcc, v14, v22
	v_addc_co_u32_e32 v15, vcc, v15, v23, vcc
	v_cmp_lt_i64_e32 vcc, v[14:15], v[2:3]
	s_and_saveexec_b64 s[10:11], vcc
	s_cbranch_execz .LBB379_15
; %bb.12:                               ;   in Loop: Header=BB379_11 Depth=1
	v_lshlrev_b64 v[0:1], 3, v[14:15]
	v_mov_b32_e32 v16, s27
	v_add_co_u32_e32 v18, vcc, s26, v0
	v_addc_co_u32_e32 v19, vcc, v16, v1, vcc
	v_lshlrev_b64 v[0:1], 2, v[14:15]
	v_mov_b32_e32 v16, s9
	v_add_co_u32_e32 v20, vcc, s8, v0
	v_addc_co_u32_e32 v21, vcc, v16, v1, vcc
	v_pk_mov_b32 v[0:1], 0, 0
	s_mov_b64 s[22:23], 0
	v_pk_mov_b32 v[16:17], v[0:1], v[0:1] op_sel:[0,1]
.LBB379_13:                             ;   Parent Loop BB379_11 Depth=1
                                        ; =>  This Inner Loop Header: Depth=2
	global_load_dword v28, v[20:21], off
	global_load_dwordx2 v[32:33], v[18:19], off offset:-4
	s_waitcnt vmcnt(1)
	v_ashrrev_i32_e32 v29, 31, v28
	v_lshlrev_b64 v[28:29], 4, v[28:29]
	v_add_co_u32_e32 v28, vcc, s4, v28
	v_addc_co_u32_e32 v29, vcc, v27, v29, vcc
	global_load_dwordx4 v[28:31], v[28:29], off
	v_add_co_u32_e32 v14, vcc, 64, v14
	s_waitcnt vmcnt(1)
	v_cndmask_b32_e64 v34, v33, -v33, s[6:7]
	v_addc_co_u32_e32 v15, vcc, 0, v15, vcc
	v_cvt_f64_f32_e32 v[34:35], v34
	v_add_co_u32_e32 v18, vcc, 0x200, v18
	v_cvt_f64_f32_e32 v[32:33], v32
	v_mul_f64 v[36:37], -v[6:7], v[34:35]
	v_mul_f64 v[34:35], v[4:5], v[34:35]
	v_addc_co_u32_e32 v19, vcc, 0, v19, vcc
	v_fmac_f64_e32 v[36:37], v[4:5], v[32:33]
	v_fmac_f64_e32 v[34:35], v[6:7], v[32:33]
	v_add_co_u32_e32 v20, vcc, 0x100, v20
	v_cmp_ge_i64_e64 s[2:3], v[14:15], v[2:3]
	v_addc_co_u32_e32 v21, vcc, 0, v21, vcc
	s_or_b64 s[22:23], s[2:3], s[22:23]
	s_waitcnt vmcnt(0)
	v_fmac_f64_e32 v[16:17], v[36:37], v[28:29]
	v_fmac_f64_e32 v[0:1], v[34:35], v[28:29]
	v_fma_f64 v[16:17], -v[34:35], v[30:31], v[16:17]
	v_fmac_f64_e32 v[0:1], v[36:37], v[30:31]
	s_andn2_b64 exec, exec, s[22:23]
	s_cbranch_execnz .LBB379_13
; %bb.14:                               ;   in Loop: Header=BB379_11 Depth=1
	s_or_b64 exec, exec, s[22:23]
.LBB379_15:                             ;   in Loop: Header=BB379_11 Depth=1
	s_or_b64 exec, exec, s[10:11]
	v_mov_b32_dpp v2, v16 row_shr:1 row_mask:0xf bank_mask:0xf
	v_mov_b32_dpp v3, v17 row_shr:1 row_mask:0xf bank_mask:0xf
	v_add_f64 v[2:3], v[16:17], v[2:3]
	v_mov_b32_dpp v16, v0 row_shr:1 row_mask:0xf bank_mask:0xf
	v_mov_b32_dpp v17, v1 row_shr:1 row_mask:0xf bank_mask:0xf
	v_add_f64 v[0:1], v[0:1], v[16:17]
	v_mov_b32_dpp v14, v2 row_shr:2 row_mask:0xf bank_mask:0xf
	v_mov_b32_dpp v15, v3 row_shr:2 row_mask:0xf bank_mask:0xf
	v_mov_b32_dpp v16, v0 row_shr:2 row_mask:0xf bank_mask:0xf
	v_mov_b32_dpp v17, v1 row_shr:2 row_mask:0xf bank_mask:0xf
	v_add_f64 v[2:3], v[2:3], v[14:15]
	v_add_f64 v[0:1], v[0:1], v[16:17]
	s_nop 0
	v_mov_b32_dpp v14, v2 row_shr:4 row_mask:0xf bank_mask:0xe
	v_mov_b32_dpp v15, v3 row_shr:4 row_mask:0xf bank_mask:0xe
	v_mov_b32_dpp v16, v0 row_shr:4 row_mask:0xf bank_mask:0xe
	v_mov_b32_dpp v17, v1 row_shr:4 row_mask:0xf bank_mask:0xe
	v_add_f64 v[2:3], v[2:3], v[14:15]
	v_add_f64 v[0:1], v[0:1], v[16:17]
	s_nop 0
	;; [unrolled: 7-line block ×3, first 2 shown]
	v_mov_b32_dpp v14, v2 row_bcast:15 row_mask:0xa bank_mask:0xf
	v_mov_b32_dpp v15, v3 row_bcast:15 row_mask:0xa bank_mask:0xf
	;; [unrolled: 1-line block ×4, first 2 shown]
	v_add_f64 v[2:3], v[2:3], v[14:15]
	v_add_f64 v[16:17], v[0:1], v[16:17]
	s_nop 0
	v_mov_b32_dpp v14, v2 row_bcast:31 row_mask:0xc bank_mask:0xf
	v_mov_b32_dpp v15, v3 row_bcast:31 row_mask:0xc bank_mask:0xf
	;; [unrolled: 1-line block ×4, first 2 shown]
	s_and_saveexec_b64 s[2:3], s[0:1]
	s_cbranch_execz .LBB379_10
; %bb.16:                               ;   in Loop: Header=BB379_11 Depth=1
	v_add_f64 v[0:1], v[2:3], v[14:15]
	v_lshlrev_b64 v[14:15], 4, v[12:13]
	v_mov_b32_e32 v13, s13
	v_add_co_u32_e32 v14, vcc, s12, v14
	v_add_f64 v[2:3], v[16:17], v[18:19]
	v_addc_co_u32_e32 v15, vcc, v13, v15, vcc
	s_and_saveexec_b64 s[10:11], s[20:21]
	s_cbranch_execz .LBB379_9
; %bb.17:                               ;   in Loop: Header=BB379_11 Depth=1
	global_load_dwordx4 v[16:19], v[14:15], off
	s_waitcnt vmcnt(0)
	v_fmac_f64_e32 v[0:1], v[8:9], v[16:17]
	v_fmac_f64_e32 v[2:3], v[10:11], v[16:17]
	v_fma_f64 v[0:1], -v[10:11], v[18:19], v[0:1]
	v_fmac_f64_e32 v[2:3], v[8:9], v[18:19]
	s_branch .LBB379_9
.LBB379_18:
	s_endpgm
	.section	.rodata,"a",@progbits
	.p2align	6, 0x0
	.amdhsa_kernel _ZN9rocsparseL21csrmvn_general_kernelILj256ELj64Eli21rocsparse_complex_numIfES1_IdES3_S3_EEvbT2_NS_24const_host_device_scalarIT6_EEPKT1_SA_PKS4_PKT3_PKT4_S7_PT5_21rocsparse_index_base_b
		.amdhsa_group_segment_fixed_size 4096
		.amdhsa_private_segment_fixed_size 0
		.amdhsa_kernarg_size 352
		.amdhsa_user_sgpr_count 8
		.amdhsa_user_sgpr_private_segment_buffer 1
		.amdhsa_user_sgpr_dispatch_ptr 1
		.amdhsa_user_sgpr_queue_ptr 0
		.amdhsa_user_sgpr_kernarg_segment_ptr 1
		.amdhsa_user_sgpr_dispatch_id 0
		.amdhsa_user_sgpr_flat_scratch_init 0
		.amdhsa_user_sgpr_kernarg_preload_length 0
		.amdhsa_user_sgpr_kernarg_preload_offset 0
		.amdhsa_user_sgpr_private_segment_size 0
		.amdhsa_uses_dynamic_stack 0
		.amdhsa_system_sgpr_private_segment_wavefront_offset 0
		.amdhsa_system_sgpr_workgroup_id_x 1
		.amdhsa_system_sgpr_workgroup_id_y 0
		.amdhsa_system_sgpr_workgroup_id_z 0
		.amdhsa_system_sgpr_workgroup_info 0
		.amdhsa_system_vgpr_workitem_id 2
		.amdhsa_next_free_vgpr 38
		.amdhsa_next_free_sgpr 28
		.amdhsa_accum_offset 40
		.amdhsa_reserve_vcc 1
		.amdhsa_reserve_flat_scratch 0
		.amdhsa_float_round_mode_32 0
		.amdhsa_float_round_mode_16_64 0
		.amdhsa_float_denorm_mode_32 3
		.amdhsa_float_denorm_mode_16_64 3
		.amdhsa_dx10_clamp 1
		.amdhsa_ieee_mode 1
		.amdhsa_fp16_overflow 0
		.amdhsa_tg_split 0
		.amdhsa_exception_fp_ieee_invalid_op 0
		.amdhsa_exception_fp_denorm_src 0
		.amdhsa_exception_fp_ieee_div_zero 0
		.amdhsa_exception_fp_ieee_overflow 0
		.amdhsa_exception_fp_ieee_underflow 0
		.amdhsa_exception_fp_ieee_inexact 0
		.amdhsa_exception_int_div_zero 0
	.end_amdhsa_kernel
	.section	.text._ZN9rocsparseL21csrmvn_general_kernelILj256ELj64Eli21rocsparse_complex_numIfES1_IdES3_S3_EEvbT2_NS_24const_host_device_scalarIT6_EEPKT1_SA_PKS4_PKT3_PKT4_S7_PT5_21rocsparse_index_base_b,"axG",@progbits,_ZN9rocsparseL21csrmvn_general_kernelILj256ELj64Eli21rocsparse_complex_numIfES1_IdES3_S3_EEvbT2_NS_24const_host_device_scalarIT6_EEPKT1_SA_PKS4_PKT3_PKT4_S7_PT5_21rocsparse_index_base_b,comdat
.Lfunc_end379:
	.size	_ZN9rocsparseL21csrmvn_general_kernelILj256ELj64Eli21rocsparse_complex_numIfES1_IdES3_S3_EEvbT2_NS_24const_host_device_scalarIT6_EEPKT1_SA_PKS4_PKT3_PKT4_S7_PT5_21rocsparse_index_base_b, .Lfunc_end379-_ZN9rocsparseL21csrmvn_general_kernelILj256ELj64Eli21rocsparse_complex_numIfES1_IdES3_S3_EEvbT2_NS_24const_host_device_scalarIT6_EEPKT1_SA_PKS4_PKT3_PKT4_S7_PT5_21rocsparse_index_base_b
                                        ; -- End function
	.section	.AMDGPU.csdata,"",@progbits
; Kernel info:
; codeLenInByte = 1252
; NumSgprs: 32
; NumVgprs: 38
; NumAgprs: 0
; TotalNumVgprs: 38
; ScratchSize: 0
; MemoryBound: 0
; FloatMode: 240
; IeeeMode: 1
; LDSByteSize: 4096 bytes/workgroup (compile time only)
; SGPRBlocks: 3
; VGPRBlocks: 4
; NumSGPRsForWavesPerEU: 32
; NumVGPRsForWavesPerEU: 38
; AccumOffset: 40
; Occupancy: 8
; WaveLimiterHint : 1
; COMPUTE_PGM_RSRC2:SCRATCH_EN: 0
; COMPUTE_PGM_RSRC2:USER_SGPR: 8
; COMPUTE_PGM_RSRC2:TRAP_HANDLER: 0
; COMPUTE_PGM_RSRC2:TGID_X_EN: 1
; COMPUTE_PGM_RSRC2:TGID_Y_EN: 0
; COMPUTE_PGM_RSRC2:TGID_Z_EN: 0
; COMPUTE_PGM_RSRC2:TIDIG_COMP_CNT: 2
; COMPUTE_PGM_RSRC3_GFX90A:ACCUM_OFFSET: 9
; COMPUTE_PGM_RSRC3_GFX90A:TG_SPLIT: 0
	.section	.text._ZN9rocsparseL21csrmvt_general_kernelILj256ELj4Eli21rocsparse_complex_numIfES1_IdES3_S3_EEvbbT2_NS_24const_host_device_scalarIT6_EEPKT1_SA_PKS4_PKT3_PKT4_PT5_21rocsparse_index_base_b,"axG",@progbits,_ZN9rocsparseL21csrmvt_general_kernelILj256ELj4Eli21rocsparse_complex_numIfES1_IdES3_S3_EEvbbT2_NS_24const_host_device_scalarIT6_EEPKT1_SA_PKS4_PKT3_PKT4_PT5_21rocsparse_index_base_b,comdat
	.globl	_ZN9rocsparseL21csrmvt_general_kernelILj256ELj4Eli21rocsparse_complex_numIfES1_IdES3_S3_EEvbbT2_NS_24const_host_device_scalarIT6_EEPKT1_SA_PKS4_PKT3_PKT4_PT5_21rocsparse_index_base_b ; -- Begin function _ZN9rocsparseL21csrmvt_general_kernelILj256ELj4Eli21rocsparse_complex_numIfES1_IdES3_S3_EEvbbT2_NS_24const_host_device_scalarIT6_EEPKT1_SA_PKS4_PKT3_PKT4_PT5_21rocsparse_index_base_b
	.p2align	8
	.type	_ZN9rocsparseL21csrmvt_general_kernelILj256ELj4Eli21rocsparse_complex_numIfES1_IdES3_S3_EEvbbT2_NS_24const_host_device_scalarIT6_EEPKT1_SA_PKS4_PKT3_PKT4_PT5_21rocsparse_index_base_b,@function
_ZN9rocsparseL21csrmvt_general_kernelILj256ELj4Eli21rocsparse_complex_numIfES1_IdES3_S3_EEvbbT2_NS_24const_host_device_scalarIT6_EEPKT1_SA_PKS4_PKT3_PKT4_PT5_21rocsparse_index_base_b: ; @_ZN9rocsparseL21csrmvt_general_kernelILj256ELj4Eli21rocsparse_complex_numIfES1_IdES3_S3_EEvbbT2_NS_24const_host_device_scalarIT6_EEPKT1_SA_PKS4_PKT3_PKT4_PT5_21rocsparse_index_base_b
; %bb.0:
	s_load_dwordx2 s[2:3], s[6:7], 0x48
	s_load_dwordx2 s[0:1], s[4:5], 0x4
	s_load_dwordx8 s[12:19], s[6:7], 0x8
	v_and_b32_e32 v1, 0x3ff, v0
	v_bfe_u32 v3, v0, 10, 10
	s_waitcnt lgkmcnt(0)
	s_and_b32 s3, 1, s3
	s_lshr_b32 s0, s0, 16
	s_mul_i32 s0, s0, s1
	v_mul_lo_u32 v2, s0, v1
	s_cmp_eq_u32 s3, 1
	v_mad_u32_u24 v2, v3, s1, v2
	v_bfe_u32 v0, v0, 20, 10
	v_add_lshl_u32 v0, v2, v0, 3
	v_pk_mov_b32 v[2:3], s[12:13], s[12:13] op_sel:[0,1]
	s_cselect_b64 vcc, -1, 0
	ds_write_b64 v0, v[2:3]
	s_mov_b64 s[0:1], src_shared_base
	v_cndmask_b32_e32 v2, v2, v0, vcc
	s_and_b64 vcc, vcc, exec
	s_cselect_b32 s0, s1, s13
	v_mov_b32_e32 v3, s0
	flat_load_dwordx2 v[4:5], v[2:3]
	v_pk_mov_b32 v[6:7], s[14:15], s[14:15] op_sel:[0,1]
	s_cbranch_vccnz .LBB380_2
; %bb.1:
	v_pk_mov_b32 v[2:3], s[12:13], s[12:13] op_sel:[0,1]
	flat_load_dwordx2 v[6:7], v[2:3] offset:8
.LBB380_2:
	s_waitcnt vmcnt(0) lgkmcnt(0)
	v_cmp_neq_f64_e32 vcc, 0, v[4:5]
	v_cmp_neq_f64_e64 s[0:1], 0, v[6:7]
	s_or_b64 s[0:1], vcc, s[0:1]
	s_and_saveexec_b64 s[4:5], s[0:1]
	s_cbranch_execz .LBB380_27
; %bb.3:
	s_load_dword s0, s[6:7], 0x0
	s_load_dwordx2 s[4:5], s[6:7], 0x0
	s_load_dword s1, s[6:7], 0x50
	s_load_dwordx8 s[20:27], s[6:7], 0x28
	v_lshl_or_b32 v0, s8, 8, v1
	s_waitcnt lgkmcnt(0)
	s_and_b32 s0, s0, 1
	s_bitcmp1_b32 s4, 8
	s_cselect_b64 s[6:7], -1, 0
	s_lshl_b32 s3, s1, 6
	v_lshrrev_b32_e32 v8, 2, v0
	s_cmp_eq_u32 s0, 0
	v_and_b32_e32 v9, 3, v1
	v_cmp_gt_i32_e64 s[0:1], s5, v8
	s_mov_b64 s[8:9], -1
	s_cbranch_scc0 .LBB380_15
; %bb.4:
	s_and_saveexec_b64 s[8:9], s[0:1]
	s_cbranch_execz .LBB380_14
; %bb.5:
	v_subrev_co_u32_e32 v28, vcc, s2, v9
	s_mov_b32 s4, 0
	v_subb_co_u32_e64 v29, s[10:11], 0, 0, vcc
	s_mov_b64 s[10:11], 0
	v_mov_b32_e32 v30, s17
	v_mov_b32_e32 v31, s19
	;; [unrolled: 1-line block ×4, first 2 shown]
	s_branch .LBB380_7
.LBB380_6:                              ;   in Loop: Header=BB380_7 Depth=1
	s_or_b64 exec, exec, s[12:13]
	v_add_u32_e32 v10, s3, v10
	v_cmp_le_i32_e32 vcc, s5, v10
	s_or_b64 s[10:11], vcc, s[10:11]
	s_andn2_b64 exec, exec, s[10:11]
	s_cbranch_execz .LBB380_14
.LBB380_7:                              ; =>This Loop Header: Depth=1
                                        ;     Child Loop BB380_9 Depth 2
                                        ;       Child Loop BB380_10 Depth 3
                                        ;       Child Loop BB380_12 Depth 3
	v_ashrrev_i32_e32 v11, 31, v10
	v_lshlrev_b64 v[0:1], 3, v[10:11]
	v_add_co_u32_e32 v2, vcc, s18, v0
	v_addc_co_u32_e32 v3, vcc, v31, v1, vcc
	global_load_dwordx2 v[2:3], v[2:3], off
	v_add_co_u32_e32 v0, vcc, s16, v0
	v_addc_co_u32_e32 v1, vcc, v30, v1, vcc
	global_load_dwordx2 v[0:1], v[0:1], off
	s_waitcnt vmcnt(1)
	v_subrev_co_u32_e32 v12, vcc, s2, v2
	v_subb_co_u32_e32 v13, vcc, v3, v32, vcc
	s_waitcnt vmcnt(0)
	v_add_co_u32_e32 v14, vcc, v0, v28
	v_addc_co_u32_e32 v15, vcc, v1, v29, vcc
	v_cmp_lt_i64_e32 vcc, v[14:15], v[12:13]
	s_and_saveexec_b64 s[12:13], vcc
	s_cbranch_execz .LBB380_6
; %bb.8:                                ;   in Loop: Header=BB380_7 Depth=1
	v_lshlrev_b64 v[0:1], 4, v[10:11]
	v_mov_b32_e32 v2, s25
	v_add_co_u32_e32 v0, vcc, s24, v0
	v_addc_co_u32_e32 v1, vcc, v2, v1, vcc
	global_load_dwordx4 v[0:3], v[0:1], off
	s_mov_b64 s[14:15], 0
	s_waitcnt vmcnt(0)
	v_mul_f64 v[16:17], v[2:3], -v[6:7]
	v_mul_f64 v[18:19], v[4:5], v[2:3]
	v_fmac_f64_e32 v[16:17], v[4:5], v[0:1]
	v_fmac_f64_e32 v[18:19], v[6:7], v[0:1]
.LBB380_9:                              ;   Parent Loop BB380_7 Depth=1
                                        ; =>  This Loop Header: Depth=2
                                        ;       Child Loop BB380_10 Depth 3
                                        ;       Child Loop BB380_12 Depth 3
	v_lshlrev_b64 v[0:1], 2, v[14:15]
	v_mov_b32_e32 v2, s21
	v_add_co_u32_e32 v0, vcc, s20, v0
	v_addc_co_u32_e32 v1, vcc, v2, v1, vcc
	global_load_dword v2, v[0:1], off
	v_lshlrev_b64 v[0:1], 3, v[14:15]
	v_mov_b32_e32 v3, s23
	v_add_co_u32_e32 v0, vcc, s22, v0
	v_addc_co_u32_e32 v1, vcc, v3, v1, vcc
	global_load_dwordx2 v[0:1], v[0:1], off
	v_mov_b32_e32 v11, s27
	s_mov_b64 s[28:29], 0
	s_waitcnt vmcnt(1)
	v_subrev_u32_e32 v2, s2, v2
	v_ashrrev_i32_e32 v3, 31, v2
	v_lshlrev_b64 v[2:3], 4, v[2:3]
	v_add_co_u32_e32 v20, vcc, s26, v2
	v_addc_co_u32_e32 v21, vcc, v11, v3, vcc
	global_load_dwordx2 v[2:3], v[20:21], off
	s_waitcnt vmcnt(1)
	v_cndmask_b32_e64 v1, v1, -v1, s[6:7]
	v_cvt_f64_f32_e32 v[24:25], v1
	v_cvt_f64_f32_e32 v[22:23], v0
	v_mul_f64 v[26:27], -v[18:19], v[24:25]
	v_fmac_f64_e32 v[26:27], v[16:17], v[22:23]
.LBB380_10:                             ;   Parent Loop BB380_7 Depth=1
                                        ;     Parent Loop BB380_9 Depth=2
                                        ; =>    This Inner Loop Header: Depth=3
	s_waitcnt vmcnt(0)
	v_add_f64 v[0:1], v[2:3], v[26:27]
	global_atomic_cmpswap_x2 v[0:1], v[20:21], v[0:3], off glc
	s_waitcnt vmcnt(0)
	v_cmp_eq_u64_e32 vcc, v[0:1], v[2:3]
	s_or_b64 s[28:29], vcc, s[28:29]
	v_pk_mov_b32 v[2:3], v[0:1], v[0:1] op_sel:[0,1]
	s_andn2_b64 exec, exec, s[28:29]
	s_cbranch_execnz .LBB380_10
; %bb.11:                               ;   in Loop: Header=BB380_9 Depth=2
	s_or_b64 exec, exec, s[28:29]
	global_load_dwordx2 v[2:3], v[20:21], off offset:8
	v_mul_f64 v[24:25], v[16:17], v[24:25]
	v_fmac_f64_e32 v[24:25], v[18:19], v[22:23]
	s_mov_b64 s[28:29], 0
.LBB380_12:                             ;   Parent Loop BB380_7 Depth=1
                                        ;     Parent Loop BB380_9 Depth=2
                                        ; =>    This Inner Loop Header: Depth=3
	s_waitcnt vmcnt(0)
	v_add_f64 v[0:1], v[2:3], v[24:25]
	global_atomic_cmpswap_x2 v[0:1], v[20:21], v[0:3], off offset:8 glc
	s_waitcnt vmcnt(0)
	v_cmp_eq_u64_e32 vcc, v[0:1], v[2:3]
	s_or_b64 s[28:29], vcc, s[28:29]
	v_pk_mov_b32 v[2:3], v[0:1], v[0:1] op_sel:[0,1]
	s_andn2_b64 exec, exec, s[28:29]
	s_cbranch_execnz .LBB380_12
; %bb.13:                               ;   in Loop: Header=BB380_9 Depth=2
	s_or_b64 exec, exec, s[28:29]
	v_add_co_u32_e32 v14, vcc, 4, v14
	v_addc_co_u32_e32 v15, vcc, 0, v15, vcc
	v_cmp_ge_i64_e32 vcc, v[14:15], v[12:13]
	s_or_b64 s[14:15], vcc, s[14:15]
	s_andn2_b64 exec, exec, s[14:15]
	s_cbranch_execnz .LBB380_9
	s_branch .LBB380_6
.LBB380_14:
	s_or_b64 exec, exec, s[8:9]
	s_mov_b64 s[8:9], 0
.LBB380_15:
	s_andn2_b64 vcc, exec, s[8:9]
	s_cbranch_vccnz .LBB380_27
; %bb.16:
	s_and_b64 exec, exec, s[0:1]
	s_cbranch_execz .LBB380_27
; %bb.17:
	v_subrev_co_u32_e32 v26, vcc, s2, v9
	s_mov_b32 s4, 0
	v_subb_co_u32_e64 v27, s[0:1], 0, 0, vcc
	s_mov_b64 s[0:1], 0
	v_mov_b32_e32 v28, s17
	v_mov_b32_e32 v29, s19
	;; [unrolled: 1-line block ×3, first 2 shown]
	s_branch .LBB380_19
.LBB380_18:                             ;   in Loop: Header=BB380_19 Depth=1
	s_or_b64 exec, exec, s[8:9]
	v_add_u32_e32 v8, s3, v8
	v_cmp_le_i32_e32 vcc, s5, v8
	s_or_b64 s[0:1], vcc, s[0:1]
	s_andn2_b64 exec, exec, s[0:1]
	s_cbranch_execz .LBB380_27
.LBB380_19:                             ; =>This Loop Header: Depth=1
                                        ;     Child Loop BB380_22 Depth 2
                                        ;       Child Loop BB380_24 Depth 3
                                        ;       Child Loop BB380_26 Depth 3
	v_ashrrev_i32_e32 v9, 31, v8
	v_lshlrev_b64 v[0:1], 3, v[8:9]
	v_add_co_u32_e32 v2, vcc, s18, v0
	v_addc_co_u32_e32 v3, vcc, v29, v1, vcc
	global_load_dwordx2 v[2:3], v[2:3], off
	v_add_co_u32_e32 v0, vcc, s16, v0
	v_addc_co_u32_e32 v1, vcc, v28, v1, vcc
	global_load_dwordx2 v[0:1], v[0:1], off
	s_waitcnt vmcnt(1)
	v_subrev_co_u32_e32 v10, vcc, s2, v2
	v_subb_co_u32_e32 v11, vcc, v3, v30, vcc
	s_waitcnt vmcnt(0)
	v_add_co_u32_e32 v12, vcc, v0, v26
	v_addc_co_u32_e32 v13, vcc, v1, v27, vcc
	v_cmp_lt_i64_e32 vcc, v[12:13], v[10:11]
	s_and_saveexec_b64 s[8:9], vcc
	s_cbranch_execz .LBB380_18
; %bb.20:                               ;   in Loop: Header=BB380_19 Depth=1
	v_lshlrev_b64 v[0:1], 4, v[8:9]
	v_mov_b32_e32 v2, s25
	v_add_co_u32_e32 v0, vcc, s24, v0
	v_addc_co_u32_e32 v1, vcc, v2, v1, vcc
	global_load_dwordx4 v[0:3], v[0:1], off
	s_mov_b64 s[10:11], 0
	s_waitcnt vmcnt(0)
	v_mul_f64 v[14:15], v[2:3], -v[6:7]
	v_mul_f64 v[16:17], v[4:5], v[2:3]
	v_fmac_f64_e32 v[14:15], v[4:5], v[0:1]
	v_fmac_f64_e32 v[16:17], v[6:7], v[0:1]
	s_branch .LBB380_22
.LBB380_21:                             ;   in Loop: Header=BB380_22 Depth=2
	s_or_b64 exec, exec, s[12:13]
	v_add_co_u32_e32 v12, vcc, 4, v12
	v_addc_co_u32_e32 v13, vcc, 0, v13, vcc
	v_cmp_ge_i64_e32 vcc, v[12:13], v[10:11]
	s_or_b64 s[10:11], vcc, s[10:11]
	s_andn2_b64 exec, exec, s[10:11]
	s_cbranch_execz .LBB380_18
.LBB380_22:                             ;   Parent Loop BB380_19 Depth=1
                                        ; =>  This Loop Header: Depth=2
                                        ;       Child Loop BB380_24 Depth 3
                                        ;       Child Loop BB380_26 Depth 3
	v_lshlrev_b64 v[0:1], 2, v[12:13]
	v_mov_b32_e32 v2, s21
	v_add_co_u32_e32 v0, vcc, s20, v0
	v_addc_co_u32_e32 v1, vcc, v2, v1, vcc
	global_load_dword v0, v[0:1], off
	s_waitcnt vmcnt(0)
	v_subrev_u32_e32 v0, s2, v0
	v_cmp_ne_u32_e32 vcc, v0, v8
	s_and_saveexec_b64 s[12:13], vcc
	s_cbranch_execz .LBB380_21
; %bb.23:                               ;   in Loop: Header=BB380_22 Depth=2
	v_lshlrev_b64 v[2:3], 3, v[12:13]
	v_mov_b32_e32 v1, s23
	v_add_co_u32_e32 v2, vcc, s22, v2
	v_addc_co_u32_e32 v3, vcc, v1, v3, vcc
	global_load_dwordx2 v[20:21], v[2:3], off
	v_ashrrev_i32_e32 v1, 31, v0
	v_lshlrev_b64 v[0:1], 4, v[0:1]
	v_mov_b32_e32 v2, s27
	v_add_co_u32_e32 v18, vcc, s26, v0
	v_addc_co_u32_e32 v19, vcc, v2, v1, vcc
	global_load_dwordx2 v[2:3], v[18:19], off
	s_mov_b64 s[14:15], 0
	s_waitcnt vmcnt(1)
	v_cndmask_b32_e64 v0, v21, -v21, s[6:7]
	v_cvt_f64_f32_e32 v[22:23], v0
	v_cvt_f64_f32_e32 v[20:21], v20
	v_mul_f64 v[24:25], -v[16:17], v[22:23]
	v_fmac_f64_e32 v[24:25], v[14:15], v[20:21]
.LBB380_24:                             ;   Parent Loop BB380_19 Depth=1
                                        ;     Parent Loop BB380_22 Depth=2
                                        ; =>    This Inner Loop Header: Depth=3
	s_waitcnt vmcnt(0)
	v_add_f64 v[0:1], v[2:3], v[24:25]
	global_atomic_cmpswap_x2 v[0:1], v[18:19], v[0:3], off glc
	s_waitcnt vmcnt(0)
	v_cmp_eq_u64_e32 vcc, v[0:1], v[2:3]
	s_or_b64 s[14:15], vcc, s[14:15]
	v_pk_mov_b32 v[2:3], v[0:1], v[0:1] op_sel:[0,1]
	s_andn2_b64 exec, exec, s[14:15]
	s_cbranch_execnz .LBB380_24
; %bb.25:                               ;   in Loop: Header=BB380_22 Depth=2
	s_or_b64 exec, exec, s[14:15]
	global_load_dwordx2 v[2:3], v[18:19], off offset:8
	v_mul_f64 v[22:23], v[14:15], v[22:23]
	v_fmac_f64_e32 v[22:23], v[16:17], v[20:21]
	s_mov_b64 s[14:15], 0
.LBB380_26:                             ;   Parent Loop BB380_19 Depth=1
                                        ;     Parent Loop BB380_22 Depth=2
                                        ; =>    This Inner Loop Header: Depth=3
	s_waitcnt vmcnt(0)
	v_add_f64 v[0:1], v[2:3], v[22:23]
	global_atomic_cmpswap_x2 v[0:1], v[18:19], v[0:3], off offset:8 glc
	s_waitcnt vmcnt(0)
	v_cmp_eq_u64_e32 vcc, v[0:1], v[2:3]
	s_or_b64 s[14:15], vcc, s[14:15]
	v_pk_mov_b32 v[2:3], v[0:1], v[0:1] op_sel:[0,1]
	s_andn2_b64 exec, exec, s[14:15]
	s_cbranch_execnz .LBB380_26
	s_branch .LBB380_21
.LBB380_27:
	s_endpgm
	.section	.rodata,"a",@progbits
	.p2align	6, 0x0
	.amdhsa_kernel _ZN9rocsparseL21csrmvt_general_kernelILj256ELj4Eli21rocsparse_complex_numIfES1_IdES3_S3_EEvbbT2_NS_24const_host_device_scalarIT6_EEPKT1_SA_PKS4_PKT3_PKT4_PT5_21rocsparse_index_base_b
		.amdhsa_group_segment_fixed_size 2048
		.amdhsa_private_segment_fixed_size 0
		.amdhsa_kernarg_size 336
		.amdhsa_user_sgpr_count 8
		.amdhsa_user_sgpr_private_segment_buffer 1
		.amdhsa_user_sgpr_dispatch_ptr 1
		.amdhsa_user_sgpr_queue_ptr 0
		.amdhsa_user_sgpr_kernarg_segment_ptr 1
		.amdhsa_user_sgpr_dispatch_id 0
		.amdhsa_user_sgpr_flat_scratch_init 0
		.amdhsa_user_sgpr_kernarg_preload_length 0
		.amdhsa_user_sgpr_kernarg_preload_offset 0
		.amdhsa_user_sgpr_private_segment_size 0
		.amdhsa_uses_dynamic_stack 0
		.amdhsa_system_sgpr_private_segment_wavefront_offset 0
		.amdhsa_system_sgpr_workgroup_id_x 1
		.amdhsa_system_sgpr_workgroup_id_y 0
		.amdhsa_system_sgpr_workgroup_id_z 0
		.amdhsa_system_sgpr_workgroup_info 0
		.amdhsa_system_vgpr_workitem_id 2
		.amdhsa_next_free_vgpr 33
		.amdhsa_next_free_sgpr 30
		.amdhsa_accum_offset 36
		.amdhsa_reserve_vcc 1
		.amdhsa_reserve_flat_scratch 0
		.amdhsa_float_round_mode_32 0
		.amdhsa_float_round_mode_16_64 0
		.amdhsa_float_denorm_mode_32 3
		.amdhsa_float_denorm_mode_16_64 3
		.amdhsa_dx10_clamp 1
		.amdhsa_ieee_mode 1
		.amdhsa_fp16_overflow 0
		.amdhsa_tg_split 0
		.amdhsa_exception_fp_ieee_invalid_op 0
		.amdhsa_exception_fp_denorm_src 0
		.amdhsa_exception_fp_ieee_div_zero 0
		.amdhsa_exception_fp_ieee_overflow 0
		.amdhsa_exception_fp_ieee_underflow 0
		.amdhsa_exception_fp_ieee_inexact 0
		.amdhsa_exception_int_div_zero 0
	.end_amdhsa_kernel
	.section	.text._ZN9rocsparseL21csrmvt_general_kernelILj256ELj4Eli21rocsparse_complex_numIfES1_IdES3_S3_EEvbbT2_NS_24const_host_device_scalarIT6_EEPKT1_SA_PKS4_PKT3_PKT4_PT5_21rocsparse_index_base_b,"axG",@progbits,_ZN9rocsparseL21csrmvt_general_kernelILj256ELj4Eli21rocsparse_complex_numIfES1_IdES3_S3_EEvbbT2_NS_24const_host_device_scalarIT6_EEPKT1_SA_PKS4_PKT3_PKT4_PT5_21rocsparse_index_base_b,comdat
.Lfunc_end380:
	.size	_ZN9rocsparseL21csrmvt_general_kernelILj256ELj4Eli21rocsparse_complex_numIfES1_IdES3_S3_EEvbbT2_NS_24const_host_device_scalarIT6_EEPKT1_SA_PKS4_PKT3_PKT4_PT5_21rocsparse_index_base_b, .Lfunc_end380-_ZN9rocsparseL21csrmvt_general_kernelILj256ELj4Eli21rocsparse_complex_numIfES1_IdES3_S3_EEvbbT2_NS_24const_host_device_scalarIT6_EEPKT1_SA_PKS4_PKT3_PKT4_PT5_21rocsparse_index_base_b
                                        ; -- End function
	.section	.AMDGPU.csdata,"",@progbits
; Kernel info:
; codeLenInByte = 1316
; NumSgprs: 34
; NumVgprs: 33
; NumAgprs: 0
; TotalNumVgprs: 33
; ScratchSize: 0
; MemoryBound: 0
; FloatMode: 240
; IeeeMode: 1
; LDSByteSize: 2048 bytes/workgroup (compile time only)
; SGPRBlocks: 4
; VGPRBlocks: 4
; NumSGPRsForWavesPerEU: 34
; NumVGPRsForWavesPerEU: 33
; AccumOffset: 36
; Occupancy: 8
; WaveLimiterHint : 1
; COMPUTE_PGM_RSRC2:SCRATCH_EN: 0
; COMPUTE_PGM_RSRC2:USER_SGPR: 8
; COMPUTE_PGM_RSRC2:TRAP_HANDLER: 0
; COMPUTE_PGM_RSRC2:TGID_X_EN: 1
; COMPUTE_PGM_RSRC2:TGID_Y_EN: 0
; COMPUTE_PGM_RSRC2:TGID_Z_EN: 0
; COMPUTE_PGM_RSRC2:TIDIG_COMP_CNT: 2
; COMPUTE_PGM_RSRC3_GFX90A:ACCUM_OFFSET: 8
; COMPUTE_PGM_RSRC3_GFX90A:TG_SPLIT: 0
	.section	.text._ZN9rocsparseL21csrmvt_general_kernelILj256ELj8Eli21rocsparse_complex_numIfES1_IdES3_S3_EEvbbT2_NS_24const_host_device_scalarIT6_EEPKT1_SA_PKS4_PKT3_PKT4_PT5_21rocsparse_index_base_b,"axG",@progbits,_ZN9rocsparseL21csrmvt_general_kernelILj256ELj8Eli21rocsparse_complex_numIfES1_IdES3_S3_EEvbbT2_NS_24const_host_device_scalarIT6_EEPKT1_SA_PKS4_PKT3_PKT4_PT5_21rocsparse_index_base_b,comdat
	.globl	_ZN9rocsparseL21csrmvt_general_kernelILj256ELj8Eli21rocsparse_complex_numIfES1_IdES3_S3_EEvbbT2_NS_24const_host_device_scalarIT6_EEPKT1_SA_PKS4_PKT3_PKT4_PT5_21rocsparse_index_base_b ; -- Begin function _ZN9rocsparseL21csrmvt_general_kernelILj256ELj8Eli21rocsparse_complex_numIfES1_IdES3_S3_EEvbbT2_NS_24const_host_device_scalarIT6_EEPKT1_SA_PKS4_PKT3_PKT4_PT5_21rocsparse_index_base_b
	.p2align	8
	.type	_ZN9rocsparseL21csrmvt_general_kernelILj256ELj8Eli21rocsparse_complex_numIfES1_IdES3_S3_EEvbbT2_NS_24const_host_device_scalarIT6_EEPKT1_SA_PKS4_PKT3_PKT4_PT5_21rocsparse_index_base_b,@function
_ZN9rocsparseL21csrmvt_general_kernelILj256ELj8Eli21rocsparse_complex_numIfES1_IdES3_S3_EEvbbT2_NS_24const_host_device_scalarIT6_EEPKT1_SA_PKS4_PKT3_PKT4_PT5_21rocsparse_index_base_b: ; @_ZN9rocsparseL21csrmvt_general_kernelILj256ELj8Eli21rocsparse_complex_numIfES1_IdES3_S3_EEvbbT2_NS_24const_host_device_scalarIT6_EEPKT1_SA_PKS4_PKT3_PKT4_PT5_21rocsparse_index_base_b
; %bb.0:
	s_load_dwordx2 s[2:3], s[6:7], 0x48
	s_load_dwordx2 s[0:1], s[4:5], 0x4
	s_load_dwordx8 s[12:19], s[6:7], 0x8
	v_and_b32_e32 v1, 0x3ff, v0
	v_bfe_u32 v3, v0, 10, 10
	s_waitcnt lgkmcnt(0)
	s_and_b32 s3, 1, s3
	s_lshr_b32 s0, s0, 16
	s_mul_i32 s0, s0, s1
	v_mul_lo_u32 v2, s0, v1
	s_cmp_eq_u32 s3, 1
	v_mad_u32_u24 v2, v3, s1, v2
	v_bfe_u32 v0, v0, 20, 10
	v_add_lshl_u32 v0, v2, v0, 3
	v_pk_mov_b32 v[2:3], s[12:13], s[12:13] op_sel:[0,1]
	s_cselect_b64 vcc, -1, 0
	ds_write_b64 v0, v[2:3]
	s_mov_b64 s[0:1], src_shared_base
	v_cndmask_b32_e32 v2, v2, v0, vcc
	s_and_b64 vcc, vcc, exec
	s_cselect_b32 s0, s1, s13
	v_mov_b32_e32 v3, s0
	flat_load_dwordx2 v[4:5], v[2:3]
	v_pk_mov_b32 v[6:7], s[14:15], s[14:15] op_sel:[0,1]
	s_cbranch_vccnz .LBB381_2
; %bb.1:
	v_pk_mov_b32 v[2:3], s[12:13], s[12:13] op_sel:[0,1]
	flat_load_dwordx2 v[6:7], v[2:3] offset:8
.LBB381_2:
	s_waitcnt vmcnt(0) lgkmcnt(0)
	v_cmp_neq_f64_e32 vcc, 0, v[4:5]
	v_cmp_neq_f64_e64 s[0:1], 0, v[6:7]
	s_or_b64 s[0:1], vcc, s[0:1]
	s_and_saveexec_b64 s[4:5], s[0:1]
	s_cbranch_execz .LBB381_27
; %bb.3:
	s_load_dword s0, s[6:7], 0x0
	s_load_dwordx2 s[4:5], s[6:7], 0x0
	s_load_dword s1, s[6:7], 0x50
	s_load_dwordx8 s[20:27], s[6:7], 0x28
	v_lshl_or_b32 v0, s8, 8, v1
	s_waitcnt lgkmcnt(0)
	s_and_b32 s0, s0, 1
	s_bitcmp1_b32 s4, 8
	s_cselect_b64 s[6:7], -1, 0
	s_lshl_b32 s3, s1, 5
	v_lshrrev_b32_e32 v8, 3, v0
	s_cmp_eq_u32 s0, 0
	v_and_b32_e32 v9, 7, v1
	v_cmp_gt_i32_e64 s[0:1], s5, v8
	s_mov_b64 s[8:9], -1
	s_cbranch_scc0 .LBB381_15
; %bb.4:
	s_and_saveexec_b64 s[8:9], s[0:1]
	s_cbranch_execz .LBB381_14
; %bb.5:
	v_subrev_co_u32_e32 v28, vcc, s2, v9
	s_mov_b32 s4, 0
	v_subb_co_u32_e64 v29, s[10:11], 0, 0, vcc
	s_mov_b64 s[10:11], 0
	v_mov_b32_e32 v30, s17
	v_mov_b32_e32 v31, s19
	;; [unrolled: 1-line block ×4, first 2 shown]
	s_branch .LBB381_7
.LBB381_6:                              ;   in Loop: Header=BB381_7 Depth=1
	s_or_b64 exec, exec, s[12:13]
	v_add_u32_e32 v10, s3, v10
	v_cmp_le_i32_e32 vcc, s5, v10
	s_or_b64 s[10:11], vcc, s[10:11]
	s_andn2_b64 exec, exec, s[10:11]
	s_cbranch_execz .LBB381_14
.LBB381_7:                              ; =>This Loop Header: Depth=1
                                        ;     Child Loop BB381_9 Depth 2
                                        ;       Child Loop BB381_10 Depth 3
                                        ;       Child Loop BB381_12 Depth 3
	v_ashrrev_i32_e32 v11, 31, v10
	v_lshlrev_b64 v[0:1], 3, v[10:11]
	v_add_co_u32_e32 v2, vcc, s18, v0
	v_addc_co_u32_e32 v3, vcc, v31, v1, vcc
	global_load_dwordx2 v[2:3], v[2:3], off
	v_add_co_u32_e32 v0, vcc, s16, v0
	v_addc_co_u32_e32 v1, vcc, v30, v1, vcc
	global_load_dwordx2 v[0:1], v[0:1], off
	s_waitcnt vmcnt(1)
	v_subrev_co_u32_e32 v12, vcc, s2, v2
	v_subb_co_u32_e32 v13, vcc, v3, v32, vcc
	s_waitcnt vmcnt(0)
	v_add_co_u32_e32 v14, vcc, v0, v28
	v_addc_co_u32_e32 v15, vcc, v1, v29, vcc
	v_cmp_lt_i64_e32 vcc, v[14:15], v[12:13]
	s_and_saveexec_b64 s[12:13], vcc
	s_cbranch_execz .LBB381_6
; %bb.8:                                ;   in Loop: Header=BB381_7 Depth=1
	v_lshlrev_b64 v[0:1], 4, v[10:11]
	v_mov_b32_e32 v2, s25
	v_add_co_u32_e32 v0, vcc, s24, v0
	v_addc_co_u32_e32 v1, vcc, v2, v1, vcc
	global_load_dwordx4 v[0:3], v[0:1], off
	s_mov_b64 s[14:15], 0
	s_waitcnt vmcnt(0)
	v_mul_f64 v[16:17], v[2:3], -v[6:7]
	v_mul_f64 v[18:19], v[4:5], v[2:3]
	v_fmac_f64_e32 v[16:17], v[4:5], v[0:1]
	v_fmac_f64_e32 v[18:19], v[6:7], v[0:1]
.LBB381_9:                              ;   Parent Loop BB381_7 Depth=1
                                        ; =>  This Loop Header: Depth=2
                                        ;       Child Loop BB381_10 Depth 3
                                        ;       Child Loop BB381_12 Depth 3
	v_lshlrev_b64 v[0:1], 2, v[14:15]
	v_mov_b32_e32 v2, s21
	v_add_co_u32_e32 v0, vcc, s20, v0
	v_addc_co_u32_e32 v1, vcc, v2, v1, vcc
	global_load_dword v2, v[0:1], off
	v_lshlrev_b64 v[0:1], 3, v[14:15]
	v_mov_b32_e32 v3, s23
	v_add_co_u32_e32 v0, vcc, s22, v0
	v_addc_co_u32_e32 v1, vcc, v3, v1, vcc
	global_load_dwordx2 v[0:1], v[0:1], off
	v_mov_b32_e32 v11, s27
	s_mov_b64 s[28:29], 0
	s_waitcnt vmcnt(1)
	v_subrev_u32_e32 v2, s2, v2
	v_ashrrev_i32_e32 v3, 31, v2
	v_lshlrev_b64 v[2:3], 4, v[2:3]
	v_add_co_u32_e32 v20, vcc, s26, v2
	v_addc_co_u32_e32 v21, vcc, v11, v3, vcc
	global_load_dwordx2 v[2:3], v[20:21], off
	s_waitcnt vmcnt(1)
	v_cndmask_b32_e64 v1, v1, -v1, s[6:7]
	v_cvt_f64_f32_e32 v[24:25], v1
	v_cvt_f64_f32_e32 v[22:23], v0
	v_mul_f64 v[26:27], -v[18:19], v[24:25]
	v_fmac_f64_e32 v[26:27], v[16:17], v[22:23]
.LBB381_10:                             ;   Parent Loop BB381_7 Depth=1
                                        ;     Parent Loop BB381_9 Depth=2
                                        ; =>    This Inner Loop Header: Depth=3
	s_waitcnt vmcnt(0)
	v_add_f64 v[0:1], v[2:3], v[26:27]
	global_atomic_cmpswap_x2 v[0:1], v[20:21], v[0:3], off glc
	s_waitcnt vmcnt(0)
	v_cmp_eq_u64_e32 vcc, v[0:1], v[2:3]
	s_or_b64 s[28:29], vcc, s[28:29]
	v_pk_mov_b32 v[2:3], v[0:1], v[0:1] op_sel:[0,1]
	s_andn2_b64 exec, exec, s[28:29]
	s_cbranch_execnz .LBB381_10
; %bb.11:                               ;   in Loop: Header=BB381_9 Depth=2
	s_or_b64 exec, exec, s[28:29]
	global_load_dwordx2 v[2:3], v[20:21], off offset:8
	v_mul_f64 v[24:25], v[16:17], v[24:25]
	v_fmac_f64_e32 v[24:25], v[18:19], v[22:23]
	s_mov_b64 s[28:29], 0
.LBB381_12:                             ;   Parent Loop BB381_7 Depth=1
                                        ;     Parent Loop BB381_9 Depth=2
                                        ; =>    This Inner Loop Header: Depth=3
	s_waitcnt vmcnt(0)
	v_add_f64 v[0:1], v[2:3], v[24:25]
	global_atomic_cmpswap_x2 v[0:1], v[20:21], v[0:3], off offset:8 glc
	s_waitcnt vmcnt(0)
	v_cmp_eq_u64_e32 vcc, v[0:1], v[2:3]
	s_or_b64 s[28:29], vcc, s[28:29]
	v_pk_mov_b32 v[2:3], v[0:1], v[0:1] op_sel:[0,1]
	s_andn2_b64 exec, exec, s[28:29]
	s_cbranch_execnz .LBB381_12
; %bb.13:                               ;   in Loop: Header=BB381_9 Depth=2
	s_or_b64 exec, exec, s[28:29]
	v_add_co_u32_e32 v14, vcc, 8, v14
	v_addc_co_u32_e32 v15, vcc, 0, v15, vcc
	v_cmp_ge_i64_e32 vcc, v[14:15], v[12:13]
	s_or_b64 s[14:15], vcc, s[14:15]
	s_andn2_b64 exec, exec, s[14:15]
	s_cbranch_execnz .LBB381_9
	s_branch .LBB381_6
.LBB381_14:
	s_or_b64 exec, exec, s[8:9]
	s_mov_b64 s[8:9], 0
.LBB381_15:
	s_andn2_b64 vcc, exec, s[8:9]
	s_cbranch_vccnz .LBB381_27
; %bb.16:
	s_and_b64 exec, exec, s[0:1]
	s_cbranch_execz .LBB381_27
; %bb.17:
	v_subrev_co_u32_e32 v26, vcc, s2, v9
	s_mov_b32 s4, 0
	v_subb_co_u32_e64 v27, s[0:1], 0, 0, vcc
	s_mov_b64 s[0:1], 0
	v_mov_b32_e32 v28, s17
	v_mov_b32_e32 v29, s19
	;; [unrolled: 1-line block ×3, first 2 shown]
	s_branch .LBB381_19
.LBB381_18:                             ;   in Loop: Header=BB381_19 Depth=1
	s_or_b64 exec, exec, s[8:9]
	v_add_u32_e32 v8, s3, v8
	v_cmp_le_i32_e32 vcc, s5, v8
	s_or_b64 s[0:1], vcc, s[0:1]
	s_andn2_b64 exec, exec, s[0:1]
	s_cbranch_execz .LBB381_27
.LBB381_19:                             ; =>This Loop Header: Depth=1
                                        ;     Child Loop BB381_22 Depth 2
                                        ;       Child Loop BB381_24 Depth 3
                                        ;       Child Loop BB381_26 Depth 3
	v_ashrrev_i32_e32 v9, 31, v8
	v_lshlrev_b64 v[0:1], 3, v[8:9]
	v_add_co_u32_e32 v2, vcc, s18, v0
	v_addc_co_u32_e32 v3, vcc, v29, v1, vcc
	global_load_dwordx2 v[2:3], v[2:3], off
	v_add_co_u32_e32 v0, vcc, s16, v0
	v_addc_co_u32_e32 v1, vcc, v28, v1, vcc
	global_load_dwordx2 v[0:1], v[0:1], off
	s_waitcnt vmcnt(1)
	v_subrev_co_u32_e32 v10, vcc, s2, v2
	v_subb_co_u32_e32 v11, vcc, v3, v30, vcc
	s_waitcnt vmcnt(0)
	v_add_co_u32_e32 v12, vcc, v0, v26
	v_addc_co_u32_e32 v13, vcc, v1, v27, vcc
	v_cmp_lt_i64_e32 vcc, v[12:13], v[10:11]
	s_and_saveexec_b64 s[8:9], vcc
	s_cbranch_execz .LBB381_18
; %bb.20:                               ;   in Loop: Header=BB381_19 Depth=1
	v_lshlrev_b64 v[0:1], 4, v[8:9]
	v_mov_b32_e32 v2, s25
	v_add_co_u32_e32 v0, vcc, s24, v0
	v_addc_co_u32_e32 v1, vcc, v2, v1, vcc
	global_load_dwordx4 v[0:3], v[0:1], off
	s_mov_b64 s[10:11], 0
	s_waitcnt vmcnt(0)
	v_mul_f64 v[14:15], v[2:3], -v[6:7]
	v_mul_f64 v[16:17], v[4:5], v[2:3]
	v_fmac_f64_e32 v[14:15], v[4:5], v[0:1]
	v_fmac_f64_e32 v[16:17], v[6:7], v[0:1]
	s_branch .LBB381_22
.LBB381_21:                             ;   in Loop: Header=BB381_22 Depth=2
	s_or_b64 exec, exec, s[12:13]
	v_add_co_u32_e32 v12, vcc, 8, v12
	v_addc_co_u32_e32 v13, vcc, 0, v13, vcc
	v_cmp_ge_i64_e32 vcc, v[12:13], v[10:11]
	s_or_b64 s[10:11], vcc, s[10:11]
	s_andn2_b64 exec, exec, s[10:11]
	s_cbranch_execz .LBB381_18
.LBB381_22:                             ;   Parent Loop BB381_19 Depth=1
                                        ; =>  This Loop Header: Depth=2
                                        ;       Child Loop BB381_24 Depth 3
                                        ;       Child Loop BB381_26 Depth 3
	v_lshlrev_b64 v[0:1], 2, v[12:13]
	v_mov_b32_e32 v2, s21
	v_add_co_u32_e32 v0, vcc, s20, v0
	v_addc_co_u32_e32 v1, vcc, v2, v1, vcc
	global_load_dword v0, v[0:1], off
	s_waitcnt vmcnt(0)
	v_subrev_u32_e32 v0, s2, v0
	v_cmp_ne_u32_e32 vcc, v0, v8
	s_and_saveexec_b64 s[12:13], vcc
	s_cbranch_execz .LBB381_21
; %bb.23:                               ;   in Loop: Header=BB381_22 Depth=2
	v_lshlrev_b64 v[2:3], 3, v[12:13]
	v_mov_b32_e32 v1, s23
	v_add_co_u32_e32 v2, vcc, s22, v2
	v_addc_co_u32_e32 v3, vcc, v1, v3, vcc
	global_load_dwordx2 v[20:21], v[2:3], off
	v_ashrrev_i32_e32 v1, 31, v0
	v_lshlrev_b64 v[0:1], 4, v[0:1]
	v_mov_b32_e32 v2, s27
	v_add_co_u32_e32 v18, vcc, s26, v0
	v_addc_co_u32_e32 v19, vcc, v2, v1, vcc
	global_load_dwordx2 v[2:3], v[18:19], off
	s_mov_b64 s[14:15], 0
	s_waitcnt vmcnt(1)
	v_cndmask_b32_e64 v0, v21, -v21, s[6:7]
	v_cvt_f64_f32_e32 v[22:23], v0
	v_cvt_f64_f32_e32 v[20:21], v20
	v_mul_f64 v[24:25], -v[16:17], v[22:23]
	v_fmac_f64_e32 v[24:25], v[14:15], v[20:21]
.LBB381_24:                             ;   Parent Loop BB381_19 Depth=1
                                        ;     Parent Loop BB381_22 Depth=2
                                        ; =>    This Inner Loop Header: Depth=3
	s_waitcnt vmcnt(0)
	v_add_f64 v[0:1], v[2:3], v[24:25]
	global_atomic_cmpswap_x2 v[0:1], v[18:19], v[0:3], off glc
	s_waitcnt vmcnt(0)
	v_cmp_eq_u64_e32 vcc, v[0:1], v[2:3]
	s_or_b64 s[14:15], vcc, s[14:15]
	v_pk_mov_b32 v[2:3], v[0:1], v[0:1] op_sel:[0,1]
	s_andn2_b64 exec, exec, s[14:15]
	s_cbranch_execnz .LBB381_24
; %bb.25:                               ;   in Loop: Header=BB381_22 Depth=2
	s_or_b64 exec, exec, s[14:15]
	global_load_dwordx2 v[2:3], v[18:19], off offset:8
	v_mul_f64 v[22:23], v[14:15], v[22:23]
	v_fmac_f64_e32 v[22:23], v[16:17], v[20:21]
	s_mov_b64 s[14:15], 0
.LBB381_26:                             ;   Parent Loop BB381_19 Depth=1
                                        ;     Parent Loop BB381_22 Depth=2
                                        ; =>    This Inner Loop Header: Depth=3
	s_waitcnt vmcnt(0)
	v_add_f64 v[0:1], v[2:3], v[22:23]
	global_atomic_cmpswap_x2 v[0:1], v[18:19], v[0:3], off offset:8 glc
	s_waitcnt vmcnt(0)
	v_cmp_eq_u64_e32 vcc, v[0:1], v[2:3]
	s_or_b64 s[14:15], vcc, s[14:15]
	v_pk_mov_b32 v[2:3], v[0:1], v[0:1] op_sel:[0,1]
	s_andn2_b64 exec, exec, s[14:15]
	s_cbranch_execnz .LBB381_26
	s_branch .LBB381_21
.LBB381_27:
	s_endpgm
	.section	.rodata,"a",@progbits
	.p2align	6, 0x0
	.amdhsa_kernel _ZN9rocsparseL21csrmvt_general_kernelILj256ELj8Eli21rocsparse_complex_numIfES1_IdES3_S3_EEvbbT2_NS_24const_host_device_scalarIT6_EEPKT1_SA_PKS4_PKT3_PKT4_PT5_21rocsparse_index_base_b
		.amdhsa_group_segment_fixed_size 2048
		.amdhsa_private_segment_fixed_size 0
		.amdhsa_kernarg_size 336
		.amdhsa_user_sgpr_count 8
		.amdhsa_user_sgpr_private_segment_buffer 1
		.amdhsa_user_sgpr_dispatch_ptr 1
		.amdhsa_user_sgpr_queue_ptr 0
		.amdhsa_user_sgpr_kernarg_segment_ptr 1
		.amdhsa_user_sgpr_dispatch_id 0
		.amdhsa_user_sgpr_flat_scratch_init 0
		.amdhsa_user_sgpr_kernarg_preload_length 0
		.amdhsa_user_sgpr_kernarg_preload_offset 0
		.amdhsa_user_sgpr_private_segment_size 0
		.amdhsa_uses_dynamic_stack 0
		.amdhsa_system_sgpr_private_segment_wavefront_offset 0
		.amdhsa_system_sgpr_workgroup_id_x 1
		.amdhsa_system_sgpr_workgroup_id_y 0
		.amdhsa_system_sgpr_workgroup_id_z 0
		.amdhsa_system_sgpr_workgroup_info 0
		.amdhsa_system_vgpr_workitem_id 2
		.amdhsa_next_free_vgpr 33
		.amdhsa_next_free_sgpr 30
		.amdhsa_accum_offset 36
		.amdhsa_reserve_vcc 1
		.amdhsa_reserve_flat_scratch 0
		.amdhsa_float_round_mode_32 0
		.amdhsa_float_round_mode_16_64 0
		.amdhsa_float_denorm_mode_32 3
		.amdhsa_float_denorm_mode_16_64 3
		.amdhsa_dx10_clamp 1
		.amdhsa_ieee_mode 1
		.amdhsa_fp16_overflow 0
		.amdhsa_tg_split 0
		.amdhsa_exception_fp_ieee_invalid_op 0
		.amdhsa_exception_fp_denorm_src 0
		.amdhsa_exception_fp_ieee_div_zero 0
		.amdhsa_exception_fp_ieee_overflow 0
		.amdhsa_exception_fp_ieee_underflow 0
		.amdhsa_exception_fp_ieee_inexact 0
		.amdhsa_exception_int_div_zero 0
	.end_amdhsa_kernel
	.section	.text._ZN9rocsparseL21csrmvt_general_kernelILj256ELj8Eli21rocsparse_complex_numIfES1_IdES3_S3_EEvbbT2_NS_24const_host_device_scalarIT6_EEPKT1_SA_PKS4_PKT3_PKT4_PT5_21rocsparse_index_base_b,"axG",@progbits,_ZN9rocsparseL21csrmvt_general_kernelILj256ELj8Eli21rocsparse_complex_numIfES1_IdES3_S3_EEvbbT2_NS_24const_host_device_scalarIT6_EEPKT1_SA_PKS4_PKT3_PKT4_PT5_21rocsparse_index_base_b,comdat
.Lfunc_end381:
	.size	_ZN9rocsparseL21csrmvt_general_kernelILj256ELj8Eli21rocsparse_complex_numIfES1_IdES3_S3_EEvbbT2_NS_24const_host_device_scalarIT6_EEPKT1_SA_PKS4_PKT3_PKT4_PT5_21rocsparse_index_base_b, .Lfunc_end381-_ZN9rocsparseL21csrmvt_general_kernelILj256ELj8Eli21rocsparse_complex_numIfES1_IdES3_S3_EEvbbT2_NS_24const_host_device_scalarIT6_EEPKT1_SA_PKS4_PKT3_PKT4_PT5_21rocsparse_index_base_b
                                        ; -- End function
	.section	.AMDGPU.csdata,"",@progbits
; Kernel info:
; codeLenInByte = 1316
; NumSgprs: 34
; NumVgprs: 33
; NumAgprs: 0
; TotalNumVgprs: 33
; ScratchSize: 0
; MemoryBound: 0
; FloatMode: 240
; IeeeMode: 1
; LDSByteSize: 2048 bytes/workgroup (compile time only)
; SGPRBlocks: 4
; VGPRBlocks: 4
; NumSGPRsForWavesPerEU: 34
; NumVGPRsForWavesPerEU: 33
; AccumOffset: 36
; Occupancy: 8
; WaveLimiterHint : 1
; COMPUTE_PGM_RSRC2:SCRATCH_EN: 0
; COMPUTE_PGM_RSRC2:USER_SGPR: 8
; COMPUTE_PGM_RSRC2:TRAP_HANDLER: 0
; COMPUTE_PGM_RSRC2:TGID_X_EN: 1
; COMPUTE_PGM_RSRC2:TGID_Y_EN: 0
; COMPUTE_PGM_RSRC2:TGID_Z_EN: 0
; COMPUTE_PGM_RSRC2:TIDIG_COMP_CNT: 2
; COMPUTE_PGM_RSRC3_GFX90A:ACCUM_OFFSET: 8
; COMPUTE_PGM_RSRC3_GFX90A:TG_SPLIT: 0
	.section	.text._ZN9rocsparseL21csrmvt_general_kernelILj256ELj16Eli21rocsparse_complex_numIfES1_IdES3_S3_EEvbbT2_NS_24const_host_device_scalarIT6_EEPKT1_SA_PKS4_PKT3_PKT4_PT5_21rocsparse_index_base_b,"axG",@progbits,_ZN9rocsparseL21csrmvt_general_kernelILj256ELj16Eli21rocsparse_complex_numIfES1_IdES3_S3_EEvbbT2_NS_24const_host_device_scalarIT6_EEPKT1_SA_PKS4_PKT3_PKT4_PT5_21rocsparse_index_base_b,comdat
	.globl	_ZN9rocsparseL21csrmvt_general_kernelILj256ELj16Eli21rocsparse_complex_numIfES1_IdES3_S3_EEvbbT2_NS_24const_host_device_scalarIT6_EEPKT1_SA_PKS4_PKT3_PKT4_PT5_21rocsparse_index_base_b ; -- Begin function _ZN9rocsparseL21csrmvt_general_kernelILj256ELj16Eli21rocsparse_complex_numIfES1_IdES3_S3_EEvbbT2_NS_24const_host_device_scalarIT6_EEPKT1_SA_PKS4_PKT3_PKT4_PT5_21rocsparse_index_base_b
	.p2align	8
	.type	_ZN9rocsparseL21csrmvt_general_kernelILj256ELj16Eli21rocsparse_complex_numIfES1_IdES3_S3_EEvbbT2_NS_24const_host_device_scalarIT6_EEPKT1_SA_PKS4_PKT3_PKT4_PT5_21rocsparse_index_base_b,@function
_ZN9rocsparseL21csrmvt_general_kernelILj256ELj16Eli21rocsparse_complex_numIfES1_IdES3_S3_EEvbbT2_NS_24const_host_device_scalarIT6_EEPKT1_SA_PKS4_PKT3_PKT4_PT5_21rocsparse_index_base_b: ; @_ZN9rocsparseL21csrmvt_general_kernelILj256ELj16Eli21rocsparse_complex_numIfES1_IdES3_S3_EEvbbT2_NS_24const_host_device_scalarIT6_EEPKT1_SA_PKS4_PKT3_PKT4_PT5_21rocsparse_index_base_b
; %bb.0:
	s_load_dwordx2 s[2:3], s[6:7], 0x48
	s_load_dwordx2 s[0:1], s[4:5], 0x4
	s_load_dwordx8 s[12:19], s[6:7], 0x8
	v_and_b32_e32 v1, 0x3ff, v0
	v_bfe_u32 v3, v0, 10, 10
	s_waitcnt lgkmcnt(0)
	s_and_b32 s3, 1, s3
	s_lshr_b32 s0, s0, 16
	s_mul_i32 s0, s0, s1
	v_mul_lo_u32 v2, s0, v1
	s_cmp_eq_u32 s3, 1
	v_mad_u32_u24 v2, v3, s1, v2
	v_bfe_u32 v0, v0, 20, 10
	v_add_lshl_u32 v0, v2, v0, 3
	v_pk_mov_b32 v[2:3], s[12:13], s[12:13] op_sel:[0,1]
	s_cselect_b64 vcc, -1, 0
	ds_write_b64 v0, v[2:3]
	s_mov_b64 s[0:1], src_shared_base
	v_cndmask_b32_e32 v2, v2, v0, vcc
	s_and_b64 vcc, vcc, exec
	s_cselect_b32 s0, s1, s13
	v_mov_b32_e32 v3, s0
	flat_load_dwordx2 v[4:5], v[2:3]
	v_pk_mov_b32 v[6:7], s[14:15], s[14:15] op_sel:[0,1]
	s_cbranch_vccnz .LBB382_2
; %bb.1:
	v_pk_mov_b32 v[2:3], s[12:13], s[12:13] op_sel:[0,1]
	flat_load_dwordx2 v[6:7], v[2:3] offset:8
.LBB382_2:
	s_waitcnt vmcnt(0) lgkmcnt(0)
	v_cmp_neq_f64_e32 vcc, 0, v[4:5]
	v_cmp_neq_f64_e64 s[0:1], 0, v[6:7]
	s_or_b64 s[0:1], vcc, s[0:1]
	s_and_saveexec_b64 s[4:5], s[0:1]
	s_cbranch_execz .LBB382_27
; %bb.3:
	s_load_dword s0, s[6:7], 0x0
	s_load_dwordx2 s[4:5], s[6:7], 0x0
	s_load_dword s1, s[6:7], 0x50
	s_load_dwordx8 s[20:27], s[6:7], 0x28
	v_lshl_or_b32 v0, s8, 8, v1
	s_waitcnt lgkmcnt(0)
	s_and_b32 s0, s0, 1
	s_bitcmp1_b32 s4, 8
	s_cselect_b64 s[6:7], -1, 0
	s_lshl_b32 s3, s1, 4
	v_lshrrev_b32_e32 v8, 4, v0
	s_cmp_eq_u32 s0, 0
	v_and_b32_e32 v9, 15, v1
	v_cmp_gt_i32_e64 s[0:1], s5, v8
	s_mov_b64 s[8:9], -1
	s_cbranch_scc0 .LBB382_15
; %bb.4:
	s_and_saveexec_b64 s[8:9], s[0:1]
	s_cbranch_execz .LBB382_14
; %bb.5:
	v_subrev_co_u32_e32 v28, vcc, s2, v9
	s_mov_b32 s4, 0
	v_subb_co_u32_e64 v29, s[10:11], 0, 0, vcc
	s_mov_b64 s[10:11], 0
	v_mov_b32_e32 v30, s17
	v_mov_b32_e32 v31, s19
	;; [unrolled: 1-line block ×4, first 2 shown]
	s_branch .LBB382_7
.LBB382_6:                              ;   in Loop: Header=BB382_7 Depth=1
	s_or_b64 exec, exec, s[12:13]
	v_add_u32_e32 v10, s3, v10
	v_cmp_le_i32_e32 vcc, s5, v10
	s_or_b64 s[10:11], vcc, s[10:11]
	s_andn2_b64 exec, exec, s[10:11]
	s_cbranch_execz .LBB382_14
.LBB382_7:                              ; =>This Loop Header: Depth=1
                                        ;     Child Loop BB382_9 Depth 2
                                        ;       Child Loop BB382_10 Depth 3
                                        ;       Child Loop BB382_12 Depth 3
	v_ashrrev_i32_e32 v11, 31, v10
	v_lshlrev_b64 v[0:1], 3, v[10:11]
	v_add_co_u32_e32 v2, vcc, s18, v0
	v_addc_co_u32_e32 v3, vcc, v31, v1, vcc
	global_load_dwordx2 v[2:3], v[2:3], off
	v_add_co_u32_e32 v0, vcc, s16, v0
	v_addc_co_u32_e32 v1, vcc, v30, v1, vcc
	global_load_dwordx2 v[0:1], v[0:1], off
	s_waitcnt vmcnt(1)
	v_subrev_co_u32_e32 v12, vcc, s2, v2
	v_subb_co_u32_e32 v13, vcc, v3, v32, vcc
	s_waitcnt vmcnt(0)
	v_add_co_u32_e32 v14, vcc, v0, v28
	v_addc_co_u32_e32 v15, vcc, v1, v29, vcc
	v_cmp_lt_i64_e32 vcc, v[14:15], v[12:13]
	s_and_saveexec_b64 s[12:13], vcc
	s_cbranch_execz .LBB382_6
; %bb.8:                                ;   in Loop: Header=BB382_7 Depth=1
	v_lshlrev_b64 v[0:1], 4, v[10:11]
	v_mov_b32_e32 v2, s25
	v_add_co_u32_e32 v0, vcc, s24, v0
	v_addc_co_u32_e32 v1, vcc, v2, v1, vcc
	global_load_dwordx4 v[0:3], v[0:1], off
	s_mov_b64 s[14:15], 0
	s_waitcnt vmcnt(0)
	v_mul_f64 v[16:17], v[2:3], -v[6:7]
	v_mul_f64 v[18:19], v[4:5], v[2:3]
	v_fmac_f64_e32 v[16:17], v[4:5], v[0:1]
	v_fmac_f64_e32 v[18:19], v[6:7], v[0:1]
.LBB382_9:                              ;   Parent Loop BB382_7 Depth=1
                                        ; =>  This Loop Header: Depth=2
                                        ;       Child Loop BB382_10 Depth 3
                                        ;       Child Loop BB382_12 Depth 3
	v_lshlrev_b64 v[0:1], 2, v[14:15]
	v_mov_b32_e32 v2, s21
	v_add_co_u32_e32 v0, vcc, s20, v0
	v_addc_co_u32_e32 v1, vcc, v2, v1, vcc
	global_load_dword v2, v[0:1], off
	v_lshlrev_b64 v[0:1], 3, v[14:15]
	v_mov_b32_e32 v3, s23
	v_add_co_u32_e32 v0, vcc, s22, v0
	v_addc_co_u32_e32 v1, vcc, v3, v1, vcc
	global_load_dwordx2 v[0:1], v[0:1], off
	v_mov_b32_e32 v11, s27
	s_mov_b64 s[28:29], 0
	s_waitcnt vmcnt(1)
	v_subrev_u32_e32 v2, s2, v2
	v_ashrrev_i32_e32 v3, 31, v2
	v_lshlrev_b64 v[2:3], 4, v[2:3]
	v_add_co_u32_e32 v20, vcc, s26, v2
	v_addc_co_u32_e32 v21, vcc, v11, v3, vcc
	global_load_dwordx2 v[2:3], v[20:21], off
	s_waitcnt vmcnt(1)
	v_cndmask_b32_e64 v1, v1, -v1, s[6:7]
	v_cvt_f64_f32_e32 v[24:25], v1
	v_cvt_f64_f32_e32 v[22:23], v0
	v_mul_f64 v[26:27], -v[18:19], v[24:25]
	v_fmac_f64_e32 v[26:27], v[16:17], v[22:23]
.LBB382_10:                             ;   Parent Loop BB382_7 Depth=1
                                        ;     Parent Loop BB382_9 Depth=2
                                        ; =>    This Inner Loop Header: Depth=3
	s_waitcnt vmcnt(0)
	v_add_f64 v[0:1], v[2:3], v[26:27]
	global_atomic_cmpswap_x2 v[0:1], v[20:21], v[0:3], off glc
	s_waitcnt vmcnt(0)
	v_cmp_eq_u64_e32 vcc, v[0:1], v[2:3]
	s_or_b64 s[28:29], vcc, s[28:29]
	v_pk_mov_b32 v[2:3], v[0:1], v[0:1] op_sel:[0,1]
	s_andn2_b64 exec, exec, s[28:29]
	s_cbranch_execnz .LBB382_10
; %bb.11:                               ;   in Loop: Header=BB382_9 Depth=2
	s_or_b64 exec, exec, s[28:29]
	global_load_dwordx2 v[2:3], v[20:21], off offset:8
	v_mul_f64 v[24:25], v[16:17], v[24:25]
	v_fmac_f64_e32 v[24:25], v[18:19], v[22:23]
	s_mov_b64 s[28:29], 0
.LBB382_12:                             ;   Parent Loop BB382_7 Depth=1
                                        ;     Parent Loop BB382_9 Depth=2
                                        ; =>    This Inner Loop Header: Depth=3
	s_waitcnt vmcnt(0)
	v_add_f64 v[0:1], v[2:3], v[24:25]
	global_atomic_cmpswap_x2 v[0:1], v[20:21], v[0:3], off offset:8 glc
	s_waitcnt vmcnt(0)
	v_cmp_eq_u64_e32 vcc, v[0:1], v[2:3]
	s_or_b64 s[28:29], vcc, s[28:29]
	v_pk_mov_b32 v[2:3], v[0:1], v[0:1] op_sel:[0,1]
	s_andn2_b64 exec, exec, s[28:29]
	s_cbranch_execnz .LBB382_12
; %bb.13:                               ;   in Loop: Header=BB382_9 Depth=2
	s_or_b64 exec, exec, s[28:29]
	v_add_co_u32_e32 v14, vcc, 16, v14
	v_addc_co_u32_e32 v15, vcc, 0, v15, vcc
	v_cmp_ge_i64_e32 vcc, v[14:15], v[12:13]
	s_or_b64 s[14:15], vcc, s[14:15]
	s_andn2_b64 exec, exec, s[14:15]
	s_cbranch_execnz .LBB382_9
	s_branch .LBB382_6
.LBB382_14:
	s_or_b64 exec, exec, s[8:9]
	s_mov_b64 s[8:9], 0
.LBB382_15:
	s_andn2_b64 vcc, exec, s[8:9]
	s_cbranch_vccnz .LBB382_27
; %bb.16:
	s_and_b64 exec, exec, s[0:1]
	s_cbranch_execz .LBB382_27
; %bb.17:
	v_subrev_co_u32_e32 v26, vcc, s2, v9
	s_mov_b32 s4, 0
	v_subb_co_u32_e64 v27, s[0:1], 0, 0, vcc
	s_mov_b64 s[0:1], 0
	v_mov_b32_e32 v28, s17
	v_mov_b32_e32 v29, s19
	;; [unrolled: 1-line block ×3, first 2 shown]
	s_branch .LBB382_19
.LBB382_18:                             ;   in Loop: Header=BB382_19 Depth=1
	s_or_b64 exec, exec, s[8:9]
	v_add_u32_e32 v8, s3, v8
	v_cmp_le_i32_e32 vcc, s5, v8
	s_or_b64 s[0:1], vcc, s[0:1]
	s_andn2_b64 exec, exec, s[0:1]
	s_cbranch_execz .LBB382_27
.LBB382_19:                             ; =>This Loop Header: Depth=1
                                        ;     Child Loop BB382_22 Depth 2
                                        ;       Child Loop BB382_24 Depth 3
                                        ;       Child Loop BB382_26 Depth 3
	v_ashrrev_i32_e32 v9, 31, v8
	v_lshlrev_b64 v[0:1], 3, v[8:9]
	v_add_co_u32_e32 v2, vcc, s18, v0
	v_addc_co_u32_e32 v3, vcc, v29, v1, vcc
	global_load_dwordx2 v[2:3], v[2:3], off
	v_add_co_u32_e32 v0, vcc, s16, v0
	v_addc_co_u32_e32 v1, vcc, v28, v1, vcc
	global_load_dwordx2 v[0:1], v[0:1], off
	s_waitcnt vmcnt(1)
	v_subrev_co_u32_e32 v10, vcc, s2, v2
	v_subb_co_u32_e32 v11, vcc, v3, v30, vcc
	s_waitcnt vmcnt(0)
	v_add_co_u32_e32 v12, vcc, v0, v26
	v_addc_co_u32_e32 v13, vcc, v1, v27, vcc
	v_cmp_lt_i64_e32 vcc, v[12:13], v[10:11]
	s_and_saveexec_b64 s[8:9], vcc
	s_cbranch_execz .LBB382_18
; %bb.20:                               ;   in Loop: Header=BB382_19 Depth=1
	v_lshlrev_b64 v[0:1], 4, v[8:9]
	v_mov_b32_e32 v2, s25
	v_add_co_u32_e32 v0, vcc, s24, v0
	v_addc_co_u32_e32 v1, vcc, v2, v1, vcc
	global_load_dwordx4 v[0:3], v[0:1], off
	s_mov_b64 s[10:11], 0
	s_waitcnt vmcnt(0)
	v_mul_f64 v[14:15], v[2:3], -v[6:7]
	v_mul_f64 v[16:17], v[4:5], v[2:3]
	v_fmac_f64_e32 v[14:15], v[4:5], v[0:1]
	v_fmac_f64_e32 v[16:17], v[6:7], v[0:1]
	s_branch .LBB382_22
.LBB382_21:                             ;   in Loop: Header=BB382_22 Depth=2
	s_or_b64 exec, exec, s[12:13]
	v_add_co_u32_e32 v12, vcc, 16, v12
	v_addc_co_u32_e32 v13, vcc, 0, v13, vcc
	v_cmp_ge_i64_e32 vcc, v[12:13], v[10:11]
	s_or_b64 s[10:11], vcc, s[10:11]
	s_andn2_b64 exec, exec, s[10:11]
	s_cbranch_execz .LBB382_18
.LBB382_22:                             ;   Parent Loop BB382_19 Depth=1
                                        ; =>  This Loop Header: Depth=2
                                        ;       Child Loop BB382_24 Depth 3
                                        ;       Child Loop BB382_26 Depth 3
	v_lshlrev_b64 v[0:1], 2, v[12:13]
	v_mov_b32_e32 v2, s21
	v_add_co_u32_e32 v0, vcc, s20, v0
	v_addc_co_u32_e32 v1, vcc, v2, v1, vcc
	global_load_dword v0, v[0:1], off
	s_waitcnt vmcnt(0)
	v_subrev_u32_e32 v0, s2, v0
	v_cmp_ne_u32_e32 vcc, v0, v8
	s_and_saveexec_b64 s[12:13], vcc
	s_cbranch_execz .LBB382_21
; %bb.23:                               ;   in Loop: Header=BB382_22 Depth=2
	v_lshlrev_b64 v[2:3], 3, v[12:13]
	v_mov_b32_e32 v1, s23
	v_add_co_u32_e32 v2, vcc, s22, v2
	v_addc_co_u32_e32 v3, vcc, v1, v3, vcc
	global_load_dwordx2 v[20:21], v[2:3], off
	v_ashrrev_i32_e32 v1, 31, v0
	v_lshlrev_b64 v[0:1], 4, v[0:1]
	v_mov_b32_e32 v2, s27
	v_add_co_u32_e32 v18, vcc, s26, v0
	v_addc_co_u32_e32 v19, vcc, v2, v1, vcc
	global_load_dwordx2 v[2:3], v[18:19], off
	s_mov_b64 s[14:15], 0
	s_waitcnt vmcnt(1)
	v_cndmask_b32_e64 v0, v21, -v21, s[6:7]
	v_cvt_f64_f32_e32 v[22:23], v0
	v_cvt_f64_f32_e32 v[20:21], v20
	v_mul_f64 v[24:25], -v[16:17], v[22:23]
	v_fmac_f64_e32 v[24:25], v[14:15], v[20:21]
.LBB382_24:                             ;   Parent Loop BB382_19 Depth=1
                                        ;     Parent Loop BB382_22 Depth=2
                                        ; =>    This Inner Loop Header: Depth=3
	s_waitcnt vmcnt(0)
	v_add_f64 v[0:1], v[2:3], v[24:25]
	global_atomic_cmpswap_x2 v[0:1], v[18:19], v[0:3], off glc
	s_waitcnt vmcnt(0)
	v_cmp_eq_u64_e32 vcc, v[0:1], v[2:3]
	s_or_b64 s[14:15], vcc, s[14:15]
	v_pk_mov_b32 v[2:3], v[0:1], v[0:1] op_sel:[0,1]
	s_andn2_b64 exec, exec, s[14:15]
	s_cbranch_execnz .LBB382_24
; %bb.25:                               ;   in Loop: Header=BB382_22 Depth=2
	s_or_b64 exec, exec, s[14:15]
	global_load_dwordx2 v[2:3], v[18:19], off offset:8
	v_mul_f64 v[22:23], v[14:15], v[22:23]
	v_fmac_f64_e32 v[22:23], v[16:17], v[20:21]
	s_mov_b64 s[14:15], 0
.LBB382_26:                             ;   Parent Loop BB382_19 Depth=1
                                        ;     Parent Loop BB382_22 Depth=2
                                        ; =>    This Inner Loop Header: Depth=3
	s_waitcnt vmcnt(0)
	v_add_f64 v[0:1], v[2:3], v[22:23]
	global_atomic_cmpswap_x2 v[0:1], v[18:19], v[0:3], off offset:8 glc
	s_waitcnt vmcnt(0)
	v_cmp_eq_u64_e32 vcc, v[0:1], v[2:3]
	s_or_b64 s[14:15], vcc, s[14:15]
	v_pk_mov_b32 v[2:3], v[0:1], v[0:1] op_sel:[0,1]
	s_andn2_b64 exec, exec, s[14:15]
	s_cbranch_execnz .LBB382_26
	s_branch .LBB382_21
.LBB382_27:
	s_endpgm
	.section	.rodata,"a",@progbits
	.p2align	6, 0x0
	.amdhsa_kernel _ZN9rocsparseL21csrmvt_general_kernelILj256ELj16Eli21rocsparse_complex_numIfES1_IdES3_S3_EEvbbT2_NS_24const_host_device_scalarIT6_EEPKT1_SA_PKS4_PKT3_PKT4_PT5_21rocsparse_index_base_b
		.amdhsa_group_segment_fixed_size 2048
		.amdhsa_private_segment_fixed_size 0
		.amdhsa_kernarg_size 336
		.amdhsa_user_sgpr_count 8
		.amdhsa_user_sgpr_private_segment_buffer 1
		.amdhsa_user_sgpr_dispatch_ptr 1
		.amdhsa_user_sgpr_queue_ptr 0
		.amdhsa_user_sgpr_kernarg_segment_ptr 1
		.amdhsa_user_sgpr_dispatch_id 0
		.amdhsa_user_sgpr_flat_scratch_init 0
		.amdhsa_user_sgpr_kernarg_preload_length 0
		.amdhsa_user_sgpr_kernarg_preload_offset 0
		.amdhsa_user_sgpr_private_segment_size 0
		.amdhsa_uses_dynamic_stack 0
		.amdhsa_system_sgpr_private_segment_wavefront_offset 0
		.amdhsa_system_sgpr_workgroup_id_x 1
		.amdhsa_system_sgpr_workgroup_id_y 0
		.amdhsa_system_sgpr_workgroup_id_z 0
		.amdhsa_system_sgpr_workgroup_info 0
		.amdhsa_system_vgpr_workitem_id 2
		.amdhsa_next_free_vgpr 33
		.amdhsa_next_free_sgpr 30
		.amdhsa_accum_offset 36
		.amdhsa_reserve_vcc 1
		.amdhsa_reserve_flat_scratch 0
		.amdhsa_float_round_mode_32 0
		.amdhsa_float_round_mode_16_64 0
		.amdhsa_float_denorm_mode_32 3
		.amdhsa_float_denorm_mode_16_64 3
		.amdhsa_dx10_clamp 1
		.amdhsa_ieee_mode 1
		.amdhsa_fp16_overflow 0
		.amdhsa_tg_split 0
		.amdhsa_exception_fp_ieee_invalid_op 0
		.amdhsa_exception_fp_denorm_src 0
		.amdhsa_exception_fp_ieee_div_zero 0
		.amdhsa_exception_fp_ieee_overflow 0
		.amdhsa_exception_fp_ieee_underflow 0
		.amdhsa_exception_fp_ieee_inexact 0
		.amdhsa_exception_int_div_zero 0
	.end_amdhsa_kernel
	.section	.text._ZN9rocsparseL21csrmvt_general_kernelILj256ELj16Eli21rocsparse_complex_numIfES1_IdES3_S3_EEvbbT2_NS_24const_host_device_scalarIT6_EEPKT1_SA_PKS4_PKT3_PKT4_PT5_21rocsparse_index_base_b,"axG",@progbits,_ZN9rocsparseL21csrmvt_general_kernelILj256ELj16Eli21rocsparse_complex_numIfES1_IdES3_S3_EEvbbT2_NS_24const_host_device_scalarIT6_EEPKT1_SA_PKS4_PKT3_PKT4_PT5_21rocsparse_index_base_b,comdat
.Lfunc_end382:
	.size	_ZN9rocsparseL21csrmvt_general_kernelILj256ELj16Eli21rocsparse_complex_numIfES1_IdES3_S3_EEvbbT2_NS_24const_host_device_scalarIT6_EEPKT1_SA_PKS4_PKT3_PKT4_PT5_21rocsparse_index_base_b, .Lfunc_end382-_ZN9rocsparseL21csrmvt_general_kernelILj256ELj16Eli21rocsparse_complex_numIfES1_IdES3_S3_EEvbbT2_NS_24const_host_device_scalarIT6_EEPKT1_SA_PKS4_PKT3_PKT4_PT5_21rocsparse_index_base_b
                                        ; -- End function
	.section	.AMDGPU.csdata,"",@progbits
; Kernel info:
; codeLenInByte = 1316
; NumSgprs: 34
; NumVgprs: 33
; NumAgprs: 0
; TotalNumVgprs: 33
; ScratchSize: 0
; MemoryBound: 0
; FloatMode: 240
; IeeeMode: 1
; LDSByteSize: 2048 bytes/workgroup (compile time only)
; SGPRBlocks: 4
; VGPRBlocks: 4
; NumSGPRsForWavesPerEU: 34
; NumVGPRsForWavesPerEU: 33
; AccumOffset: 36
; Occupancy: 8
; WaveLimiterHint : 1
; COMPUTE_PGM_RSRC2:SCRATCH_EN: 0
; COMPUTE_PGM_RSRC2:USER_SGPR: 8
; COMPUTE_PGM_RSRC2:TRAP_HANDLER: 0
; COMPUTE_PGM_RSRC2:TGID_X_EN: 1
; COMPUTE_PGM_RSRC2:TGID_Y_EN: 0
; COMPUTE_PGM_RSRC2:TGID_Z_EN: 0
; COMPUTE_PGM_RSRC2:TIDIG_COMP_CNT: 2
; COMPUTE_PGM_RSRC3_GFX90A:ACCUM_OFFSET: 8
; COMPUTE_PGM_RSRC3_GFX90A:TG_SPLIT: 0
	.section	.text._ZN9rocsparseL21csrmvt_general_kernelILj256ELj32Eli21rocsparse_complex_numIfES1_IdES3_S3_EEvbbT2_NS_24const_host_device_scalarIT6_EEPKT1_SA_PKS4_PKT3_PKT4_PT5_21rocsparse_index_base_b,"axG",@progbits,_ZN9rocsparseL21csrmvt_general_kernelILj256ELj32Eli21rocsparse_complex_numIfES1_IdES3_S3_EEvbbT2_NS_24const_host_device_scalarIT6_EEPKT1_SA_PKS4_PKT3_PKT4_PT5_21rocsparse_index_base_b,comdat
	.globl	_ZN9rocsparseL21csrmvt_general_kernelILj256ELj32Eli21rocsparse_complex_numIfES1_IdES3_S3_EEvbbT2_NS_24const_host_device_scalarIT6_EEPKT1_SA_PKS4_PKT3_PKT4_PT5_21rocsparse_index_base_b ; -- Begin function _ZN9rocsparseL21csrmvt_general_kernelILj256ELj32Eli21rocsparse_complex_numIfES1_IdES3_S3_EEvbbT2_NS_24const_host_device_scalarIT6_EEPKT1_SA_PKS4_PKT3_PKT4_PT5_21rocsparse_index_base_b
	.p2align	8
	.type	_ZN9rocsparseL21csrmvt_general_kernelILj256ELj32Eli21rocsparse_complex_numIfES1_IdES3_S3_EEvbbT2_NS_24const_host_device_scalarIT6_EEPKT1_SA_PKS4_PKT3_PKT4_PT5_21rocsparse_index_base_b,@function
_ZN9rocsparseL21csrmvt_general_kernelILj256ELj32Eli21rocsparse_complex_numIfES1_IdES3_S3_EEvbbT2_NS_24const_host_device_scalarIT6_EEPKT1_SA_PKS4_PKT3_PKT4_PT5_21rocsparse_index_base_b: ; @_ZN9rocsparseL21csrmvt_general_kernelILj256ELj32Eli21rocsparse_complex_numIfES1_IdES3_S3_EEvbbT2_NS_24const_host_device_scalarIT6_EEPKT1_SA_PKS4_PKT3_PKT4_PT5_21rocsparse_index_base_b
; %bb.0:
	s_load_dwordx2 s[2:3], s[6:7], 0x48
	s_load_dwordx2 s[0:1], s[4:5], 0x4
	s_load_dwordx8 s[12:19], s[6:7], 0x8
	v_and_b32_e32 v1, 0x3ff, v0
	v_bfe_u32 v3, v0, 10, 10
	s_waitcnt lgkmcnt(0)
	s_and_b32 s3, 1, s3
	s_lshr_b32 s0, s0, 16
	s_mul_i32 s0, s0, s1
	v_mul_lo_u32 v2, s0, v1
	s_cmp_eq_u32 s3, 1
	v_mad_u32_u24 v2, v3, s1, v2
	v_bfe_u32 v0, v0, 20, 10
	v_add_lshl_u32 v0, v2, v0, 3
	v_pk_mov_b32 v[2:3], s[12:13], s[12:13] op_sel:[0,1]
	s_cselect_b64 vcc, -1, 0
	ds_write_b64 v0, v[2:3]
	s_mov_b64 s[0:1], src_shared_base
	v_cndmask_b32_e32 v2, v2, v0, vcc
	s_and_b64 vcc, vcc, exec
	s_cselect_b32 s0, s1, s13
	v_mov_b32_e32 v3, s0
	flat_load_dwordx2 v[4:5], v[2:3]
	v_pk_mov_b32 v[6:7], s[14:15], s[14:15] op_sel:[0,1]
	s_cbranch_vccnz .LBB383_2
; %bb.1:
	v_pk_mov_b32 v[2:3], s[12:13], s[12:13] op_sel:[0,1]
	flat_load_dwordx2 v[6:7], v[2:3] offset:8
.LBB383_2:
	s_waitcnt vmcnt(0) lgkmcnt(0)
	v_cmp_neq_f64_e32 vcc, 0, v[4:5]
	v_cmp_neq_f64_e64 s[0:1], 0, v[6:7]
	s_or_b64 s[0:1], vcc, s[0:1]
	s_and_saveexec_b64 s[4:5], s[0:1]
	s_cbranch_execz .LBB383_27
; %bb.3:
	s_load_dword s0, s[6:7], 0x0
	s_load_dwordx2 s[4:5], s[6:7], 0x0
	s_load_dword s1, s[6:7], 0x50
	s_load_dwordx8 s[20:27], s[6:7], 0x28
	v_lshl_or_b32 v0, s8, 8, v1
	s_waitcnt lgkmcnt(0)
	s_and_b32 s0, s0, 1
	s_bitcmp1_b32 s4, 8
	s_cselect_b64 s[6:7], -1, 0
	s_lshl_b32 s3, s1, 3
	v_lshrrev_b32_e32 v8, 5, v0
	s_cmp_eq_u32 s0, 0
	v_and_b32_e32 v9, 31, v1
	v_cmp_gt_i32_e64 s[0:1], s5, v8
	s_mov_b64 s[8:9], -1
	s_cbranch_scc0 .LBB383_15
; %bb.4:
	s_and_saveexec_b64 s[8:9], s[0:1]
	s_cbranch_execz .LBB383_14
; %bb.5:
	v_subrev_co_u32_e32 v28, vcc, s2, v9
	s_mov_b32 s4, 0
	v_subb_co_u32_e64 v29, s[10:11], 0, 0, vcc
	s_mov_b64 s[10:11], 0
	v_mov_b32_e32 v30, s17
	v_mov_b32_e32 v31, s19
	;; [unrolled: 1-line block ×4, first 2 shown]
	s_branch .LBB383_7
.LBB383_6:                              ;   in Loop: Header=BB383_7 Depth=1
	s_or_b64 exec, exec, s[12:13]
	v_add_u32_e32 v10, s3, v10
	v_cmp_le_i32_e32 vcc, s5, v10
	s_or_b64 s[10:11], vcc, s[10:11]
	s_andn2_b64 exec, exec, s[10:11]
	s_cbranch_execz .LBB383_14
.LBB383_7:                              ; =>This Loop Header: Depth=1
                                        ;     Child Loop BB383_9 Depth 2
                                        ;       Child Loop BB383_10 Depth 3
                                        ;       Child Loop BB383_12 Depth 3
	v_ashrrev_i32_e32 v11, 31, v10
	v_lshlrev_b64 v[0:1], 3, v[10:11]
	v_add_co_u32_e32 v2, vcc, s18, v0
	v_addc_co_u32_e32 v3, vcc, v31, v1, vcc
	global_load_dwordx2 v[2:3], v[2:3], off
	v_add_co_u32_e32 v0, vcc, s16, v0
	v_addc_co_u32_e32 v1, vcc, v30, v1, vcc
	global_load_dwordx2 v[0:1], v[0:1], off
	s_waitcnt vmcnt(1)
	v_subrev_co_u32_e32 v12, vcc, s2, v2
	v_subb_co_u32_e32 v13, vcc, v3, v32, vcc
	s_waitcnt vmcnt(0)
	v_add_co_u32_e32 v14, vcc, v0, v28
	v_addc_co_u32_e32 v15, vcc, v1, v29, vcc
	v_cmp_lt_i64_e32 vcc, v[14:15], v[12:13]
	s_and_saveexec_b64 s[12:13], vcc
	s_cbranch_execz .LBB383_6
; %bb.8:                                ;   in Loop: Header=BB383_7 Depth=1
	v_lshlrev_b64 v[0:1], 4, v[10:11]
	v_mov_b32_e32 v2, s25
	v_add_co_u32_e32 v0, vcc, s24, v0
	v_addc_co_u32_e32 v1, vcc, v2, v1, vcc
	global_load_dwordx4 v[0:3], v[0:1], off
	s_mov_b64 s[14:15], 0
	s_waitcnt vmcnt(0)
	v_mul_f64 v[16:17], v[2:3], -v[6:7]
	v_mul_f64 v[18:19], v[4:5], v[2:3]
	v_fmac_f64_e32 v[16:17], v[4:5], v[0:1]
	v_fmac_f64_e32 v[18:19], v[6:7], v[0:1]
.LBB383_9:                              ;   Parent Loop BB383_7 Depth=1
                                        ; =>  This Loop Header: Depth=2
                                        ;       Child Loop BB383_10 Depth 3
                                        ;       Child Loop BB383_12 Depth 3
	v_lshlrev_b64 v[0:1], 2, v[14:15]
	v_mov_b32_e32 v2, s21
	v_add_co_u32_e32 v0, vcc, s20, v0
	v_addc_co_u32_e32 v1, vcc, v2, v1, vcc
	global_load_dword v2, v[0:1], off
	v_lshlrev_b64 v[0:1], 3, v[14:15]
	v_mov_b32_e32 v3, s23
	v_add_co_u32_e32 v0, vcc, s22, v0
	v_addc_co_u32_e32 v1, vcc, v3, v1, vcc
	global_load_dwordx2 v[0:1], v[0:1], off
	v_mov_b32_e32 v11, s27
	s_mov_b64 s[28:29], 0
	s_waitcnt vmcnt(1)
	v_subrev_u32_e32 v2, s2, v2
	v_ashrrev_i32_e32 v3, 31, v2
	v_lshlrev_b64 v[2:3], 4, v[2:3]
	v_add_co_u32_e32 v20, vcc, s26, v2
	v_addc_co_u32_e32 v21, vcc, v11, v3, vcc
	global_load_dwordx2 v[2:3], v[20:21], off
	s_waitcnt vmcnt(1)
	v_cndmask_b32_e64 v1, v1, -v1, s[6:7]
	v_cvt_f64_f32_e32 v[24:25], v1
	v_cvt_f64_f32_e32 v[22:23], v0
	v_mul_f64 v[26:27], -v[18:19], v[24:25]
	v_fmac_f64_e32 v[26:27], v[16:17], v[22:23]
.LBB383_10:                             ;   Parent Loop BB383_7 Depth=1
                                        ;     Parent Loop BB383_9 Depth=2
                                        ; =>    This Inner Loop Header: Depth=3
	s_waitcnt vmcnt(0)
	v_add_f64 v[0:1], v[2:3], v[26:27]
	global_atomic_cmpswap_x2 v[0:1], v[20:21], v[0:3], off glc
	s_waitcnt vmcnt(0)
	v_cmp_eq_u64_e32 vcc, v[0:1], v[2:3]
	s_or_b64 s[28:29], vcc, s[28:29]
	v_pk_mov_b32 v[2:3], v[0:1], v[0:1] op_sel:[0,1]
	s_andn2_b64 exec, exec, s[28:29]
	s_cbranch_execnz .LBB383_10
; %bb.11:                               ;   in Loop: Header=BB383_9 Depth=2
	s_or_b64 exec, exec, s[28:29]
	global_load_dwordx2 v[2:3], v[20:21], off offset:8
	v_mul_f64 v[24:25], v[16:17], v[24:25]
	v_fmac_f64_e32 v[24:25], v[18:19], v[22:23]
	s_mov_b64 s[28:29], 0
.LBB383_12:                             ;   Parent Loop BB383_7 Depth=1
                                        ;     Parent Loop BB383_9 Depth=2
                                        ; =>    This Inner Loop Header: Depth=3
	s_waitcnt vmcnt(0)
	v_add_f64 v[0:1], v[2:3], v[24:25]
	global_atomic_cmpswap_x2 v[0:1], v[20:21], v[0:3], off offset:8 glc
	s_waitcnt vmcnt(0)
	v_cmp_eq_u64_e32 vcc, v[0:1], v[2:3]
	s_or_b64 s[28:29], vcc, s[28:29]
	v_pk_mov_b32 v[2:3], v[0:1], v[0:1] op_sel:[0,1]
	s_andn2_b64 exec, exec, s[28:29]
	s_cbranch_execnz .LBB383_12
; %bb.13:                               ;   in Loop: Header=BB383_9 Depth=2
	s_or_b64 exec, exec, s[28:29]
	v_add_co_u32_e32 v14, vcc, 32, v14
	v_addc_co_u32_e32 v15, vcc, 0, v15, vcc
	v_cmp_ge_i64_e32 vcc, v[14:15], v[12:13]
	s_or_b64 s[14:15], vcc, s[14:15]
	s_andn2_b64 exec, exec, s[14:15]
	s_cbranch_execnz .LBB383_9
	s_branch .LBB383_6
.LBB383_14:
	s_or_b64 exec, exec, s[8:9]
	s_mov_b64 s[8:9], 0
.LBB383_15:
	s_andn2_b64 vcc, exec, s[8:9]
	s_cbranch_vccnz .LBB383_27
; %bb.16:
	s_and_b64 exec, exec, s[0:1]
	s_cbranch_execz .LBB383_27
; %bb.17:
	v_subrev_co_u32_e32 v26, vcc, s2, v9
	s_mov_b32 s4, 0
	v_subb_co_u32_e64 v27, s[0:1], 0, 0, vcc
	s_mov_b64 s[0:1], 0
	v_mov_b32_e32 v28, s17
	v_mov_b32_e32 v29, s19
	;; [unrolled: 1-line block ×3, first 2 shown]
	s_branch .LBB383_19
.LBB383_18:                             ;   in Loop: Header=BB383_19 Depth=1
	s_or_b64 exec, exec, s[8:9]
	v_add_u32_e32 v8, s3, v8
	v_cmp_le_i32_e32 vcc, s5, v8
	s_or_b64 s[0:1], vcc, s[0:1]
	s_andn2_b64 exec, exec, s[0:1]
	s_cbranch_execz .LBB383_27
.LBB383_19:                             ; =>This Loop Header: Depth=1
                                        ;     Child Loop BB383_22 Depth 2
                                        ;       Child Loop BB383_24 Depth 3
                                        ;       Child Loop BB383_26 Depth 3
	v_ashrrev_i32_e32 v9, 31, v8
	v_lshlrev_b64 v[0:1], 3, v[8:9]
	v_add_co_u32_e32 v2, vcc, s18, v0
	v_addc_co_u32_e32 v3, vcc, v29, v1, vcc
	global_load_dwordx2 v[2:3], v[2:3], off
	v_add_co_u32_e32 v0, vcc, s16, v0
	v_addc_co_u32_e32 v1, vcc, v28, v1, vcc
	global_load_dwordx2 v[0:1], v[0:1], off
	s_waitcnt vmcnt(1)
	v_subrev_co_u32_e32 v10, vcc, s2, v2
	v_subb_co_u32_e32 v11, vcc, v3, v30, vcc
	s_waitcnt vmcnt(0)
	v_add_co_u32_e32 v12, vcc, v0, v26
	v_addc_co_u32_e32 v13, vcc, v1, v27, vcc
	v_cmp_lt_i64_e32 vcc, v[12:13], v[10:11]
	s_and_saveexec_b64 s[8:9], vcc
	s_cbranch_execz .LBB383_18
; %bb.20:                               ;   in Loop: Header=BB383_19 Depth=1
	v_lshlrev_b64 v[0:1], 4, v[8:9]
	v_mov_b32_e32 v2, s25
	v_add_co_u32_e32 v0, vcc, s24, v0
	v_addc_co_u32_e32 v1, vcc, v2, v1, vcc
	global_load_dwordx4 v[0:3], v[0:1], off
	s_mov_b64 s[10:11], 0
	s_waitcnt vmcnt(0)
	v_mul_f64 v[14:15], v[2:3], -v[6:7]
	v_mul_f64 v[16:17], v[4:5], v[2:3]
	v_fmac_f64_e32 v[14:15], v[4:5], v[0:1]
	v_fmac_f64_e32 v[16:17], v[6:7], v[0:1]
	s_branch .LBB383_22
.LBB383_21:                             ;   in Loop: Header=BB383_22 Depth=2
	s_or_b64 exec, exec, s[12:13]
	v_add_co_u32_e32 v12, vcc, 32, v12
	v_addc_co_u32_e32 v13, vcc, 0, v13, vcc
	v_cmp_ge_i64_e32 vcc, v[12:13], v[10:11]
	s_or_b64 s[10:11], vcc, s[10:11]
	s_andn2_b64 exec, exec, s[10:11]
	s_cbranch_execz .LBB383_18
.LBB383_22:                             ;   Parent Loop BB383_19 Depth=1
                                        ; =>  This Loop Header: Depth=2
                                        ;       Child Loop BB383_24 Depth 3
                                        ;       Child Loop BB383_26 Depth 3
	v_lshlrev_b64 v[0:1], 2, v[12:13]
	v_mov_b32_e32 v2, s21
	v_add_co_u32_e32 v0, vcc, s20, v0
	v_addc_co_u32_e32 v1, vcc, v2, v1, vcc
	global_load_dword v0, v[0:1], off
	s_waitcnt vmcnt(0)
	v_subrev_u32_e32 v0, s2, v0
	v_cmp_ne_u32_e32 vcc, v0, v8
	s_and_saveexec_b64 s[12:13], vcc
	s_cbranch_execz .LBB383_21
; %bb.23:                               ;   in Loop: Header=BB383_22 Depth=2
	v_lshlrev_b64 v[2:3], 3, v[12:13]
	v_mov_b32_e32 v1, s23
	v_add_co_u32_e32 v2, vcc, s22, v2
	v_addc_co_u32_e32 v3, vcc, v1, v3, vcc
	global_load_dwordx2 v[20:21], v[2:3], off
	v_ashrrev_i32_e32 v1, 31, v0
	v_lshlrev_b64 v[0:1], 4, v[0:1]
	v_mov_b32_e32 v2, s27
	v_add_co_u32_e32 v18, vcc, s26, v0
	v_addc_co_u32_e32 v19, vcc, v2, v1, vcc
	global_load_dwordx2 v[2:3], v[18:19], off
	s_mov_b64 s[14:15], 0
	s_waitcnt vmcnt(1)
	v_cndmask_b32_e64 v0, v21, -v21, s[6:7]
	v_cvt_f64_f32_e32 v[22:23], v0
	v_cvt_f64_f32_e32 v[20:21], v20
	v_mul_f64 v[24:25], -v[16:17], v[22:23]
	v_fmac_f64_e32 v[24:25], v[14:15], v[20:21]
.LBB383_24:                             ;   Parent Loop BB383_19 Depth=1
                                        ;     Parent Loop BB383_22 Depth=2
                                        ; =>    This Inner Loop Header: Depth=3
	s_waitcnt vmcnt(0)
	v_add_f64 v[0:1], v[2:3], v[24:25]
	global_atomic_cmpswap_x2 v[0:1], v[18:19], v[0:3], off glc
	s_waitcnt vmcnt(0)
	v_cmp_eq_u64_e32 vcc, v[0:1], v[2:3]
	s_or_b64 s[14:15], vcc, s[14:15]
	v_pk_mov_b32 v[2:3], v[0:1], v[0:1] op_sel:[0,1]
	s_andn2_b64 exec, exec, s[14:15]
	s_cbranch_execnz .LBB383_24
; %bb.25:                               ;   in Loop: Header=BB383_22 Depth=2
	s_or_b64 exec, exec, s[14:15]
	global_load_dwordx2 v[2:3], v[18:19], off offset:8
	v_mul_f64 v[22:23], v[14:15], v[22:23]
	v_fmac_f64_e32 v[22:23], v[16:17], v[20:21]
	s_mov_b64 s[14:15], 0
.LBB383_26:                             ;   Parent Loop BB383_19 Depth=1
                                        ;     Parent Loop BB383_22 Depth=2
                                        ; =>    This Inner Loop Header: Depth=3
	s_waitcnt vmcnt(0)
	v_add_f64 v[0:1], v[2:3], v[22:23]
	global_atomic_cmpswap_x2 v[0:1], v[18:19], v[0:3], off offset:8 glc
	s_waitcnt vmcnt(0)
	v_cmp_eq_u64_e32 vcc, v[0:1], v[2:3]
	s_or_b64 s[14:15], vcc, s[14:15]
	v_pk_mov_b32 v[2:3], v[0:1], v[0:1] op_sel:[0,1]
	s_andn2_b64 exec, exec, s[14:15]
	s_cbranch_execnz .LBB383_26
	s_branch .LBB383_21
.LBB383_27:
	s_endpgm
	.section	.rodata,"a",@progbits
	.p2align	6, 0x0
	.amdhsa_kernel _ZN9rocsparseL21csrmvt_general_kernelILj256ELj32Eli21rocsparse_complex_numIfES1_IdES3_S3_EEvbbT2_NS_24const_host_device_scalarIT6_EEPKT1_SA_PKS4_PKT3_PKT4_PT5_21rocsparse_index_base_b
		.amdhsa_group_segment_fixed_size 2048
		.amdhsa_private_segment_fixed_size 0
		.amdhsa_kernarg_size 336
		.amdhsa_user_sgpr_count 8
		.amdhsa_user_sgpr_private_segment_buffer 1
		.amdhsa_user_sgpr_dispatch_ptr 1
		.amdhsa_user_sgpr_queue_ptr 0
		.amdhsa_user_sgpr_kernarg_segment_ptr 1
		.amdhsa_user_sgpr_dispatch_id 0
		.amdhsa_user_sgpr_flat_scratch_init 0
		.amdhsa_user_sgpr_kernarg_preload_length 0
		.amdhsa_user_sgpr_kernarg_preload_offset 0
		.amdhsa_user_sgpr_private_segment_size 0
		.amdhsa_uses_dynamic_stack 0
		.amdhsa_system_sgpr_private_segment_wavefront_offset 0
		.amdhsa_system_sgpr_workgroup_id_x 1
		.amdhsa_system_sgpr_workgroup_id_y 0
		.amdhsa_system_sgpr_workgroup_id_z 0
		.amdhsa_system_sgpr_workgroup_info 0
		.amdhsa_system_vgpr_workitem_id 2
		.amdhsa_next_free_vgpr 33
		.amdhsa_next_free_sgpr 30
		.amdhsa_accum_offset 36
		.amdhsa_reserve_vcc 1
		.amdhsa_reserve_flat_scratch 0
		.amdhsa_float_round_mode_32 0
		.amdhsa_float_round_mode_16_64 0
		.amdhsa_float_denorm_mode_32 3
		.amdhsa_float_denorm_mode_16_64 3
		.amdhsa_dx10_clamp 1
		.amdhsa_ieee_mode 1
		.amdhsa_fp16_overflow 0
		.amdhsa_tg_split 0
		.amdhsa_exception_fp_ieee_invalid_op 0
		.amdhsa_exception_fp_denorm_src 0
		.amdhsa_exception_fp_ieee_div_zero 0
		.amdhsa_exception_fp_ieee_overflow 0
		.amdhsa_exception_fp_ieee_underflow 0
		.amdhsa_exception_fp_ieee_inexact 0
		.amdhsa_exception_int_div_zero 0
	.end_amdhsa_kernel
	.section	.text._ZN9rocsparseL21csrmvt_general_kernelILj256ELj32Eli21rocsparse_complex_numIfES1_IdES3_S3_EEvbbT2_NS_24const_host_device_scalarIT6_EEPKT1_SA_PKS4_PKT3_PKT4_PT5_21rocsparse_index_base_b,"axG",@progbits,_ZN9rocsparseL21csrmvt_general_kernelILj256ELj32Eli21rocsparse_complex_numIfES1_IdES3_S3_EEvbbT2_NS_24const_host_device_scalarIT6_EEPKT1_SA_PKS4_PKT3_PKT4_PT5_21rocsparse_index_base_b,comdat
.Lfunc_end383:
	.size	_ZN9rocsparseL21csrmvt_general_kernelILj256ELj32Eli21rocsparse_complex_numIfES1_IdES3_S3_EEvbbT2_NS_24const_host_device_scalarIT6_EEPKT1_SA_PKS4_PKT3_PKT4_PT5_21rocsparse_index_base_b, .Lfunc_end383-_ZN9rocsparseL21csrmvt_general_kernelILj256ELj32Eli21rocsparse_complex_numIfES1_IdES3_S3_EEvbbT2_NS_24const_host_device_scalarIT6_EEPKT1_SA_PKS4_PKT3_PKT4_PT5_21rocsparse_index_base_b
                                        ; -- End function
	.section	.AMDGPU.csdata,"",@progbits
; Kernel info:
; codeLenInByte = 1316
; NumSgprs: 34
; NumVgprs: 33
; NumAgprs: 0
; TotalNumVgprs: 33
; ScratchSize: 0
; MemoryBound: 0
; FloatMode: 240
; IeeeMode: 1
; LDSByteSize: 2048 bytes/workgroup (compile time only)
; SGPRBlocks: 4
; VGPRBlocks: 4
; NumSGPRsForWavesPerEU: 34
; NumVGPRsForWavesPerEU: 33
; AccumOffset: 36
; Occupancy: 8
; WaveLimiterHint : 1
; COMPUTE_PGM_RSRC2:SCRATCH_EN: 0
; COMPUTE_PGM_RSRC2:USER_SGPR: 8
; COMPUTE_PGM_RSRC2:TRAP_HANDLER: 0
; COMPUTE_PGM_RSRC2:TGID_X_EN: 1
; COMPUTE_PGM_RSRC2:TGID_Y_EN: 0
; COMPUTE_PGM_RSRC2:TGID_Z_EN: 0
; COMPUTE_PGM_RSRC2:TIDIG_COMP_CNT: 2
; COMPUTE_PGM_RSRC3_GFX90A:ACCUM_OFFSET: 8
; COMPUTE_PGM_RSRC3_GFX90A:TG_SPLIT: 0
	.section	.text._ZN9rocsparseL21csrmvt_general_kernelILj256ELj64Eli21rocsparse_complex_numIfES1_IdES3_S3_EEvbbT2_NS_24const_host_device_scalarIT6_EEPKT1_SA_PKS4_PKT3_PKT4_PT5_21rocsparse_index_base_b,"axG",@progbits,_ZN9rocsparseL21csrmvt_general_kernelILj256ELj64Eli21rocsparse_complex_numIfES1_IdES3_S3_EEvbbT2_NS_24const_host_device_scalarIT6_EEPKT1_SA_PKS4_PKT3_PKT4_PT5_21rocsparse_index_base_b,comdat
	.globl	_ZN9rocsparseL21csrmvt_general_kernelILj256ELj64Eli21rocsparse_complex_numIfES1_IdES3_S3_EEvbbT2_NS_24const_host_device_scalarIT6_EEPKT1_SA_PKS4_PKT3_PKT4_PT5_21rocsparse_index_base_b ; -- Begin function _ZN9rocsparseL21csrmvt_general_kernelILj256ELj64Eli21rocsparse_complex_numIfES1_IdES3_S3_EEvbbT2_NS_24const_host_device_scalarIT6_EEPKT1_SA_PKS4_PKT3_PKT4_PT5_21rocsparse_index_base_b
	.p2align	8
	.type	_ZN9rocsparseL21csrmvt_general_kernelILj256ELj64Eli21rocsparse_complex_numIfES1_IdES3_S3_EEvbbT2_NS_24const_host_device_scalarIT6_EEPKT1_SA_PKS4_PKT3_PKT4_PT5_21rocsparse_index_base_b,@function
_ZN9rocsparseL21csrmvt_general_kernelILj256ELj64Eli21rocsparse_complex_numIfES1_IdES3_S3_EEvbbT2_NS_24const_host_device_scalarIT6_EEPKT1_SA_PKS4_PKT3_PKT4_PT5_21rocsparse_index_base_b: ; @_ZN9rocsparseL21csrmvt_general_kernelILj256ELj64Eli21rocsparse_complex_numIfES1_IdES3_S3_EEvbbT2_NS_24const_host_device_scalarIT6_EEPKT1_SA_PKS4_PKT3_PKT4_PT5_21rocsparse_index_base_b
; %bb.0:
	s_load_dwordx2 s[2:3], s[6:7], 0x48
	s_load_dwordx2 s[0:1], s[4:5], 0x4
	s_load_dwordx8 s[12:19], s[6:7], 0x8
	v_and_b32_e32 v1, 0x3ff, v0
	v_bfe_u32 v3, v0, 10, 10
	s_waitcnt lgkmcnt(0)
	s_and_b32 s3, 1, s3
	s_lshr_b32 s0, s0, 16
	s_mul_i32 s0, s0, s1
	v_mul_lo_u32 v2, s0, v1
	s_cmp_eq_u32 s3, 1
	v_mad_u32_u24 v2, v3, s1, v2
	v_bfe_u32 v0, v0, 20, 10
	v_add_lshl_u32 v0, v2, v0, 3
	v_pk_mov_b32 v[2:3], s[12:13], s[12:13] op_sel:[0,1]
	s_cselect_b64 vcc, -1, 0
	ds_write_b64 v0, v[2:3]
	s_mov_b64 s[0:1], src_shared_base
	v_cndmask_b32_e32 v2, v2, v0, vcc
	s_and_b64 vcc, vcc, exec
	s_cselect_b32 s0, s1, s13
	v_mov_b32_e32 v3, s0
	flat_load_dwordx2 v[4:5], v[2:3]
	v_pk_mov_b32 v[6:7], s[14:15], s[14:15] op_sel:[0,1]
	s_cbranch_vccnz .LBB384_2
; %bb.1:
	v_pk_mov_b32 v[2:3], s[12:13], s[12:13] op_sel:[0,1]
	flat_load_dwordx2 v[6:7], v[2:3] offset:8
.LBB384_2:
	s_waitcnt vmcnt(0) lgkmcnt(0)
	v_cmp_neq_f64_e32 vcc, 0, v[4:5]
	v_cmp_neq_f64_e64 s[0:1], 0, v[6:7]
	s_or_b64 s[0:1], vcc, s[0:1]
	s_and_saveexec_b64 s[4:5], s[0:1]
	s_cbranch_execz .LBB384_27
; %bb.3:
	s_load_dword s0, s[6:7], 0x0
	s_load_dwordx2 s[4:5], s[6:7], 0x0
	s_load_dword s1, s[6:7], 0x50
	s_load_dwordx8 s[20:27], s[6:7], 0x28
	v_lshl_or_b32 v0, s8, 8, v1
	s_waitcnt lgkmcnt(0)
	s_and_b32 s0, s0, 1
	s_bitcmp1_b32 s4, 8
	s_cselect_b64 s[6:7], -1, 0
	s_lshl_b32 s3, s1, 2
	v_lshrrev_b32_e32 v8, 6, v0
	s_cmp_eq_u32 s0, 0
	v_and_b32_e32 v9, 63, v1
	v_cmp_gt_i32_e64 s[0:1], s5, v8
	s_mov_b64 s[8:9], -1
	s_cbranch_scc0 .LBB384_15
; %bb.4:
	s_and_saveexec_b64 s[8:9], s[0:1]
	s_cbranch_execz .LBB384_14
; %bb.5:
	v_subrev_co_u32_e32 v28, vcc, s2, v9
	s_mov_b32 s4, 0
	v_subb_co_u32_e64 v29, s[10:11], 0, 0, vcc
	s_mov_b64 s[10:11], 0
	v_mov_b32_e32 v30, s17
	v_mov_b32_e32 v31, s19
	;; [unrolled: 1-line block ×4, first 2 shown]
	s_branch .LBB384_7
.LBB384_6:                              ;   in Loop: Header=BB384_7 Depth=1
	s_or_b64 exec, exec, s[12:13]
	v_add_u32_e32 v10, s3, v10
	v_cmp_le_i32_e32 vcc, s5, v10
	s_or_b64 s[10:11], vcc, s[10:11]
	s_andn2_b64 exec, exec, s[10:11]
	s_cbranch_execz .LBB384_14
.LBB384_7:                              ; =>This Loop Header: Depth=1
                                        ;     Child Loop BB384_9 Depth 2
                                        ;       Child Loop BB384_10 Depth 3
                                        ;       Child Loop BB384_12 Depth 3
	v_ashrrev_i32_e32 v11, 31, v10
	v_lshlrev_b64 v[0:1], 3, v[10:11]
	v_add_co_u32_e32 v2, vcc, s18, v0
	v_addc_co_u32_e32 v3, vcc, v31, v1, vcc
	global_load_dwordx2 v[2:3], v[2:3], off
	v_add_co_u32_e32 v0, vcc, s16, v0
	v_addc_co_u32_e32 v1, vcc, v30, v1, vcc
	global_load_dwordx2 v[0:1], v[0:1], off
	s_waitcnt vmcnt(1)
	v_subrev_co_u32_e32 v12, vcc, s2, v2
	v_subb_co_u32_e32 v13, vcc, v3, v32, vcc
	s_waitcnt vmcnt(0)
	v_add_co_u32_e32 v14, vcc, v0, v28
	v_addc_co_u32_e32 v15, vcc, v1, v29, vcc
	v_cmp_lt_i64_e32 vcc, v[14:15], v[12:13]
	s_and_saveexec_b64 s[12:13], vcc
	s_cbranch_execz .LBB384_6
; %bb.8:                                ;   in Loop: Header=BB384_7 Depth=1
	v_lshlrev_b64 v[0:1], 4, v[10:11]
	v_mov_b32_e32 v2, s25
	v_add_co_u32_e32 v0, vcc, s24, v0
	v_addc_co_u32_e32 v1, vcc, v2, v1, vcc
	global_load_dwordx4 v[0:3], v[0:1], off
	s_mov_b64 s[14:15], 0
	s_waitcnt vmcnt(0)
	v_mul_f64 v[16:17], v[2:3], -v[6:7]
	v_mul_f64 v[18:19], v[4:5], v[2:3]
	v_fmac_f64_e32 v[16:17], v[4:5], v[0:1]
	v_fmac_f64_e32 v[18:19], v[6:7], v[0:1]
.LBB384_9:                              ;   Parent Loop BB384_7 Depth=1
                                        ; =>  This Loop Header: Depth=2
                                        ;       Child Loop BB384_10 Depth 3
                                        ;       Child Loop BB384_12 Depth 3
	v_lshlrev_b64 v[0:1], 2, v[14:15]
	v_mov_b32_e32 v2, s21
	v_add_co_u32_e32 v0, vcc, s20, v0
	v_addc_co_u32_e32 v1, vcc, v2, v1, vcc
	global_load_dword v2, v[0:1], off
	v_lshlrev_b64 v[0:1], 3, v[14:15]
	v_mov_b32_e32 v3, s23
	v_add_co_u32_e32 v0, vcc, s22, v0
	v_addc_co_u32_e32 v1, vcc, v3, v1, vcc
	global_load_dwordx2 v[0:1], v[0:1], off
	v_mov_b32_e32 v11, s27
	s_mov_b64 s[28:29], 0
	s_waitcnt vmcnt(1)
	v_subrev_u32_e32 v2, s2, v2
	v_ashrrev_i32_e32 v3, 31, v2
	v_lshlrev_b64 v[2:3], 4, v[2:3]
	v_add_co_u32_e32 v20, vcc, s26, v2
	v_addc_co_u32_e32 v21, vcc, v11, v3, vcc
	global_load_dwordx2 v[2:3], v[20:21], off
	s_waitcnt vmcnt(1)
	v_cndmask_b32_e64 v1, v1, -v1, s[6:7]
	v_cvt_f64_f32_e32 v[24:25], v1
	v_cvt_f64_f32_e32 v[22:23], v0
	v_mul_f64 v[26:27], -v[18:19], v[24:25]
	v_fmac_f64_e32 v[26:27], v[16:17], v[22:23]
.LBB384_10:                             ;   Parent Loop BB384_7 Depth=1
                                        ;     Parent Loop BB384_9 Depth=2
                                        ; =>    This Inner Loop Header: Depth=3
	s_waitcnt vmcnt(0)
	v_add_f64 v[0:1], v[2:3], v[26:27]
	global_atomic_cmpswap_x2 v[0:1], v[20:21], v[0:3], off glc
	s_waitcnt vmcnt(0)
	v_cmp_eq_u64_e32 vcc, v[0:1], v[2:3]
	s_or_b64 s[28:29], vcc, s[28:29]
	v_pk_mov_b32 v[2:3], v[0:1], v[0:1] op_sel:[0,1]
	s_andn2_b64 exec, exec, s[28:29]
	s_cbranch_execnz .LBB384_10
; %bb.11:                               ;   in Loop: Header=BB384_9 Depth=2
	s_or_b64 exec, exec, s[28:29]
	global_load_dwordx2 v[2:3], v[20:21], off offset:8
	v_mul_f64 v[24:25], v[16:17], v[24:25]
	v_fmac_f64_e32 v[24:25], v[18:19], v[22:23]
	s_mov_b64 s[28:29], 0
.LBB384_12:                             ;   Parent Loop BB384_7 Depth=1
                                        ;     Parent Loop BB384_9 Depth=2
                                        ; =>    This Inner Loop Header: Depth=3
	s_waitcnt vmcnt(0)
	v_add_f64 v[0:1], v[2:3], v[24:25]
	global_atomic_cmpswap_x2 v[0:1], v[20:21], v[0:3], off offset:8 glc
	s_waitcnt vmcnt(0)
	v_cmp_eq_u64_e32 vcc, v[0:1], v[2:3]
	s_or_b64 s[28:29], vcc, s[28:29]
	v_pk_mov_b32 v[2:3], v[0:1], v[0:1] op_sel:[0,1]
	s_andn2_b64 exec, exec, s[28:29]
	s_cbranch_execnz .LBB384_12
; %bb.13:                               ;   in Loop: Header=BB384_9 Depth=2
	s_or_b64 exec, exec, s[28:29]
	v_add_co_u32_e32 v14, vcc, 64, v14
	v_addc_co_u32_e32 v15, vcc, 0, v15, vcc
	v_cmp_ge_i64_e32 vcc, v[14:15], v[12:13]
	s_or_b64 s[14:15], vcc, s[14:15]
	s_andn2_b64 exec, exec, s[14:15]
	s_cbranch_execnz .LBB384_9
	s_branch .LBB384_6
.LBB384_14:
	s_or_b64 exec, exec, s[8:9]
	s_mov_b64 s[8:9], 0
.LBB384_15:
	s_andn2_b64 vcc, exec, s[8:9]
	s_cbranch_vccnz .LBB384_27
; %bb.16:
	s_and_b64 exec, exec, s[0:1]
	s_cbranch_execz .LBB384_27
; %bb.17:
	v_subrev_co_u32_e32 v26, vcc, s2, v9
	s_mov_b32 s4, 0
	v_subb_co_u32_e64 v27, s[0:1], 0, 0, vcc
	s_mov_b64 s[0:1], 0
	v_mov_b32_e32 v28, s17
	v_mov_b32_e32 v29, s19
	;; [unrolled: 1-line block ×3, first 2 shown]
	s_branch .LBB384_19
.LBB384_18:                             ;   in Loop: Header=BB384_19 Depth=1
	s_or_b64 exec, exec, s[8:9]
	v_add_u32_e32 v8, s3, v8
	v_cmp_le_i32_e32 vcc, s5, v8
	s_or_b64 s[0:1], vcc, s[0:1]
	s_andn2_b64 exec, exec, s[0:1]
	s_cbranch_execz .LBB384_27
.LBB384_19:                             ; =>This Loop Header: Depth=1
                                        ;     Child Loop BB384_22 Depth 2
                                        ;       Child Loop BB384_24 Depth 3
                                        ;       Child Loop BB384_26 Depth 3
	v_ashrrev_i32_e32 v9, 31, v8
	v_lshlrev_b64 v[0:1], 3, v[8:9]
	v_add_co_u32_e32 v2, vcc, s18, v0
	v_addc_co_u32_e32 v3, vcc, v29, v1, vcc
	global_load_dwordx2 v[2:3], v[2:3], off
	v_add_co_u32_e32 v0, vcc, s16, v0
	v_addc_co_u32_e32 v1, vcc, v28, v1, vcc
	global_load_dwordx2 v[0:1], v[0:1], off
	s_waitcnt vmcnt(1)
	v_subrev_co_u32_e32 v10, vcc, s2, v2
	v_subb_co_u32_e32 v11, vcc, v3, v30, vcc
	s_waitcnt vmcnt(0)
	v_add_co_u32_e32 v12, vcc, v0, v26
	v_addc_co_u32_e32 v13, vcc, v1, v27, vcc
	v_cmp_lt_i64_e32 vcc, v[12:13], v[10:11]
	s_and_saveexec_b64 s[8:9], vcc
	s_cbranch_execz .LBB384_18
; %bb.20:                               ;   in Loop: Header=BB384_19 Depth=1
	v_lshlrev_b64 v[0:1], 4, v[8:9]
	v_mov_b32_e32 v2, s25
	v_add_co_u32_e32 v0, vcc, s24, v0
	v_addc_co_u32_e32 v1, vcc, v2, v1, vcc
	global_load_dwordx4 v[0:3], v[0:1], off
	s_mov_b64 s[10:11], 0
	s_waitcnt vmcnt(0)
	v_mul_f64 v[14:15], v[2:3], -v[6:7]
	v_mul_f64 v[16:17], v[4:5], v[2:3]
	v_fmac_f64_e32 v[14:15], v[4:5], v[0:1]
	v_fmac_f64_e32 v[16:17], v[6:7], v[0:1]
	s_branch .LBB384_22
.LBB384_21:                             ;   in Loop: Header=BB384_22 Depth=2
	s_or_b64 exec, exec, s[12:13]
	v_add_co_u32_e32 v12, vcc, 64, v12
	v_addc_co_u32_e32 v13, vcc, 0, v13, vcc
	v_cmp_ge_i64_e32 vcc, v[12:13], v[10:11]
	s_or_b64 s[10:11], vcc, s[10:11]
	s_andn2_b64 exec, exec, s[10:11]
	s_cbranch_execz .LBB384_18
.LBB384_22:                             ;   Parent Loop BB384_19 Depth=1
                                        ; =>  This Loop Header: Depth=2
                                        ;       Child Loop BB384_24 Depth 3
                                        ;       Child Loop BB384_26 Depth 3
	v_lshlrev_b64 v[0:1], 2, v[12:13]
	v_mov_b32_e32 v2, s21
	v_add_co_u32_e32 v0, vcc, s20, v0
	v_addc_co_u32_e32 v1, vcc, v2, v1, vcc
	global_load_dword v0, v[0:1], off
	s_waitcnt vmcnt(0)
	v_subrev_u32_e32 v0, s2, v0
	v_cmp_ne_u32_e32 vcc, v0, v8
	s_and_saveexec_b64 s[12:13], vcc
	s_cbranch_execz .LBB384_21
; %bb.23:                               ;   in Loop: Header=BB384_22 Depth=2
	v_lshlrev_b64 v[2:3], 3, v[12:13]
	v_mov_b32_e32 v1, s23
	v_add_co_u32_e32 v2, vcc, s22, v2
	v_addc_co_u32_e32 v3, vcc, v1, v3, vcc
	global_load_dwordx2 v[20:21], v[2:3], off
	v_ashrrev_i32_e32 v1, 31, v0
	v_lshlrev_b64 v[0:1], 4, v[0:1]
	v_mov_b32_e32 v2, s27
	v_add_co_u32_e32 v18, vcc, s26, v0
	v_addc_co_u32_e32 v19, vcc, v2, v1, vcc
	global_load_dwordx2 v[2:3], v[18:19], off
	s_mov_b64 s[14:15], 0
	s_waitcnt vmcnt(1)
	v_cndmask_b32_e64 v0, v21, -v21, s[6:7]
	v_cvt_f64_f32_e32 v[22:23], v0
	v_cvt_f64_f32_e32 v[20:21], v20
	v_mul_f64 v[24:25], -v[16:17], v[22:23]
	v_fmac_f64_e32 v[24:25], v[14:15], v[20:21]
.LBB384_24:                             ;   Parent Loop BB384_19 Depth=1
                                        ;     Parent Loop BB384_22 Depth=2
                                        ; =>    This Inner Loop Header: Depth=3
	s_waitcnt vmcnt(0)
	v_add_f64 v[0:1], v[2:3], v[24:25]
	global_atomic_cmpswap_x2 v[0:1], v[18:19], v[0:3], off glc
	s_waitcnt vmcnt(0)
	v_cmp_eq_u64_e32 vcc, v[0:1], v[2:3]
	s_or_b64 s[14:15], vcc, s[14:15]
	v_pk_mov_b32 v[2:3], v[0:1], v[0:1] op_sel:[0,1]
	s_andn2_b64 exec, exec, s[14:15]
	s_cbranch_execnz .LBB384_24
; %bb.25:                               ;   in Loop: Header=BB384_22 Depth=2
	s_or_b64 exec, exec, s[14:15]
	global_load_dwordx2 v[2:3], v[18:19], off offset:8
	v_mul_f64 v[22:23], v[14:15], v[22:23]
	v_fmac_f64_e32 v[22:23], v[16:17], v[20:21]
	s_mov_b64 s[14:15], 0
.LBB384_26:                             ;   Parent Loop BB384_19 Depth=1
                                        ;     Parent Loop BB384_22 Depth=2
                                        ; =>    This Inner Loop Header: Depth=3
	s_waitcnt vmcnt(0)
	v_add_f64 v[0:1], v[2:3], v[22:23]
	global_atomic_cmpswap_x2 v[0:1], v[18:19], v[0:3], off offset:8 glc
	s_waitcnt vmcnt(0)
	v_cmp_eq_u64_e32 vcc, v[0:1], v[2:3]
	s_or_b64 s[14:15], vcc, s[14:15]
	v_pk_mov_b32 v[2:3], v[0:1], v[0:1] op_sel:[0,1]
	s_andn2_b64 exec, exec, s[14:15]
	s_cbranch_execnz .LBB384_26
	s_branch .LBB384_21
.LBB384_27:
	s_endpgm
	.section	.rodata,"a",@progbits
	.p2align	6, 0x0
	.amdhsa_kernel _ZN9rocsparseL21csrmvt_general_kernelILj256ELj64Eli21rocsparse_complex_numIfES1_IdES3_S3_EEvbbT2_NS_24const_host_device_scalarIT6_EEPKT1_SA_PKS4_PKT3_PKT4_PT5_21rocsparse_index_base_b
		.amdhsa_group_segment_fixed_size 2048
		.amdhsa_private_segment_fixed_size 0
		.amdhsa_kernarg_size 336
		.amdhsa_user_sgpr_count 8
		.amdhsa_user_sgpr_private_segment_buffer 1
		.amdhsa_user_sgpr_dispatch_ptr 1
		.amdhsa_user_sgpr_queue_ptr 0
		.amdhsa_user_sgpr_kernarg_segment_ptr 1
		.amdhsa_user_sgpr_dispatch_id 0
		.amdhsa_user_sgpr_flat_scratch_init 0
		.amdhsa_user_sgpr_kernarg_preload_length 0
		.amdhsa_user_sgpr_kernarg_preload_offset 0
		.amdhsa_user_sgpr_private_segment_size 0
		.amdhsa_uses_dynamic_stack 0
		.amdhsa_system_sgpr_private_segment_wavefront_offset 0
		.amdhsa_system_sgpr_workgroup_id_x 1
		.amdhsa_system_sgpr_workgroup_id_y 0
		.amdhsa_system_sgpr_workgroup_id_z 0
		.amdhsa_system_sgpr_workgroup_info 0
		.amdhsa_system_vgpr_workitem_id 2
		.amdhsa_next_free_vgpr 33
		.amdhsa_next_free_sgpr 30
		.amdhsa_accum_offset 36
		.amdhsa_reserve_vcc 1
		.amdhsa_reserve_flat_scratch 0
		.amdhsa_float_round_mode_32 0
		.amdhsa_float_round_mode_16_64 0
		.amdhsa_float_denorm_mode_32 3
		.amdhsa_float_denorm_mode_16_64 3
		.amdhsa_dx10_clamp 1
		.amdhsa_ieee_mode 1
		.amdhsa_fp16_overflow 0
		.amdhsa_tg_split 0
		.amdhsa_exception_fp_ieee_invalid_op 0
		.amdhsa_exception_fp_denorm_src 0
		.amdhsa_exception_fp_ieee_div_zero 0
		.amdhsa_exception_fp_ieee_overflow 0
		.amdhsa_exception_fp_ieee_underflow 0
		.amdhsa_exception_fp_ieee_inexact 0
		.amdhsa_exception_int_div_zero 0
	.end_amdhsa_kernel
	.section	.text._ZN9rocsparseL21csrmvt_general_kernelILj256ELj64Eli21rocsparse_complex_numIfES1_IdES3_S3_EEvbbT2_NS_24const_host_device_scalarIT6_EEPKT1_SA_PKS4_PKT3_PKT4_PT5_21rocsparse_index_base_b,"axG",@progbits,_ZN9rocsparseL21csrmvt_general_kernelILj256ELj64Eli21rocsparse_complex_numIfES1_IdES3_S3_EEvbbT2_NS_24const_host_device_scalarIT6_EEPKT1_SA_PKS4_PKT3_PKT4_PT5_21rocsparse_index_base_b,comdat
.Lfunc_end384:
	.size	_ZN9rocsparseL21csrmvt_general_kernelILj256ELj64Eli21rocsparse_complex_numIfES1_IdES3_S3_EEvbbT2_NS_24const_host_device_scalarIT6_EEPKT1_SA_PKS4_PKT3_PKT4_PT5_21rocsparse_index_base_b, .Lfunc_end384-_ZN9rocsparseL21csrmvt_general_kernelILj256ELj64Eli21rocsparse_complex_numIfES1_IdES3_S3_EEvbbT2_NS_24const_host_device_scalarIT6_EEPKT1_SA_PKS4_PKT3_PKT4_PT5_21rocsparse_index_base_b
                                        ; -- End function
	.section	.AMDGPU.csdata,"",@progbits
; Kernel info:
; codeLenInByte = 1316
; NumSgprs: 34
; NumVgprs: 33
; NumAgprs: 0
; TotalNumVgprs: 33
; ScratchSize: 0
; MemoryBound: 0
; FloatMode: 240
; IeeeMode: 1
; LDSByteSize: 2048 bytes/workgroup (compile time only)
; SGPRBlocks: 4
; VGPRBlocks: 4
; NumSGPRsForWavesPerEU: 34
; NumVGPRsForWavesPerEU: 33
; AccumOffset: 36
; Occupancy: 8
; WaveLimiterHint : 1
; COMPUTE_PGM_RSRC2:SCRATCH_EN: 0
; COMPUTE_PGM_RSRC2:USER_SGPR: 8
; COMPUTE_PGM_RSRC2:TRAP_HANDLER: 0
; COMPUTE_PGM_RSRC2:TGID_X_EN: 1
; COMPUTE_PGM_RSRC2:TGID_Y_EN: 0
; COMPUTE_PGM_RSRC2:TGID_Z_EN: 0
; COMPUTE_PGM_RSRC2:TIDIG_COMP_CNT: 2
; COMPUTE_PGM_RSRC3_GFX90A:ACCUM_OFFSET: 8
; COMPUTE_PGM_RSRC3_GFX90A:TG_SPLIT: 0
	.section	.text._ZN9rocsparseL21csrmvn_general_kernelILj256ELj2Ell21rocsparse_complex_numIfES1_IdES3_S3_EEvbT2_NS_24const_host_device_scalarIT6_EEPKT1_SA_PKS4_PKT3_PKT4_S7_PT5_21rocsparse_index_base_b,"axG",@progbits,_ZN9rocsparseL21csrmvn_general_kernelILj256ELj2Ell21rocsparse_complex_numIfES1_IdES3_S3_EEvbT2_NS_24const_host_device_scalarIT6_EEPKT1_SA_PKS4_PKT3_PKT4_S7_PT5_21rocsparse_index_base_b,comdat
	.globl	_ZN9rocsparseL21csrmvn_general_kernelILj256ELj2Ell21rocsparse_complex_numIfES1_IdES3_S3_EEvbT2_NS_24const_host_device_scalarIT6_EEPKT1_SA_PKS4_PKT3_PKT4_S7_PT5_21rocsparse_index_base_b ; -- Begin function _ZN9rocsparseL21csrmvn_general_kernelILj256ELj2Ell21rocsparse_complex_numIfES1_IdES3_S3_EEvbT2_NS_24const_host_device_scalarIT6_EEPKT1_SA_PKS4_PKT3_PKT4_S7_PT5_21rocsparse_index_base_b
	.p2align	8
	.type	_ZN9rocsparseL21csrmvn_general_kernelILj256ELj2Ell21rocsparse_complex_numIfES1_IdES3_S3_EEvbT2_NS_24const_host_device_scalarIT6_EEPKT1_SA_PKS4_PKT3_PKT4_S7_PT5_21rocsparse_index_base_b,@function
_ZN9rocsparseL21csrmvn_general_kernelILj256ELj2Ell21rocsparse_complex_numIfES1_IdES3_S3_EEvbT2_NS_24const_host_device_scalarIT6_EEPKT1_SA_PKS4_PKT3_PKT4_S7_PT5_21rocsparse_index_base_b: ; @_ZN9rocsparseL21csrmvn_general_kernelILj256ELj2Ell21rocsparse_complex_numIfES1_IdES3_S3_EEvbT2_NS_24const_host_device_scalarIT6_EEPKT1_SA_PKS4_PKT3_PKT4_S7_PT5_21rocsparse_index_base_b
; %bb.0:
	s_load_dwordx2 s[24:25], s[6:7], 0x60
	s_load_dwordx8 s[12:19], s[6:7], 0x8
	s_load_dwordx4 s[20:23], s[6:7], 0x48
	s_mov_b64 s[2:3], src_shared_base
	s_load_dwordx2 s[4:5], s[4:5], 0x4
	s_waitcnt lgkmcnt(0)
	s_bitcmp1_b32 s25, 0
	s_cselect_b64 s[0:1], -1, 0
	s_and_b64 vcc, s[0:1], exec
	s_cselect_b32 s2, s3, s15
	s_lshr_b32 s4, s4, 16
	v_and_b32_e32 v1, 0x3ff, v0
	s_mul_i32 s4, s4, s5
	v_mul_lo_u32 v2, s4, v1
	v_bfe_u32 v3, v0, 10, 10
	v_mad_u32_u24 v2, v3, s5, v2
	v_bfe_u32 v0, v0, 20, 10
	v_add_lshl_u32 v0, v2, v0, 3
	v_mov_b32_e32 v6, s14
	v_add_u32_e32 v7, 0x800, v0
	v_pk_mov_b32 v[2:3], s[14:15], s[14:15] op_sel:[0,1]
	v_pk_mov_b32 v[4:5], s[20:21], s[20:21] op_sel:[0,1]
	ds_write2st64_b64 v0, v[4:5], v[2:3] offset1:4
	v_cndmask_b32_e64 v2, v6, v7, s[0:1]
	v_mov_b32_e32 v3, s2
	flat_load_dwordx2 v[4:5], v[2:3]
	s_xor_b64 s[4:5], s[0:1], -1
	v_pk_mov_b32 v[6:7], s[16:17], s[16:17] op_sel:[0,1]
	s_cbranch_vccnz .LBB385_2
; %bb.1:
	v_pk_mov_b32 v[2:3], s[14:15], s[14:15] op_sel:[0,1]
	flat_load_dwordx2 v[6:7], v[2:3] offset:8
.LBB385_2:
	s_and_b64 s[10:11], s[0:1], exec
	s_cselect_b32 s2, s3, s21
	v_mov_b32_e32 v2, s20
	v_cndmask_b32_e64 v2, v2, v0, s[0:1]
	v_mov_b32_e32 v3, s2
	flat_load_dwordx2 v[8:9], v[2:3]
	s_andn2_b64 vcc, exec, s[4:5]
	v_pk_mov_b32 v[10:11], s[22:23], s[22:23] op_sel:[0,1]
	s_cbranch_vccnz .LBB385_4
; %bb.3:
	v_pk_mov_b32 v[2:3], s[20:21], s[20:21] op_sel:[0,1]
	flat_load_dwordx2 v[10:11], v[2:3] offset:8
.LBB385_4:
	s_waitcnt vmcnt(0) lgkmcnt(0)
	v_cmp_eq_f64_e32 vcc, 0, v[4:5]
	v_cmp_eq_f64_e64 s[0:1], 0, v[6:7]
	s_and_b64 s[4:5], vcc, s[0:1]
	s_mov_b64 s[0:1], -1
	s_and_saveexec_b64 s[2:3], s[4:5]
; %bb.5:
	v_cmp_neq_f64_e32 vcc, 1.0, v[8:9]
	v_cmp_neq_f64_e64 s[0:1], 0, v[10:11]
	s_or_b64 s[0:1], vcc, s[0:1]
	s_orn2_b64 s[0:1], s[0:1], exec
; %bb.6:
	s_or_b64 exec, exec, s[2:3]
	s_and_saveexec_b64 s[2:3], s[0:1]
	s_cbranch_execz .LBB385_18
; %bb.7:
	s_load_dwordx2 s[4:5], s[6:7], 0x28
	v_lshl_or_b32 v0, s8, 8, v1
	v_lshrrev_b32_e32 v12, 1, v0
	v_mov_b32_e32 v13, 0
	v_cmp_gt_i64_e32 vcc, s[12:13], v[12:13]
	s_and_b64 exec, exec, vcc
	s_cbranch_execz .LBB385_18
; %bb.8:
	s_load_dword s2, s[6:7], 0x68
	s_load_dwordx4 s[8:11], s[6:7], 0x30
	s_load_dword s3, s[6:7], 0x0
	s_load_dwordx2 s[14:15], s[6:7], 0x58
	s_load_dwordx2 s[0:1], s[6:7], 0x40
	v_and_b32_e32 v0, 1, v1
	s_waitcnt lgkmcnt(0)
	s_lshl_b32 s22, s2, 7
	v_subrev_co_u32_e32 v22, vcc, s24, v0
	s_bitcmp1_b32 s3, 0
	v_subb_co_u32_e64 v23, s[2:3], 0, 0, vcc
	s_cselect_b64 s[6:7], -1, 0
	s_ashr_i32 s3, s24, 31
	s_mov_b32 s2, s24
	s_lshl_b64 s[2:3], s[2:3], 4
	s_sub_u32 s25, s0, s2
	s_subb_u32 s21, s1, s3
	v_cmp_neq_f64_e64 s[0:1], 0, v[8:9]
	v_cmp_neq_f64_e64 s[2:3], 0, v[10:11]
	s_or_b64 s[2:3], s[0:1], s[2:3]
	s_mov_b32 s23, 0
	s_add_u32 s26, s10, 4
	v_cmp_eq_u32_e32 vcc, 1, v0
	s_mov_b64 s[16:17], 0
	s_addc_u32 s27, s11, 0
	v_mov_b32_e32 v24, s19
	v_mov_b32_e32 v25, s5
	;; [unrolled: 1-line block ×4, first 2 shown]
	s_branch .LBB385_11
.LBB385_9:                              ;   in Loop: Header=BB385_11 Depth=1
	s_or_b64 exec, exec, s[0:1]
	global_store_dwordx4 v[14:15], v[0:3], off
.LBB385_10:                             ;   in Loop: Header=BB385_11 Depth=1
	s_or_b64 exec, exec, s[10:11]
	v_mov_b32_e32 v0, s23
	v_add_co_u32_e64 v12, s[0:1], s22, v12
	v_addc_co_u32_e64 v13, s[0:1], v13, v0, s[0:1]
	v_cmp_le_i64_e64 s[0:1], s[12:13], v[12:13]
	s_or_b64 s[16:17], s[0:1], s[16:17]
	s_andn2_b64 exec, exec, s[16:17]
	s_cbranch_execz .LBB385_18
.LBB385_11:                             ; =>This Loop Header: Depth=1
                                        ;     Child Loop BB385_13 Depth 2
	v_lshlrev_b64 v[0:1], 3, v[12:13]
	v_add_co_u32_e64 v2, s[0:1], s4, v0
	v_addc_co_u32_e64 v3, s[0:1], v25, v1, s[0:1]
	global_load_dwordx2 v[14:15], v[2:3], off
	v_add_co_u32_e64 v0, s[0:1], s18, v0
	v_addc_co_u32_e64 v1, s[0:1], v24, v1, s[0:1]
	global_load_dwordx2 v[16:17], v[0:1], off
	v_pk_mov_b32 v[2:3], 0, 0
	s_waitcnt vmcnt(1)
	v_subrev_co_u32_e64 v0, s[0:1], s24, v14
	v_subb_co_u32_e64 v1, s[0:1], v15, v26, s[0:1]
	s_waitcnt vmcnt(0)
	v_add_co_u32_e64 v14, s[0:1], v16, v22
	v_addc_co_u32_e64 v15, s[0:1], v17, v23, s[0:1]
	v_cmp_lt_i64_e64 s[0:1], v[14:15], v[0:1]
	v_pk_mov_b32 v[16:17], v[2:3], v[2:3] op_sel:[0,1]
	s_and_saveexec_b64 s[10:11], s[0:1]
	s_cbranch_execz .LBB385_15
; %bb.12:                               ;   in Loop: Header=BB385_11 Depth=1
	v_lshlrev_b64 v[2:3], 3, v[14:15]
	v_mov_b32_e32 v16, s27
	v_add_co_u32_e64 v18, s[0:1], s26, v2
	v_addc_co_u32_e64 v19, s[0:1], v16, v3, s[0:1]
	v_mov_b32_e32 v16, s9
	v_add_co_u32_e64 v20, s[0:1], s8, v2
	v_addc_co_u32_e64 v21, s[0:1], v16, v3, s[0:1]
	v_pk_mov_b32 v[2:3], 0, 0
	s_mov_b64 s[20:21], 0
	v_pk_mov_b32 v[16:17], v[2:3], v[2:3] op_sel:[0,1]
.LBB385_13:                             ;   Parent Loop BB385_11 Depth=1
                                        ; =>  This Inner Loop Header: Depth=2
	global_load_dwordx2 v[28:29], v[20:21], off
	global_load_dwordx2 v[32:33], v[18:19], off offset:-4
	s_waitcnt vmcnt(1)
	v_lshlrev_b64 v[28:29], 4, v[28:29]
	v_add_co_u32_e64 v28, s[0:1], s25, v28
	v_addc_co_u32_e64 v29, s[0:1], v27, v29, s[0:1]
	global_load_dwordx4 v[28:31], v[28:29], off
	v_add_co_u32_e64 v14, s[0:1], 2, v14
	v_addc_co_u32_e64 v15, s[0:1], 0, v15, s[0:1]
	v_add_co_u32_e64 v18, s[0:1], 16, v18
	s_waitcnt vmcnt(1)
	v_cndmask_b32_e64 v34, v33, -v33, s[6:7]
	v_addc_co_u32_e64 v19, s[0:1], 0, v19, s[0:1]
	v_cvt_f64_f32_e32 v[34:35], v34
	v_add_co_u32_e64 v20, s[0:1], 16, v20
	v_cvt_f64_f32_e32 v[32:33], v32
	v_mul_f64 v[36:37], -v[6:7], v[34:35]
	v_mul_f64 v[34:35], v[4:5], v[34:35]
	v_addc_co_u32_e64 v21, s[0:1], 0, v21, s[0:1]
	v_fmac_f64_e32 v[36:37], v[4:5], v[32:33]
	v_fmac_f64_e32 v[34:35], v[6:7], v[32:33]
	v_cmp_ge_i64_e64 s[0:1], v[14:15], v[0:1]
	s_or_b64 s[20:21], s[0:1], s[20:21]
	s_waitcnt vmcnt(0)
	v_fmac_f64_e32 v[16:17], v[36:37], v[28:29]
	v_fmac_f64_e32 v[2:3], v[34:35], v[28:29]
	v_fma_f64 v[16:17], -v[34:35], v[30:31], v[16:17]
	v_fmac_f64_e32 v[2:3], v[36:37], v[30:31]
	s_andn2_b64 exec, exec, s[20:21]
	s_cbranch_execnz .LBB385_13
; %bb.14:                               ;   in Loop: Header=BB385_11 Depth=1
	s_or_b64 exec, exec, s[20:21]
.LBB385_15:                             ;   in Loop: Header=BB385_11 Depth=1
	s_or_b64 exec, exec, s[10:11]
	v_mov_b32_dpp v0, v16 row_shr:1 row_mask:0xf bank_mask:0xf
	v_mov_b32_dpp v1, v17 row_shr:1 row_mask:0xf bank_mask:0xf
	;; [unrolled: 1-line block ×4, first 2 shown]
	s_and_saveexec_b64 s[10:11], vcc
	s_cbranch_execz .LBB385_10
; %bb.16:                               ;   in Loop: Header=BB385_11 Depth=1
	v_add_f64 v[2:3], v[2:3], v[14:15]
	v_lshlrev_b64 v[14:15], 4, v[12:13]
	v_add_f64 v[0:1], v[16:17], v[0:1]
	v_mov_b32_e32 v16, s15
	v_add_co_u32_e64 v14, s[0:1], s14, v14
	v_addc_co_u32_e64 v15, s[0:1], v16, v15, s[0:1]
	s_and_saveexec_b64 s[0:1], s[2:3]
	s_cbranch_execz .LBB385_9
; %bb.17:                               ;   in Loop: Header=BB385_11 Depth=1
	global_load_dwordx4 v[16:19], v[14:15], off
	s_waitcnt vmcnt(0)
	v_fmac_f64_e32 v[0:1], v[8:9], v[16:17]
	v_fmac_f64_e32 v[2:3], v[10:11], v[16:17]
	v_fma_f64 v[0:1], -v[10:11], v[18:19], v[0:1]
	v_fmac_f64_e32 v[2:3], v[8:9], v[18:19]
	s_branch .LBB385_9
.LBB385_18:
	s_endpgm
	.section	.rodata,"a",@progbits
	.p2align	6, 0x0
	.amdhsa_kernel _ZN9rocsparseL21csrmvn_general_kernelILj256ELj2Ell21rocsparse_complex_numIfES1_IdES3_S3_EEvbT2_NS_24const_host_device_scalarIT6_EEPKT1_SA_PKS4_PKT3_PKT4_S7_PT5_21rocsparse_index_base_b
		.amdhsa_group_segment_fixed_size 4096
		.amdhsa_private_segment_fixed_size 0
		.amdhsa_kernarg_size 360
		.amdhsa_user_sgpr_count 8
		.amdhsa_user_sgpr_private_segment_buffer 1
		.amdhsa_user_sgpr_dispatch_ptr 1
		.amdhsa_user_sgpr_queue_ptr 0
		.amdhsa_user_sgpr_kernarg_segment_ptr 1
		.amdhsa_user_sgpr_dispatch_id 0
		.amdhsa_user_sgpr_flat_scratch_init 0
		.amdhsa_user_sgpr_kernarg_preload_length 0
		.amdhsa_user_sgpr_kernarg_preload_offset 0
		.amdhsa_user_sgpr_private_segment_size 0
		.amdhsa_uses_dynamic_stack 0
		.amdhsa_system_sgpr_private_segment_wavefront_offset 0
		.amdhsa_system_sgpr_workgroup_id_x 1
		.amdhsa_system_sgpr_workgroup_id_y 0
		.amdhsa_system_sgpr_workgroup_id_z 0
		.amdhsa_system_sgpr_workgroup_info 0
		.amdhsa_system_vgpr_workitem_id 2
		.amdhsa_next_free_vgpr 38
		.amdhsa_next_free_sgpr 28
		.amdhsa_accum_offset 40
		.amdhsa_reserve_vcc 1
		.amdhsa_reserve_flat_scratch 0
		.amdhsa_float_round_mode_32 0
		.amdhsa_float_round_mode_16_64 0
		.amdhsa_float_denorm_mode_32 3
		.amdhsa_float_denorm_mode_16_64 3
		.amdhsa_dx10_clamp 1
		.amdhsa_ieee_mode 1
		.amdhsa_fp16_overflow 0
		.amdhsa_tg_split 0
		.amdhsa_exception_fp_ieee_invalid_op 0
		.amdhsa_exception_fp_denorm_src 0
		.amdhsa_exception_fp_ieee_div_zero 0
		.amdhsa_exception_fp_ieee_overflow 0
		.amdhsa_exception_fp_ieee_underflow 0
		.amdhsa_exception_fp_ieee_inexact 0
		.amdhsa_exception_int_div_zero 0
	.end_amdhsa_kernel
	.section	.text._ZN9rocsparseL21csrmvn_general_kernelILj256ELj2Ell21rocsparse_complex_numIfES1_IdES3_S3_EEvbT2_NS_24const_host_device_scalarIT6_EEPKT1_SA_PKS4_PKT3_PKT4_S7_PT5_21rocsparse_index_base_b,"axG",@progbits,_ZN9rocsparseL21csrmvn_general_kernelILj256ELj2Ell21rocsparse_complex_numIfES1_IdES3_S3_EEvbT2_NS_24const_host_device_scalarIT6_EEPKT1_SA_PKS4_PKT3_PKT4_S7_PT5_21rocsparse_index_base_b,comdat
.Lfunc_end385:
	.size	_ZN9rocsparseL21csrmvn_general_kernelILj256ELj2Ell21rocsparse_complex_numIfES1_IdES3_S3_EEvbT2_NS_24const_host_device_scalarIT6_EEPKT1_SA_PKS4_PKT3_PKT4_S7_PT5_21rocsparse_index_base_b, .Lfunc_end385-_ZN9rocsparseL21csrmvn_general_kernelILj256ELj2Ell21rocsparse_complex_numIfES1_IdES3_S3_EEvbT2_NS_24const_host_device_scalarIT6_EEPKT1_SA_PKS4_PKT3_PKT4_S7_PT5_21rocsparse_index_base_b
                                        ; -- End function
	.section	.AMDGPU.csdata,"",@progbits
; Kernel info:
; codeLenInByte = 1092
; NumSgprs: 32
; NumVgprs: 38
; NumAgprs: 0
; TotalNumVgprs: 38
; ScratchSize: 0
; MemoryBound: 0
; FloatMode: 240
; IeeeMode: 1
; LDSByteSize: 4096 bytes/workgroup (compile time only)
; SGPRBlocks: 3
; VGPRBlocks: 4
; NumSGPRsForWavesPerEU: 32
; NumVGPRsForWavesPerEU: 38
; AccumOffset: 40
; Occupancy: 8
; WaveLimiterHint : 1
; COMPUTE_PGM_RSRC2:SCRATCH_EN: 0
; COMPUTE_PGM_RSRC2:USER_SGPR: 8
; COMPUTE_PGM_RSRC2:TRAP_HANDLER: 0
; COMPUTE_PGM_RSRC2:TGID_X_EN: 1
; COMPUTE_PGM_RSRC2:TGID_Y_EN: 0
; COMPUTE_PGM_RSRC2:TGID_Z_EN: 0
; COMPUTE_PGM_RSRC2:TIDIG_COMP_CNT: 2
; COMPUTE_PGM_RSRC3_GFX90A:ACCUM_OFFSET: 9
; COMPUTE_PGM_RSRC3_GFX90A:TG_SPLIT: 0
	.section	.text._ZN9rocsparseL21csrmvn_general_kernelILj256ELj4Ell21rocsparse_complex_numIfES1_IdES3_S3_EEvbT2_NS_24const_host_device_scalarIT6_EEPKT1_SA_PKS4_PKT3_PKT4_S7_PT5_21rocsparse_index_base_b,"axG",@progbits,_ZN9rocsparseL21csrmvn_general_kernelILj256ELj4Ell21rocsparse_complex_numIfES1_IdES3_S3_EEvbT2_NS_24const_host_device_scalarIT6_EEPKT1_SA_PKS4_PKT3_PKT4_S7_PT5_21rocsparse_index_base_b,comdat
	.globl	_ZN9rocsparseL21csrmvn_general_kernelILj256ELj4Ell21rocsparse_complex_numIfES1_IdES3_S3_EEvbT2_NS_24const_host_device_scalarIT6_EEPKT1_SA_PKS4_PKT3_PKT4_S7_PT5_21rocsparse_index_base_b ; -- Begin function _ZN9rocsparseL21csrmvn_general_kernelILj256ELj4Ell21rocsparse_complex_numIfES1_IdES3_S3_EEvbT2_NS_24const_host_device_scalarIT6_EEPKT1_SA_PKS4_PKT3_PKT4_S7_PT5_21rocsparse_index_base_b
	.p2align	8
	.type	_ZN9rocsparseL21csrmvn_general_kernelILj256ELj4Ell21rocsparse_complex_numIfES1_IdES3_S3_EEvbT2_NS_24const_host_device_scalarIT6_EEPKT1_SA_PKS4_PKT3_PKT4_S7_PT5_21rocsparse_index_base_b,@function
_ZN9rocsparseL21csrmvn_general_kernelILj256ELj4Ell21rocsparse_complex_numIfES1_IdES3_S3_EEvbT2_NS_24const_host_device_scalarIT6_EEPKT1_SA_PKS4_PKT3_PKT4_S7_PT5_21rocsparse_index_base_b: ; @_ZN9rocsparseL21csrmvn_general_kernelILj256ELj4Ell21rocsparse_complex_numIfES1_IdES3_S3_EEvbT2_NS_24const_host_device_scalarIT6_EEPKT1_SA_PKS4_PKT3_PKT4_S7_PT5_21rocsparse_index_base_b
; %bb.0:
	s_load_dwordx2 s[24:25], s[6:7], 0x60
	s_load_dwordx8 s[12:19], s[6:7], 0x8
	s_load_dwordx4 s[20:23], s[6:7], 0x48
	s_mov_b64 s[2:3], src_shared_base
	s_load_dwordx2 s[4:5], s[4:5], 0x4
	s_waitcnt lgkmcnt(0)
	s_bitcmp1_b32 s25, 0
	s_cselect_b64 s[0:1], -1, 0
	s_and_b64 vcc, s[0:1], exec
	s_cselect_b32 s2, s3, s15
	s_lshr_b32 s4, s4, 16
	v_and_b32_e32 v1, 0x3ff, v0
	s_mul_i32 s4, s4, s5
	v_mul_lo_u32 v2, s4, v1
	v_bfe_u32 v3, v0, 10, 10
	v_mad_u32_u24 v2, v3, s5, v2
	v_bfe_u32 v0, v0, 20, 10
	v_add_lshl_u32 v0, v2, v0, 3
	v_mov_b32_e32 v6, s14
	v_add_u32_e32 v7, 0x800, v0
	v_pk_mov_b32 v[2:3], s[14:15], s[14:15] op_sel:[0,1]
	v_pk_mov_b32 v[4:5], s[20:21], s[20:21] op_sel:[0,1]
	ds_write2st64_b64 v0, v[4:5], v[2:3] offset1:4
	v_cndmask_b32_e64 v2, v6, v7, s[0:1]
	v_mov_b32_e32 v3, s2
	flat_load_dwordx2 v[4:5], v[2:3]
	s_xor_b64 s[4:5], s[0:1], -1
	v_pk_mov_b32 v[6:7], s[16:17], s[16:17] op_sel:[0,1]
	s_cbranch_vccnz .LBB386_2
; %bb.1:
	v_pk_mov_b32 v[2:3], s[14:15], s[14:15] op_sel:[0,1]
	flat_load_dwordx2 v[6:7], v[2:3] offset:8
.LBB386_2:
	s_and_b64 s[10:11], s[0:1], exec
	s_cselect_b32 s2, s3, s21
	v_mov_b32_e32 v2, s20
	v_cndmask_b32_e64 v2, v2, v0, s[0:1]
	v_mov_b32_e32 v3, s2
	flat_load_dwordx2 v[8:9], v[2:3]
	s_andn2_b64 vcc, exec, s[4:5]
	v_pk_mov_b32 v[10:11], s[22:23], s[22:23] op_sel:[0,1]
	s_cbranch_vccnz .LBB386_4
; %bb.3:
	v_pk_mov_b32 v[2:3], s[20:21], s[20:21] op_sel:[0,1]
	flat_load_dwordx2 v[10:11], v[2:3] offset:8
.LBB386_4:
	s_waitcnt vmcnt(0) lgkmcnt(0)
	v_cmp_eq_f64_e32 vcc, 0, v[4:5]
	v_cmp_eq_f64_e64 s[0:1], 0, v[6:7]
	s_and_b64 s[4:5], vcc, s[0:1]
	s_mov_b64 s[0:1], -1
	s_and_saveexec_b64 s[2:3], s[4:5]
; %bb.5:
	v_cmp_neq_f64_e32 vcc, 1.0, v[8:9]
	v_cmp_neq_f64_e64 s[0:1], 0, v[10:11]
	s_or_b64 s[0:1], vcc, s[0:1]
	s_orn2_b64 s[0:1], s[0:1], exec
; %bb.6:
	s_or_b64 exec, exec, s[2:3]
	s_and_saveexec_b64 s[2:3], s[0:1]
	s_cbranch_execz .LBB386_18
; %bb.7:
	s_load_dwordx2 s[4:5], s[6:7], 0x28
	v_lshl_or_b32 v0, s8, 8, v1
	v_lshrrev_b32_e32 v12, 2, v0
	v_mov_b32_e32 v13, 0
	v_cmp_gt_i64_e32 vcc, s[12:13], v[12:13]
	s_and_b64 exec, exec, vcc
	s_cbranch_execz .LBB386_18
; %bb.8:
	s_load_dword s2, s[6:7], 0x68
	s_load_dwordx4 s[8:11], s[6:7], 0x30
	s_load_dword s3, s[6:7], 0x0
	s_load_dwordx2 s[14:15], s[6:7], 0x58
	s_load_dwordx2 s[0:1], s[6:7], 0x40
	v_and_b32_e32 v0, 3, v1
	s_waitcnt lgkmcnt(0)
	s_lshl_b32 s22, s2, 6
	v_subrev_co_u32_e32 v22, vcc, s24, v0
	s_bitcmp1_b32 s3, 0
	v_subb_co_u32_e64 v23, s[2:3], 0, 0, vcc
	s_cselect_b64 s[6:7], -1, 0
	s_ashr_i32 s3, s24, 31
	s_mov_b32 s2, s24
	s_lshl_b64 s[2:3], s[2:3], 4
	s_sub_u32 s25, s0, s2
	s_subb_u32 s21, s1, s3
	v_cmp_neq_f64_e64 s[0:1], 0, v[8:9]
	v_cmp_neq_f64_e64 s[2:3], 0, v[10:11]
	s_or_b64 s[2:3], s[0:1], s[2:3]
	s_mov_b32 s23, 0
	s_add_u32 s26, s10, 4
	v_cmp_eq_u32_e32 vcc, 3, v0
	s_mov_b64 s[16:17], 0
	s_addc_u32 s27, s11, 0
	v_mov_b32_e32 v24, s19
	v_mov_b32_e32 v25, s5
	;; [unrolled: 1-line block ×4, first 2 shown]
	s_branch .LBB386_11
.LBB386_9:                              ;   in Loop: Header=BB386_11 Depth=1
	s_or_b64 exec, exec, s[0:1]
	global_store_dwordx4 v[14:15], v[0:3], off
.LBB386_10:                             ;   in Loop: Header=BB386_11 Depth=1
	s_or_b64 exec, exec, s[10:11]
	v_mov_b32_e32 v0, s23
	v_add_co_u32_e64 v12, s[0:1], s22, v12
	v_addc_co_u32_e64 v13, s[0:1], v13, v0, s[0:1]
	v_cmp_le_i64_e64 s[0:1], s[12:13], v[12:13]
	s_or_b64 s[16:17], s[0:1], s[16:17]
	s_andn2_b64 exec, exec, s[16:17]
	s_cbranch_execz .LBB386_18
.LBB386_11:                             ; =>This Loop Header: Depth=1
                                        ;     Child Loop BB386_13 Depth 2
	v_lshlrev_b64 v[0:1], 3, v[12:13]
	v_add_co_u32_e64 v2, s[0:1], s4, v0
	v_addc_co_u32_e64 v3, s[0:1], v25, v1, s[0:1]
	global_load_dwordx2 v[2:3], v[2:3], off
	v_add_co_u32_e64 v0, s[0:1], s18, v0
	v_addc_co_u32_e64 v1, s[0:1], v24, v1, s[0:1]
	global_load_dwordx2 v[14:15], v[0:1], off
	v_pk_mov_b32 v[0:1], 0, 0
	v_pk_mov_b32 v[16:17], v[0:1], v[0:1] op_sel:[0,1]
	s_waitcnt vmcnt(1)
	v_subrev_co_u32_e64 v2, s[0:1], s24, v2
	v_subb_co_u32_e64 v3, s[0:1], v3, v26, s[0:1]
	s_waitcnt vmcnt(0)
	v_add_co_u32_e64 v14, s[0:1], v14, v22
	v_addc_co_u32_e64 v15, s[0:1], v15, v23, s[0:1]
	v_cmp_lt_i64_e64 s[0:1], v[14:15], v[2:3]
	s_and_saveexec_b64 s[10:11], s[0:1]
	s_cbranch_execz .LBB386_15
; %bb.12:                               ;   in Loop: Header=BB386_11 Depth=1
	v_lshlrev_b64 v[0:1], 3, v[14:15]
	v_mov_b32_e32 v16, s27
	v_add_co_u32_e64 v18, s[0:1], s26, v0
	v_addc_co_u32_e64 v19, s[0:1], v16, v1, s[0:1]
	v_mov_b32_e32 v16, s9
	v_add_co_u32_e64 v20, s[0:1], s8, v0
	v_addc_co_u32_e64 v21, s[0:1], v16, v1, s[0:1]
	v_pk_mov_b32 v[0:1], 0, 0
	s_mov_b64 s[20:21], 0
	v_pk_mov_b32 v[16:17], v[0:1], v[0:1] op_sel:[0,1]
.LBB386_13:                             ;   Parent Loop BB386_11 Depth=1
                                        ; =>  This Inner Loop Header: Depth=2
	global_load_dwordx2 v[28:29], v[20:21], off
	global_load_dwordx2 v[32:33], v[18:19], off offset:-4
	s_waitcnt vmcnt(1)
	v_lshlrev_b64 v[28:29], 4, v[28:29]
	v_add_co_u32_e64 v28, s[0:1], s25, v28
	v_addc_co_u32_e64 v29, s[0:1], v27, v29, s[0:1]
	global_load_dwordx4 v[28:31], v[28:29], off
	v_add_co_u32_e64 v14, s[0:1], 4, v14
	v_addc_co_u32_e64 v15, s[0:1], 0, v15, s[0:1]
	v_add_co_u32_e64 v18, s[0:1], 32, v18
	s_waitcnt vmcnt(1)
	v_cndmask_b32_e64 v34, v33, -v33, s[6:7]
	v_addc_co_u32_e64 v19, s[0:1], 0, v19, s[0:1]
	v_cvt_f64_f32_e32 v[34:35], v34
	v_add_co_u32_e64 v20, s[0:1], 32, v20
	v_cvt_f64_f32_e32 v[32:33], v32
	v_mul_f64 v[36:37], -v[6:7], v[34:35]
	v_mul_f64 v[34:35], v[4:5], v[34:35]
	v_addc_co_u32_e64 v21, s[0:1], 0, v21, s[0:1]
	v_fmac_f64_e32 v[36:37], v[4:5], v[32:33]
	v_fmac_f64_e32 v[34:35], v[6:7], v[32:33]
	v_cmp_ge_i64_e64 s[0:1], v[14:15], v[2:3]
	s_or_b64 s[20:21], s[0:1], s[20:21]
	s_waitcnt vmcnt(0)
	v_fmac_f64_e32 v[16:17], v[36:37], v[28:29]
	v_fmac_f64_e32 v[0:1], v[34:35], v[28:29]
	v_fma_f64 v[16:17], -v[34:35], v[30:31], v[16:17]
	v_fmac_f64_e32 v[0:1], v[36:37], v[30:31]
	s_andn2_b64 exec, exec, s[20:21]
	s_cbranch_execnz .LBB386_13
; %bb.14:                               ;   in Loop: Header=BB386_11 Depth=1
	s_or_b64 exec, exec, s[20:21]
.LBB386_15:                             ;   in Loop: Header=BB386_11 Depth=1
	s_or_b64 exec, exec, s[10:11]
	v_mov_b32_dpp v2, v16 row_shr:1 row_mask:0xf bank_mask:0xf
	v_mov_b32_dpp v3, v17 row_shr:1 row_mask:0xf bank_mask:0xf
	v_add_f64 v[2:3], v[16:17], v[2:3]
	v_mov_b32_dpp v16, v0 row_shr:1 row_mask:0xf bank_mask:0xf
	v_mov_b32_dpp v17, v1 row_shr:1 row_mask:0xf bank_mask:0xf
	v_add_f64 v[16:17], v[0:1], v[16:17]
	v_mov_b32_dpp v14, v2 row_shr:2 row_mask:0xf bank_mask:0xf
	v_mov_b32_dpp v15, v3 row_shr:2 row_mask:0xf bank_mask:0xf
	;; [unrolled: 1-line block ×4, first 2 shown]
	s_and_saveexec_b64 s[10:11], vcc
	s_cbranch_execz .LBB386_10
; %bb.16:                               ;   in Loop: Header=BB386_11 Depth=1
	v_add_f64 v[0:1], v[2:3], v[14:15]
	v_lshlrev_b64 v[14:15], 4, v[12:13]
	v_add_f64 v[2:3], v[16:17], v[18:19]
	v_mov_b32_e32 v16, s15
	v_add_co_u32_e64 v14, s[0:1], s14, v14
	v_addc_co_u32_e64 v15, s[0:1], v16, v15, s[0:1]
	s_and_saveexec_b64 s[0:1], s[2:3]
	s_cbranch_execz .LBB386_9
; %bb.17:                               ;   in Loop: Header=BB386_11 Depth=1
	global_load_dwordx4 v[16:19], v[14:15], off
	s_waitcnt vmcnt(0)
	v_fmac_f64_e32 v[0:1], v[8:9], v[16:17]
	v_fmac_f64_e32 v[2:3], v[10:11], v[16:17]
	v_fma_f64 v[0:1], -v[10:11], v[18:19], v[0:1]
	v_fmac_f64_e32 v[2:3], v[8:9], v[18:19]
	s_branch .LBB386_9
.LBB386_18:
	s_endpgm
	.section	.rodata,"a",@progbits
	.p2align	6, 0x0
	.amdhsa_kernel _ZN9rocsparseL21csrmvn_general_kernelILj256ELj4Ell21rocsparse_complex_numIfES1_IdES3_S3_EEvbT2_NS_24const_host_device_scalarIT6_EEPKT1_SA_PKS4_PKT3_PKT4_S7_PT5_21rocsparse_index_base_b
		.amdhsa_group_segment_fixed_size 4096
		.amdhsa_private_segment_fixed_size 0
		.amdhsa_kernarg_size 360
		.amdhsa_user_sgpr_count 8
		.amdhsa_user_sgpr_private_segment_buffer 1
		.amdhsa_user_sgpr_dispatch_ptr 1
		.amdhsa_user_sgpr_queue_ptr 0
		.amdhsa_user_sgpr_kernarg_segment_ptr 1
		.amdhsa_user_sgpr_dispatch_id 0
		.amdhsa_user_sgpr_flat_scratch_init 0
		.amdhsa_user_sgpr_kernarg_preload_length 0
		.amdhsa_user_sgpr_kernarg_preload_offset 0
		.amdhsa_user_sgpr_private_segment_size 0
		.amdhsa_uses_dynamic_stack 0
		.amdhsa_system_sgpr_private_segment_wavefront_offset 0
		.amdhsa_system_sgpr_workgroup_id_x 1
		.amdhsa_system_sgpr_workgroup_id_y 0
		.amdhsa_system_sgpr_workgroup_id_z 0
		.amdhsa_system_sgpr_workgroup_info 0
		.amdhsa_system_vgpr_workitem_id 2
		.amdhsa_next_free_vgpr 38
		.amdhsa_next_free_sgpr 28
		.amdhsa_accum_offset 40
		.amdhsa_reserve_vcc 1
		.amdhsa_reserve_flat_scratch 0
		.amdhsa_float_round_mode_32 0
		.amdhsa_float_round_mode_16_64 0
		.amdhsa_float_denorm_mode_32 3
		.amdhsa_float_denorm_mode_16_64 3
		.amdhsa_dx10_clamp 1
		.amdhsa_ieee_mode 1
		.amdhsa_fp16_overflow 0
		.amdhsa_tg_split 0
		.amdhsa_exception_fp_ieee_invalid_op 0
		.amdhsa_exception_fp_denorm_src 0
		.amdhsa_exception_fp_ieee_div_zero 0
		.amdhsa_exception_fp_ieee_overflow 0
		.amdhsa_exception_fp_ieee_underflow 0
		.amdhsa_exception_fp_ieee_inexact 0
		.amdhsa_exception_int_div_zero 0
	.end_amdhsa_kernel
	.section	.text._ZN9rocsparseL21csrmvn_general_kernelILj256ELj4Ell21rocsparse_complex_numIfES1_IdES3_S3_EEvbT2_NS_24const_host_device_scalarIT6_EEPKT1_SA_PKS4_PKT3_PKT4_S7_PT5_21rocsparse_index_base_b,"axG",@progbits,_ZN9rocsparseL21csrmvn_general_kernelILj256ELj4Ell21rocsparse_complex_numIfES1_IdES3_S3_EEvbT2_NS_24const_host_device_scalarIT6_EEPKT1_SA_PKS4_PKT3_PKT4_S7_PT5_21rocsparse_index_base_b,comdat
.Lfunc_end386:
	.size	_ZN9rocsparseL21csrmvn_general_kernelILj256ELj4Ell21rocsparse_complex_numIfES1_IdES3_S3_EEvbT2_NS_24const_host_device_scalarIT6_EEPKT1_SA_PKS4_PKT3_PKT4_S7_PT5_21rocsparse_index_base_b, .Lfunc_end386-_ZN9rocsparseL21csrmvn_general_kernelILj256ELj4Ell21rocsparse_complex_numIfES1_IdES3_S3_EEvbT2_NS_24const_host_device_scalarIT6_EEPKT1_SA_PKS4_PKT3_PKT4_S7_PT5_21rocsparse_index_base_b
                                        ; -- End function
	.section	.AMDGPU.csdata,"",@progbits
; Kernel info:
; codeLenInByte = 1140
; NumSgprs: 32
; NumVgprs: 38
; NumAgprs: 0
; TotalNumVgprs: 38
; ScratchSize: 0
; MemoryBound: 0
; FloatMode: 240
; IeeeMode: 1
; LDSByteSize: 4096 bytes/workgroup (compile time only)
; SGPRBlocks: 3
; VGPRBlocks: 4
; NumSGPRsForWavesPerEU: 32
; NumVGPRsForWavesPerEU: 38
; AccumOffset: 40
; Occupancy: 8
; WaveLimiterHint : 1
; COMPUTE_PGM_RSRC2:SCRATCH_EN: 0
; COMPUTE_PGM_RSRC2:USER_SGPR: 8
; COMPUTE_PGM_RSRC2:TRAP_HANDLER: 0
; COMPUTE_PGM_RSRC2:TGID_X_EN: 1
; COMPUTE_PGM_RSRC2:TGID_Y_EN: 0
; COMPUTE_PGM_RSRC2:TGID_Z_EN: 0
; COMPUTE_PGM_RSRC2:TIDIG_COMP_CNT: 2
; COMPUTE_PGM_RSRC3_GFX90A:ACCUM_OFFSET: 9
; COMPUTE_PGM_RSRC3_GFX90A:TG_SPLIT: 0
	.section	.text._ZN9rocsparseL21csrmvn_general_kernelILj256ELj8Ell21rocsparse_complex_numIfES1_IdES3_S3_EEvbT2_NS_24const_host_device_scalarIT6_EEPKT1_SA_PKS4_PKT3_PKT4_S7_PT5_21rocsparse_index_base_b,"axG",@progbits,_ZN9rocsparseL21csrmvn_general_kernelILj256ELj8Ell21rocsparse_complex_numIfES1_IdES3_S3_EEvbT2_NS_24const_host_device_scalarIT6_EEPKT1_SA_PKS4_PKT3_PKT4_S7_PT5_21rocsparse_index_base_b,comdat
	.globl	_ZN9rocsparseL21csrmvn_general_kernelILj256ELj8Ell21rocsparse_complex_numIfES1_IdES3_S3_EEvbT2_NS_24const_host_device_scalarIT6_EEPKT1_SA_PKS4_PKT3_PKT4_S7_PT5_21rocsparse_index_base_b ; -- Begin function _ZN9rocsparseL21csrmvn_general_kernelILj256ELj8Ell21rocsparse_complex_numIfES1_IdES3_S3_EEvbT2_NS_24const_host_device_scalarIT6_EEPKT1_SA_PKS4_PKT3_PKT4_S7_PT5_21rocsparse_index_base_b
	.p2align	8
	.type	_ZN9rocsparseL21csrmvn_general_kernelILj256ELj8Ell21rocsparse_complex_numIfES1_IdES3_S3_EEvbT2_NS_24const_host_device_scalarIT6_EEPKT1_SA_PKS4_PKT3_PKT4_S7_PT5_21rocsparse_index_base_b,@function
_ZN9rocsparseL21csrmvn_general_kernelILj256ELj8Ell21rocsparse_complex_numIfES1_IdES3_S3_EEvbT2_NS_24const_host_device_scalarIT6_EEPKT1_SA_PKS4_PKT3_PKT4_S7_PT5_21rocsparse_index_base_b: ; @_ZN9rocsparseL21csrmvn_general_kernelILj256ELj8Ell21rocsparse_complex_numIfES1_IdES3_S3_EEvbT2_NS_24const_host_device_scalarIT6_EEPKT1_SA_PKS4_PKT3_PKT4_S7_PT5_21rocsparse_index_base_b
; %bb.0:
	s_load_dwordx2 s[24:25], s[6:7], 0x60
	s_load_dwordx8 s[12:19], s[6:7], 0x8
	s_load_dwordx4 s[20:23], s[6:7], 0x48
	s_mov_b64 s[2:3], src_shared_base
	s_load_dwordx2 s[4:5], s[4:5], 0x4
	s_waitcnt lgkmcnt(0)
	s_bitcmp1_b32 s25, 0
	s_cselect_b64 s[0:1], -1, 0
	s_and_b64 vcc, s[0:1], exec
	s_cselect_b32 s2, s3, s15
	s_lshr_b32 s4, s4, 16
	v_and_b32_e32 v1, 0x3ff, v0
	s_mul_i32 s4, s4, s5
	v_mul_lo_u32 v2, s4, v1
	v_bfe_u32 v3, v0, 10, 10
	v_mad_u32_u24 v2, v3, s5, v2
	v_bfe_u32 v0, v0, 20, 10
	v_add_lshl_u32 v0, v2, v0, 3
	v_mov_b32_e32 v6, s14
	v_add_u32_e32 v7, 0x800, v0
	v_pk_mov_b32 v[2:3], s[14:15], s[14:15] op_sel:[0,1]
	v_pk_mov_b32 v[4:5], s[20:21], s[20:21] op_sel:[0,1]
	ds_write2st64_b64 v0, v[4:5], v[2:3] offset1:4
	v_cndmask_b32_e64 v2, v6, v7, s[0:1]
	v_mov_b32_e32 v3, s2
	flat_load_dwordx2 v[4:5], v[2:3]
	s_xor_b64 s[4:5], s[0:1], -1
	v_pk_mov_b32 v[6:7], s[16:17], s[16:17] op_sel:[0,1]
	s_cbranch_vccnz .LBB387_2
; %bb.1:
	v_pk_mov_b32 v[2:3], s[14:15], s[14:15] op_sel:[0,1]
	flat_load_dwordx2 v[6:7], v[2:3] offset:8
.LBB387_2:
	s_and_b64 s[10:11], s[0:1], exec
	s_cselect_b32 s2, s3, s21
	v_mov_b32_e32 v2, s20
	v_cndmask_b32_e64 v2, v2, v0, s[0:1]
	v_mov_b32_e32 v3, s2
	flat_load_dwordx2 v[8:9], v[2:3]
	s_andn2_b64 vcc, exec, s[4:5]
	v_pk_mov_b32 v[10:11], s[22:23], s[22:23] op_sel:[0,1]
	s_cbranch_vccnz .LBB387_4
; %bb.3:
	v_pk_mov_b32 v[2:3], s[20:21], s[20:21] op_sel:[0,1]
	flat_load_dwordx2 v[10:11], v[2:3] offset:8
.LBB387_4:
	s_waitcnt vmcnt(0) lgkmcnt(0)
	v_cmp_eq_f64_e32 vcc, 0, v[4:5]
	v_cmp_eq_f64_e64 s[0:1], 0, v[6:7]
	s_and_b64 s[4:5], vcc, s[0:1]
	s_mov_b64 s[0:1], -1
	s_and_saveexec_b64 s[2:3], s[4:5]
; %bb.5:
	v_cmp_neq_f64_e32 vcc, 1.0, v[8:9]
	v_cmp_neq_f64_e64 s[0:1], 0, v[10:11]
	s_or_b64 s[0:1], vcc, s[0:1]
	s_orn2_b64 s[0:1], s[0:1], exec
; %bb.6:
	s_or_b64 exec, exec, s[2:3]
	s_and_saveexec_b64 s[2:3], s[0:1]
	s_cbranch_execz .LBB387_18
; %bb.7:
	s_load_dwordx2 s[4:5], s[6:7], 0x28
	v_lshl_or_b32 v0, s8, 8, v1
	v_lshrrev_b32_e32 v12, 3, v0
	v_mov_b32_e32 v13, 0
	v_cmp_gt_i64_e32 vcc, s[12:13], v[12:13]
	s_and_b64 exec, exec, vcc
	s_cbranch_execz .LBB387_18
; %bb.8:
	s_load_dword s2, s[6:7], 0x68
	s_load_dwordx4 s[8:11], s[6:7], 0x30
	s_load_dword s3, s[6:7], 0x0
	s_load_dwordx2 s[14:15], s[6:7], 0x58
	s_load_dwordx2 s[0:1], s[6:7], 0x40
	v_and_b32_e32 v0, 7, v1
	s_waitcnt lgkmcnt(0)
	s_lshl_b32 s22, s2, 5
	v_subrev_co_u32_e32 v22, vcc, s24, v0
	s_bitcmp1_b32 s3, 0
	v_subb_co_u32_e64 v23, s[2:3], 0, 0, vcc
	s_cselect_b64 s[6:7], -1, 0
	s_ashr_i32 s3, s24, 31
	s_mov_b32 s2, s24
	s_lshl_b64 s[2:3], s[2:3], 4
	s_sub_u32 s25, s0, s2
	s_subb_u32 s21, s1, s3
	v_cmp_neq_f64_e64 s[0:1], 0, v[8:9]
	v_cmp_neq_f64_e64 s[2:3], 0, v[10:11]
	s_or_b64 s[2:3], s[0:1], s[2:3]
	s_mov_b32 s23, 0
	s_add_u32 s26, s10, 4
	v_cmp_eq_u32_e32 vcc, 7, v0
	s_mov_b64 s[16:17], 0
	s_addc_u32 s27, s11, 0
	v_mov_b32_e32 v24, s19
	v_mov_b32_e32 v25, s5
	;; [unrolled: 1-line block ×4, first 2 shown]
	s_branch .LBB387_11
.LBB387_9:                              ;   in Loop: Header=BB387_11 Depth=1
	s_or_b64 exec, exec, s[0:1]
	global_store_dwordx4 v[14:15], v[0:3], off
.LBB387_10:                             ;   in Loop: Header=BB387_11 Depth=1
	s_or_b64 exec, exec, s[10:11]
	v_mov_b32_e32 v0, s23
	v_add_co_u32_e64 v12, s[0:1], s22, v12
	v_addc_co_u32_e64 v13, s[0:1], v13, v0, s[0:1]
	v_cmp_le_i64_e64 s[0:1], s[12:13], v[12:13]
	s_or_b64 s[16:17], s[0:1], s[16:17]
	s_andn2_b64 exec, exec, s[16:17]
	s_cbranch_execz .LBB387_18
.LBB387_11:                             ; =>This Loop Header: Depth=1
                                        ;     Child Loop BB387_13 Depth 2
	v_lshlrev_b64 v[0:1], 3, v[12:13]
	v_add_co_u32_e64 v2, s[0:1], s4, v0
	v_addc_co_u32_e64 v3, s[0:1], v25, v1, s[0:1]
	global_load_dwordx2 v[2:3], v[2:3], off
	v_add_co_u32_e64 v0, s[0:1], s18, v0
	v_addc_co_u32_e64 v1, s[0:1], v24, v1, s[0:1]
	global_load_dwordx2 v[14:15], v[0:1], off
	v_pk_mov_b32 v[0:1], 0, 0
	v_pk_mov_b32 v[16:17], v[0:1], v[0:1] op_sel:[0,1]
	s_waitcnt vmcnt(1)
	v_subrev_co_u32_e64 v2, s[0:1], s24, v2
	v_subb_co_u32_e64 v3, s[0:1], v3, v26, s[0:1]
	s_waitcnt vmcnt(0)
	v_add_co_u32_e64 v14, s[0:1], v14, v22
	v_addc_co_u32_e64 v15, s[0:1], v15, v23, s[0:1]
	v_cmp_lt_i64_e64 s[0:1], v[14:15], v[2:3]
	s_and_saveexec_b64 s[10:11], s[0:1]
	s_cbranch_execz .LBB387_15
; %bb.12:                               ;   in Loop: Header=BB387_11 Depth=1
	v_lshlrev_b64 v[0:1], 3, v[14:15]
	v_mov_b32_e32 v16, s27
	v_add_co_u32_e64 v18, s[0:1], s26, v0
	v_addc_co_u32_e64 v19, s[0:1], v16, v1, s[0:1]
	v_mov_b32_e32 v16, s9
	v_add_co_u32_e64 v20, s[0:1], s8, v0
	v_addc_co_u32_e64 v21, s[0:1], v16, v1, s[0:1]
	v_pk_mov_b32 v[0:1], 0, 0
	s_mov_b64 s[20:21], 0
	v_pk_mov_b32 v[16:17], v[0:1], v[0:1] op_sel:[0,1]
.LBB387_13:                             ;   Parent Loop BB387_11 Depth=1
                                        ; =>  This Inner Loop Header: Depth=2
	global_load_dwordx2 v[28:29], v[20:21], off
	global_load_dwordx2 v[32:33], v[18:19], off offset:-4
	s_waitcnt vmcnt(1)
	v_lshlrev_b64 v[28:29], 4, v[28:29]
	v_add_co_u32_e64 v28, s[0:1], s25, v28
	v_addc_co_u32_e64 v29, s[0:1], v27, v29, s[0:1]
	global_load_dwordx4 v[28:31], v[28:29], off
	v_add_co_u32_e64 v14, s[0:1], 8, v14
	v_addc_co_u32_e64 v15, s[0:1], 0, v15, s[0:1]
	v_add_co_u32_e64 v18, s[0:1], 64, v18
	s_waitcnt vmcnt(1)
	v_cndmask_b32_e64 v34, v33, -v33, s[6:7]
	v_addc_co_u32_e64 v19, s[0:1], 0, v19, s[0:1]
	v_cvt_f64_f32_e32 v[34:35], v34
	v_add_co_u32_e64 v20, s[0:1], 64, v20
	v_cvt_f64_f32_e32 v[32:33], v32
	v_mul_f64 v[36:37], -v[6:7], v[34:35]
	v_mul_f64 v[34:35], v[4:5], v[34:35]
	v_addc_co_u32_e64 v21, s[0:1], 0, v21, s[0:1]
	v_fmac_f64_e32 v[36:37], v[4:5], v[32:33]
	v_fmac_f64_e32 v[34:35], v[6:7], v[32:33]
	v_cmp_ge_i64_e64 s[0:1], v[14:15], v[2:3]
	s_or_b64 s[20:21], s[0:1], s[20:21]
	s_waitcnt vmcnt(0)
	v_fmac_f64_e32 v[16:17], v[36:37], v[28:29]
	v_fmac_f64_e32 v[0:1], v[34:35], v[28:29]
	v_fma_f64 v[16:17], -v[34:35], v[30:31], v[16:17]
	v_fmac_f64_e32 v[0:1], v[36:37], v[30:31]
	s_andn2_b64 exec, exec, s[20:21]
	s_cbranch_execnz .LBB387_13
; %bb.14:                               ;   in Loop: Header=BB387_11 Depth=1
	s_or_b64 exec, exec, s[20:21]
.LBB387_15:                             ;   in Loop: Header=BB387_11 Depth=1
	s_or_b64 exec, exec, s[10:11]
	v_mov_b32_dpp v2, v16 row_shr:1 row_mask:0xf bank_mask:0xf
	v_mov_b32_dpp v3, v17 row_shr:1 row_mask:0xf bank_mask:0xf
	v_add_f64 v[2:3], v[16:17], v[2:3]
	v_mov_b32_dpp v16, v0 row_shr:1 row_mask:0xf bank_mask:0xf
	v_mov_b32_dpp v17, v1 row_shr:1 row_mask:0xf bank_mask:0xf
	v_add_f64 v[0:1], v[0:1], v[16:17]
	v_mov_b32_dpp v14, v2 row_shr:2 row_mask:0xf bank_mask:0xf
	v_mov_b32_dpp v15, v3 row_shr:2 row_mask:0xf bank_mask:0xf
	;; [unrolled: 1-line block ×4, first 2 shown]
	v_add_f64 v[2:3], v[2:3], v[14:15]
	v_add_f64 v[16:17], v[0:1], v[16:17]
	s_nop 0
	v_mov_b32_dpp v14, v2 row_shr:4 row_mask:0xf bank_mask:0xe
	v_mov_b32_dpp v15, v3 row_shr:4 row_mask:0xf bank_mask:0xe
	;; [unrolled: 1-line block ×4, first 2 shown]
	s_and_saveexec_b64 s[10:11], vcc
	s_cbranch_execz .LBB387_10
; %bb.16:                               ;   in Loop: Header=BB387_11 Depth=1
	v_add_f64 v[0:1], v[2:3], v[14:15]
	v_lshlrev_b64 v[14:15], 4, v[12:13]
	v_add_f64 v[2:3], v[16:17], v[18:19]
	v_mov_b32_e32 v16, s15
	v_add_co_u32_e64 v14, s[0:1], s14, v14
	v_addc_co_u32_e64 v15, s[0:1], v16, v15, s[0:1]
	s_and_saveexec_b64 s[0:1], s[2:3]
	s_cbranch_execz .LBB387_9
; %bb.17:                               ;   in Loop: Header=BB387_11 Depth=1
	global_load_dwordx4 v[16:19], v[14:15], off
	s_waitcnt vmcnt(0)
	v_fmac_f64_e32 v[0:1], v[8:9], v[16:17]
	v_fmac_f64_e32 v[2:3], v[10:11], v[16:17]
	v_fma_f64 v[0:1], -v[10:11], v[18:19], v[0:1]
	v_fmac_f64_e32 v[2:3], v[8:9], v[18:19]
	s_branch .LBB387_9
.LBB387_18:
	s_endpgm
	.section	.rodata,"a",@progbits
	.p2align	6, 0x0
	.amdhsa_kernel _ZN9rocsparseL21csrmvn_general_kernelILj256ELj8Ell21rocsparse_complex_numIfES1_IdES3_S3_EEvbT2_NS_24const_host_device_scalarIT6_EEPKT1_SA_PKS4_PKT3_PKT4_S7_PT5_21rocsparse_index_base_b
		.amdhsa_group_segment_fixed_size 4096
		.amdhsa_private_segment_fixed_size 0
		.amdhsa_kernarg_size 360
		.amdhsa_user_sgpr_count 8
		.amdhsa_user_sgpr_private_segment_buffer 1
		.amdhsa_user_sgpr_dispatch_ptr 1
		.amdhsa_user_sgpr_queue_ptr 0
		.amdhsa_user_sgpr_kernarg_segment_ptr 1
		.amdhsa_user_sgpr_dispatch_id 0
		.amdhsa_user_sgpr_flat_scratch_init 0
		.amdhsa_user_sgpr_kernarg_preload_length 0
		.amdhsa_user_sgpr_kernarg_preload_offset 0
		.amdhsa_user_sgpr_private_segment_size 0
		.amdhsa_uses_dynamic_stack 0
		.amdhsa_system_sgpr_private_segment_wavefront_offset 0
		.amdhsa_system_sgpr_workgroup_id_x 1
		.amdhsa_system_sgpr_workgroup_id_y 0
		.amdhsa_system_sgpr_workgroup_id_z 0
		.amdhsa_system_sgpr_workgroup_info 0
		.amdhsa_system_vgpr_workitem_id 2
		.amdhsa_next_free_vgpr 38
		.amdhsa_next_free_sgpr 28
		.amdhsa_accum_offset 40
		.amdhsa_reserve_vcc 1
		.amdhsa_reserve_flat_scratch 0
		.amdhsa_float_round_mode_32 0
		.amdhsa_float_round_mode_16_64 0
		.amdhsa_float_denorm_mode_32 3
		.amdhsa_float_denorm_mode_16_64 3
		.amdhsa_dx10_clamp 1
		.amdhsa_ieee_mode 1
		.amdhsa_fp16_overflow 0
		.amdhsa_tg_split 0
		.amdhsa_exception_fp_ieee_invalid_op 0
		.amdhsa_exception_fp_denorm_src 0
		.amdhsa_exception_fp_ieee_div_zero 0
		.amdhsa_exception_fp_ieee_overflow 0
		.amdhsa_exception_fp_ieee_underflow 0
		.amdhsa_exception_fp_ieee_inexact 0
		.amdhsa_exception_int_div_zero 0
	.end_amdhsa_kernel
	.section	.text._ZN9rocsparseL21csrmvn_general_kernelILj256ELj8Ell21rocsparse_complex_numIfES1_IdES3_S3_EEvbT2_NS_24const_host_device_scalarIT6_EEPKT1_SA_PKS4_PKT3_PKT4_S7_PT5_21rocsparse_index_base_b,"axG",@progbits,_ZN9rocsparseL21csrmvn_general_kernelILj256ELj8Ell21rocsparse_complex_numIfES1_IdES3_S3_EEvbT2_NS_24const_host_device_scalarIT6_EEPKT1_SA_PKS4_PKT3_PKT4_S7_PT5_21rocsparse_index_base_b,comdat
.Lfunc_end387:
	.size	_ZN9rocsparseL21csrmvn_general_kernelILj256ELj8Ell21rocsparse_complex_numIfES1_IdES3_S3_EEvbT2_NS_24const_host_device_scalarIT6_EEPKT1_SA_PKS4_PKT3_PKT4_S7_PT5_21rocsparse_index_base_b, .Lfunc_end387-_ZN9rocsparseL21csrmvn_general_kernelILj256ELj8Ell21rocsparse_complex_numIfES1_IdES3_S3_EEvbT2_NS_24const_host_device_scalarIT6_EEPKT1_SA_PKS4_PKT3_PKT4_S7_PT5_21rocsparse_index_base_b
                                        ; -- End function
	.section	.AMDGPU.csdata,"",@progbits
; Kernel info:
; codeLenInByte = 1192
; NumSgprs: 32
; NumVgprs: 38
; NumAgprs: 0
; TotalNumVgprs: 38
; ScratchSize: 0
; MemoryBound: 0
; FloatMode: 240
; IeeeMode: 1
; LDSByteSize: 4096 bytes/workgroup (compile time only)
; SGPRBlocks: 3
; VGPRBlocks: 4
; NumSGPRsForWavesPerEU: 32
; NumVGPRsForWavesPerEU: 38
; AccumOffset: 40
; Occupancy: 8
; WaveLimiterHint : 1
; COMPUTE_PGM_RSRC2:SCRATCH_EN: 0
; COMPUTE_PGM_RSRC2:USER_SGPR: 8
; COMPUTE_PGM_RSRC2:TRAP_HANDLER: 0
; COMPUTE_PGM_RSRC2:TGID_X_EN: 1
; COMPUTE_PGM_RSRC2:TGID_Y_EN: 0
; COMPUTE_PGM_RSRC2:TGID_Z_EN: 0
; COMPUTE_PGM_RSRC2:TIDIG_COMP_CNT: 2
; COMPUTE_PGM_RSRC3_GFX90A:ACCUM_OFFSET: 9
; COMPUTE_PGM_RSRC3_GFX90A:TG_SPLIT: 0
	.section	.text._ZN9rocsparseL21csrmvn_general_kernelILj256ELj16Ell21rocsparse_complex_numIfES1_IdES3_S3_EEvbT2_NS_24const_host_device_scalarIT6_EEPKT1_SA_PKS4_PKT3_PKT4_S7_PT5_21rocsparse_index_base_b,"axG",@progbits,_ZN9rocsparseL21csrmvn_general_kernelILj256ELj16Ell21rocsparse_complex_numIfES1_IdES3_S3_EEvbT2_NS_24const_host_device_scalarIT6_EEPKT1_SA_PKS4_PKT3_PKT4_S7_PT5_21rocsparse_index_base_b,comdat
	.globl	_ZN9rocsparseL21csrmvn_general_kernelILj256ELj16Ell21rocsparse_complex_numIfES1_IdES3_S3_EEvbT2_NS_24const_host_device_scalarIT6_EEPKT1_SA_PKS4_PKT3_PKT4_S7_PT5_21rocsparse_index_base_b ; -- Begin function _ZN9rocsparseL21csrmvn_general_kernelILj256ELj16Ell21rocsparse_complex_numIfES1_IdES3_S3_EEvbT2_NS_24const_host_device_scalarIT6_EEPKT1_SA_PKS4_PKT3_PKT4_S7_PT5_21rocsparse_index_base_b
	.p2align	8
	.type	_ZN9rocsparseL21csrmvn_general_kernelILj256ELj16Ell21rocsparse_complex_numIfES1_IdES3_S3_EEvbT2_NS_24const_host_device_scalarIT6_EEPKT1_SA_PKS4_PKT3_PKT4_S7_PT5_21rocsparse_index_base_b,@function
_ZN9rocsparseL21csrmvn_general_kernelILj256ELj16Ell21rocsparse_complex_numIfES1_IdES3_S3_EEvbT2_NS_24const_host_device_scalarIT6_EEPKT1_SA_PKS4_PKT3_PKT4_S7_PT5_21rocsparse_index_base_b: ; @_ZN9rocsparseL21csrmvn_general_kernelILj256ELj16Ell21rocsparse_complex_numIfES1_IdES3_S3_EEvbT2_NS_24const_host_device_scalarIT6_EEPKT1_SA_PKS4_PKT3_PKT4_S7_PT5_21rocsparse_index_base_b
; %bb.0:
	s_load_dwordx2 s[24:25], s[6:7], 0x60
	s_load_dwordx8 s[12:19], s[6:7], 0x8
	s_load_dwordx4 s[20:23], s[6:7], 0x48
	s_mov_b64 s[2:3], src_shared_base
	s_load_dwordx2 s[4:5], s[4:5], 0x4
	s_waitcnt lgkmcnt(0)
	s_bitcmp1_b32 s25, 0
	s_cselect_b64 s[0:1], -1, 0
	s_and_b64 vcc, s[0:1], exec
	s_cselect_b32 s2, s3, s15
	s_lshr_b32 s4, s4, 16
	v_and_b32_e32 v1, 0x3ff, v0
	s_mul_i32 s4, s4, s5
	v_mul_lo_u32 v2, s4, v1
	v_bfe_u32 v3, v0, 10, 10
	v_mad_u32_u24 v2, v3, s5, v2
	v_bfe_u32 v0, v0, 20, 10
	v_add_lshl_u32 v0, v2, v0, 3
	v_mov_b32_e32 v6, s14
	v_add_u32_e32 v7, 0x800, v0
	v_pk_mov_b32 v[2:3], s[14:15], s[14:15] op_sel:[0,1]
	v_pk_mov_b32 v[4:5], s[20:21], s[20:21] op_sel:[0,1]
	ds_write2st64_b64 v0, v[4:5], v[2:3] offset1:4
	v_cndmask_b32_e64 v2, v6, v7, s[0:1]
	v_mov_b32_e32 v3, s2
	flat_load_dwordx2 v[4:5], v[2:3]
	s_xor_b64 s[4:5], s[0:1], -1
	v_pk_mov_b32 v[6:7], s[16:17], s[16:17] op_sel:[0,1]
	s_cbranch_vccnz .LBB388_2
; %bb.1:
	v_pk_mov_b32 v[2:3], s[14:15], s[14:15] op_sel:[0,1]
	flat_load_dwordx2 v[6:7], v[2:3] offset:8
.LBB388_2:
	s_and_b64 s[10:11], s[0:1], exec
	s_cselect_b32 s2, s3, s21
	v_mov_b32_e32 v2, s20
	v_cndmask_b32_e64 v2, v2, v0, s[0:1]
	v_mov_b32_e32 v3, s2
	flat_load_dwordx2 v[8:9], v[2:3]
	s_andn2_b64 vcc, exec, s[4:5]
	v_pk_mov_b32 v[10:11], s[22:23], s[22:23] op_sel:[0,1]
	s_cbranch_vccnz .LBB388_4
; %bb.3:
	v_pk_mov_b32 v[2:3], s[20:21], s[20:21] op_sel:[0,1]
	flat_load_dwordx2 v[10:11], v[2:3] offset:8
.LBB388_4:
	s_waitcnt vmcnt(0) lgkmcnt(0)
	v_cmp_eq_f64_e32 vcc, 0, v[4:5]
	v_cmp_eq_f64_e64 s[0:1], 0, v[6:7]
	s_and_b64 s[4:5], vcc, s[0:1]
	s_mov_b64 s[0:1], -1
	s_and_saveexec_b64 s[2:3], s[4:5]
; %bb.5:
	v_cmp_neq_f64_e32 vcc, 1.0, v[8:9]
	v_cmp_neq_f64_e64 s[0:1], 0, v[10:11]
	s_or_b64 s[0:1], vcc, s[0:1]
	s_orn2_b64 s[0:1], s[0:1], exec
; %bb.6:
	s_or_b64 exec, exec, s[2:3]
	s_and_saveexec_b64 s[2:3], s[0:1]
	s_cbranch_execz .LBB388_18
; %bb.7:
	s_load_dwordx2 s[4:5], s[6:7], 0x28
	v_lshl_or_b32 v0, s8, 8, v1
	v_lshrrev_b32_e32 v12, 4, v0
	v_mov_b32_e32 v13, 0
	v_cmp_gt_i64_e32 vcc, s[12:13], v[12:13]
	s_and_b64 exec, exec, vcc
	s_cbranch_execz .LBB388_18
; %bb.8:
	s_load_dword s2, s[6:7], 0x68
	s_load_dwordx4 s[8:11], s[6:7], 0x30
	s_load_dword s3, s[6:7], 0x0
	s_load_dwordx2 s[14:15], s[6:7], 0x58
	s_load_dwordx2 s[0:1], s[6:7], 0x40
	v_and_b32_e32 v0, 15, v1
	s_waitcnt lgkmcnt(0)
	s_lshl_b32 s25, s2, 4
	v_subrev_co_u32_e32 v22, vcc, s24, v0
	s_bitcmp1_b32 s3, 0
	v_subb_co_u32_e64 v23, s[2:3], 0, 0, vcc
	s_cselect_b64 s[6:7], -1, 0
	s_ashr_i32 s3, s24, 31
	s_mov_b32 s2, s24
	s_lshl_b64 s[2:3], s[2:3], 4
	s_sub_u32 s27, s0, s2
	s_subb_u32 s23, s1, s3
	v_cmp_neq_f64_e32 vcc, 0, v[8:9]
	v_cmp_neq_f64_e64 s[2:3], 0, v[10:11]
	s_or_b64 s[20:21], vcc, s[2:3]
	s_mov_b32 s26, 0
	s_add_u32 s28, s10, 4
	v_cmp_eq_u32_e64 s[0:1], 15, v0
	s_mov_b64 s[16:17], 0
	s_addc_u32 s29, s11, 0
	v_mov_b32_e32 v24, s19
	v_mov_b32_e32 v25, s5
	;; [unrolled: 1-line block ×4, first 2 shown]
	s_branch .LBB388_11
.LBB388_9:                              ;   in Loop: Header=BB388_11 Depth=1
	s_or_b64 exec, exec, s[10:11]
	global_store_dwordx4 v[14:15], v[0:3], off
.LBB388_10:                             ;   in Loop: Header=BB388_11 Depth=1
	s_or_b64 exec, exec, s[2:3]
	v_mov_b32_e32 v0, s26
	v_add_co_u32_e32 v12, vcc, s25, v12
	v_addc_co_u32_e32 v13, vcc, v13, v0, vcc
	v_cmp_le_i64_e32 vcc, s[12:13], v[12:13]
	s_or_b64 s[16:17], vcc, s[16:17]
	s_andn2_b64 exec, exec, s[16:17]
	s_cbranch_execz .LBB388_18
.LBB388_11:                             ; =>This Loop Header: Depth=1
                                        ;     Child Loop BB388_13 Depth 2
	v_lshlrev_b64 v[0:1], 3, v[12:13]
	v_add_co_u32_e32 v2, vcc, s4, v0
	v_addc_co_u32_e32 v3, vcc, v25, v1, vcc
	global_load_dwordx2 v[2:3], v[2:3], off
	v_add_co_u32_e32 v0, vcc, s18, v0
	v_addc_co_u32_e32 v1, vcc, v24, v1, vcc
	global_load_dwordx2 v[14:15], v[0:1], off
	v_pk_mov_b32 v[0:1], 0, 0
	v_pk_mov_b32 v[16:17], v[0:1], v[0:1] op_sel:[0,1]
	s_waitcnt vmcnt(1)
	v_subrev_co_u32_e32 v2, vcc, s24, v2
	v_subb_co_u32_e32 v3, vcc, v3, v26, vcc
	s_waitcnt vmcnt(0)
	v_add_co_u32_e32 v14, vcc, v14, v22
	v_addc_co_u32_e32 v15, vcc, v15, v23, vcc
	v_cmp_lt_i64_e32 vcc, v[14:15], v[2:3]
	s_and_saveexec_b64 s[10:11], vcc
	s_cbranch_execz .LBB388_15
; %bb.12:                               ;   in Loop: Header=BB388_11 Depth=1
	v_lshlrev_b64 v[0:1], 3, v[14:15]
	v_mov_b32_e32 v16, s29
	v_add_co_u32_e32 v18, vcc, s28, v0
	v_addc_co_u32_e32 v19, vcc, v16, v1, vcc
	v_mov_b32_e32 v16, s9
	v_add_co_u32_e32 v20, vcc, s8, v0
	v_addc_co_u32_e32 v21, vcc, v16, v1, vcc
	v_pk_mov_b32 v[0:1], 0, 0
	s_mov_b64 s[22:23], 0
	v_pk_mov_b32 v[16:17], v[0:1], v[0:1] op_sel:[0,1]
.LBB388_13:                             ;   Parent Loop BB388_11 Depth=1
                                        ; =>  This Inner Loop Header: Depth=2
	global_load_dwordx2 v[28:29], v[20:21], off
	global_load_dwordx2 v[32:33], v[18:19], off offset:-4
	s_waitcnt vmcnt(1)
	v_lshlrev_b64 v[28:29], 4, v[28:29]
	v_add_co_u32_e32 v28, vcc, s27, v28
	v_addc_co_u32_e32 v29, vcc, v27, v29, vcc
	global_load_dwordx4 v[28:31], v[28:29], off
	v_add_co_u32_e32 v14, vcc, 16, v14
	s_waitcnt vmcnt(1)
	v_cndmask_b32_e64 v34, v33, -v33, s[6:7]
	v_addc_co_u32_e32 v15, vcc, 0, v15, vcc
	v_cvt_f64_f32_e32 v[34:35], v34
	v_add_co_u32_e32 v18, vcc, 0x80, v18
	v_cvt_f64_f32_e32 v[32:33], v32
	v_mul_f64 v[36:37], -v[6:7], v[34:35]
	v_mul_f64 v[34:35], v[4:5], v[34:35]
	v_addc_co_u32_e32 v19, vcc, 0, v19, vcc
	v_fmac_f64_e32 v[36:37], v[4:5], v[32:33]
	v_fmac_f64_e32 v[34:35], v[6:7], v[32:33]
	v_add_co_u32_e32 v20, vcc, 0x80, v20
	v_cmp_ge_i64_e64 s[2:3], v[14:15], v[2:3]
	v_addc_co_u32_e32 v21, vcc, 0, v21, vcc
	s_or_b64 s[22:23], s[2:3], s[22:23]
	s_waitcnt vmcnt(0)
	v_fmac_f64_e32 v[16:17], v[36:37], v[28:29]
	v_fmac_f64_e32 v[0:1], v[34:35], v[28:29]
	v_fma_f64 v[16:17], -v[34:35], v[30:31], v[16:17]
	v_fmac_f64_e32 v[0:1], v[36:37], v[30:31]
	s_andn2_b64 exec, exec, s[22:23]
	s_cbranch_execnz .LBB388_13
; %bb.14:                               ;   in Loop: Header=BB388_11 Depth=1
	s_or_b64 exec, exec, s[22:23]
.LBB388_15:                             ;   in Loop: Header=BB388_11 Depth=1
	s_or_b64 exec, exec, s[10:11]
	v_mov_b32_dpp v2, v16 row_shr:1 row_mask:0xf bank_mask:0xf
	v_mov_b32_dpp v3, v17 row_shr:1 row_mask:0xf bank_mask:0xf
	v_add_f64 v[2:3], v[16:17], v[2:3]
	v_mov_b32_dpp v16, v0 row_shr:1 row_mask:0xf bank_mask:0xf
	v_mov_b32_dpp v17, v1 row_shr:1 row_mask:0xf bank_mask:0xf
	v_add_f64 v[0:1], v[0:1], v[16:17]
	v_mov_b32_dpp v14, v2 row_shr:2 row_mask:0xf bank_mask:0xf
	v_mov_b32_dpp v15, v3 row_shr:2 row_mask:0xf bank_mask:0xf
	;; [unrolled: 1-line block ×4, first 2 shown]
	v_add_f64 v[2:3], v[2:3], v[14:15]
	v_add_f64 v[0:1], v[0:1], v[16:17]
	s_nop 0
	v_mov_b32_dpp v14, v2 row_shr:4 row_mask:0xf bank_mask:0xe
	v_mov_b32_dpp v15, v3 row_shr:4 row_mask:0xf bank_mask:0xe
	;; [unrolled: 1-line block ×4, first 2 shown]
	v_add_f64 v[2:3], v[2:3], v[14:15]
	v_add_f64 v[16:17], v[0:1], v[16:17]
	s_nop 0
	v_mov_b32_dpp v14, v2 row_shr:8 row_mask:0xf bank_mask:0xc
	v_mov_b32_dpp v15, v3 row_shr:8 row_mask:0xf bank_mask:0xc
	;; [unrolled: 1-line block ×4, first 2 shown]
	s_and_saveexec_b64 s[2:3], s[0:1]
	s_cbranch_execz .LBB388_10
; %bb.16:                               ;   in Loop: Header=BB388_11 Depth=1
	v_add_f64 v[0:1], v[2:3], v[14:15]
	v_lshlrev_b64 v[14:15], 4, v[12:13]
	v_add_f64 v[2:3], v[16:17], v[18:19]
	v_mov_b32_e32 v16, s15
	v_add_co_u32_e32 v14, vcc, s14, v14
	v_addc_co_u32_e32 v15, vcc, v16, v15, vcc
	s_and_saveexec_b64 s[10:11], s[20:21]
	s_cbranch_execz .LBB388_9
; %bb.17:                               ;   in Loop: Header=BB388_11 Depth=1
	global_load_dwordx4 v[16:19], v[14:15], off
	s_waitcnt vmcnt(0)
	v_fmac_f64_e32 v[0:1], v[8:9], v[16:17]
	v_fmac_f64_e32 v[2:3], v[10:11], v[16:17]
	v_fma_f64 v[0:1], -v[10:11], v[18:19], v[0:1]
	v_fmac_f64_e32 v[2:3], v[8:9], v[18:19]
	s_branch .LBB388_9
.LBB388_18:
	s_endpgm
	.section	.rodata,"a",@progbits
	.p2align	6, 0x0
	.amdhsa_kernel _ZN9rocsparseL21csrmvn_general_kernelILj256ELj16Ell21rocsparse_complex_numIfES1_IdES3_S3_EEvbT2_NS_24const_host_device_scalarIT6_EEPKT1_SA_PKS4_PKT3_PKT4_S7_PT5_21rocsparse_index_base_b
		.amdhsa_group_segment_fixed_size 4096
		.amdhsa_private_segment_fixed_size 0
		.amdhsa_kernarg_size 360
		.amdhsa_user_sgpr_count 8
		.amdhsa_user_sgpr_private_segment_buffer 1
		.amdhsa_user_sgpr_dispatch_ptr 1
		.amdhsa_user_sgpr_queue_ptr 0
		.amdhsa_user_sgpr_kernarg_segment_ptr 1
		.amdhsa_user_sgpr_dispatch_id 0
		.amdhsa_user_sgpr_flat_scratch_init 0
		.amdhsa_user_sgpr_kernarg_preload_length 0
		.amdhsa_user_sgpr_kernarg_preload_offset 0
		.amdhsa_user_sgpr_private_segment_size 0
		.amdhsa_uses_dynamic_stack 0
		.amdhsa_system_sgpr_private_segment_wavefront_offset 0
		.amdhsa_system_sgpr_workgroup_id_x 1
		.amdhsa_system_sgpr_workgroup_id_y 0
		.amdhsa_system_sgpr_workgroup_id_z 0
		.amdhsa_system_sgpr_workgroup_info 0
		.amdhsa_system_vgpr_workitem_id 2
		.amdhsa_next_free_vgpr 38
		.amdhsa_next_free_sgpr 30
		.amdhsa_accum_offset 40
		.amdhsa_reserve_vcc 1
		.amdhsa_reserve_flat_scratch 0
		.amdhsa_float_round_mode_32 0
		.amdhsa_float_round_mode_16_64 0
		.amdhsa_float_denorm_mode_32 3
		.amdhsa_float_denorm_mode_16_64 3
		.amdhsa_dx10_clamp 1
		.amdhsa_ieee_mode 1
		.amdhsa_fp16_overflow 0
		.amdhsa_tg_split 0
		.amdhsa_exception_fp_ieee_invalid_op 0
		.amdhsa_exception_fp_denorm_src 0
		.amdhsa_exception_fp_ieee_div_zero 0
		.amdhsa_exception_fp_ieee_overflow 0
		.amdhsa_exception_fp_ieee_underflow 0
		.amdhsa_exception_fp_ieee_inexact 0
		.amdhsa_exception_int_div_zero 0
	.end_amdhsa_kernel
	.section	.text._ZN9rocsparseL21csrmvn_general_kernelILj256ELj16Ell21rocsparse_complex_numIfES1_IdES3_S3_EEvbT2_NS_24const_host_device_scalarIT6_EEPKT1_SA_PKS4_PKT3_PKT4_S7_PT5_21rocsparse_index_base_b,"axG",@progbits,_ZN9rocsparseL21csrmvn_general_kernelILj256ELj16Ell21rocsparse_complex_numIfES1_IdES3_S3_EEvbT2_NS_24const_host_device_scalarIT6_EEPKT1_SA_PKS4_PKT3_PKT4_S7_PT5_21rocsparse_index_base_b,comdat
.Lfunc_end388:
	.size	_ZN9rocsparseL21csrmvn_general_kernelILj256ELj16Ell21rocsparse_complex_numIfES1_IdES3_S3_EEvbT2_NS_24const_host_device_scalarIT6_EEPKT1_SA_PKS4_PKT3_PKT4_S7_PT5_21rocsparse_index_base_b, .Lfunc_end388-_ZN9rocsparseL21csrmvn_general_kernelILj256ELj16Ell21rocsparse_complex_numIfES1_IdES3_S3_EEvbT2_NS_24const_host_device_scalarIT6_EEPKT1_SA_PKS4_PKT3_PKT4_S7_PT5_21rocsparse_index_base_b
                                        ; -- End function
	.section	.AMDGPU.csdata,"",@progbits
; Kernel info:
; codeLenInByte = 1148
; NumSgprs: 34
; NumVgprs: 38
; NumAgprs: 0
; TotalNumVgprs: 38
; ScratchSize: 0
; MemoryBound: 0
; FloatMode: 240
; IeeeMode: 1
; LDSByteSize: 4096 bytes/workgroup (compile time only)
; SGPRBlocks: 4
; VGPRBlocks: 4
; NumSGPRsForWavesPerEU: 34
; NumVGPRsForWavesPerEU: 38
; AccumOffset: 40
; Occupancy: 8
; WaveLimiterHint : 1
; COMPUTE_PGM_RSRC2:SCRATCH_EN: 0
; COMPUTE_PGM_RSRC2:USER_SGPR: 8
; COMPUTE_PGM_RSRC2:TRAP_HANDLER: 0
; COMPUTE_PGM_RSRC2:TGID_X_EN: 1
; COMPUTE_PGM_RSRC2:TGID_Y_EN: 0
; COMPUTE_PGM_RSRC2:TGID_Z_EN: 0
; COMPUTE_PGM_RSRC2:TIDIG_COMP_CNT: 2
; COMPUTE_PGM_RSRC3_GFX90A:ACCUM_OFFSET: 9
; COMPUTE_PGM_RSRC3_GFX90A:TG_SPLIT: 0
	.section	.text._ZN9rocsparseL21csrmvn_general_kernelILj256ELj32Ell21rocsparse_complex_numIfES1_IdES3_S3_EEvbT2_NS_24const_host_device_scalarIT6_EEPKT1_SA_PKS4_PKT3_PKT4_S7_PT5_21rocsparse_index_base_b,"axG",@progbits,_ZN9rocsparseL21csrmvn_general_kernelILj256ELj32Ell21rocsparse_complex_numIfES1_IdES3_S3_EEvbT2_NS_24const_host_device_scalarIT6_EEPKT1_SA_PKS4_PKT3_PKT4_S7_PT5_21rocsparse_index_base_b,comdat
	.globl	_ZN9rocsparseL21csrmvn_general_kernelILj256ELj32Ell21rocsparse_complex_numIfES1_IdES3_S3_EEvbT2_NS_24const_host_device_scalarIT6_EEPKT1_SA_PKS4_PKT3_PKT4_S7_PT5_21rocsparse_index_base_b ; -- Begin function _ZN9rocsparseL21csrmvn_general_kernelILj256ELj32Ell21rocsparse_complex_numIfES1_IdES3_S3_EEvbT2_NS_24const_host_device_scalarIT6_EEPKT1_SA_PKS4_PKT3_PKT4_S7_PT5_21rocsparse_index_base_b
	.p2align	8
	.type	_ZN9rocsparseL21csrmvn_general_kernelILj256ELj32Ell21rocsparse_complex_numIfES1_IdES3_S3_EEvbT2_NS_24const_host_device_scalarIT6_EEPKT1_SA_PKS4_PKT3_PKT4_S7_PT5_21rocsparse_index_base_b,@function
_ZN9rocsparseL21csrmvn_general_kernelILj256ELj32Ell21rocsparse_complex_numIfES1_IdES3_S3_EEvbT2_NS_24const_host_device_scalarIT6_EEPKT1_SA_PKS4_PKT3_PKT4_S7_PT5_21rocsparse_index_base_b: ; @_ZN9rocsparseL21csrmvn_general_kernelILj256ELj32Ell21rocsparse_complex_numIfES1_IdES3_S3_EEvbT2_NS_24const_host_device_scalarIT6_EEPKT1_SA_PKS4_PKT3_PKT4_S7_PT5_21rocsparse_index_base_b
; %bb.0:
	s_load_dwordx2 s[24:25], s[6:7], 0x60
	s_load_dwordx8 s[12:19], s[6:7], 0x8
	s_load_dwordx4 s[20:23], s[6:7], 0x48
	s_mov_b64 s[2:3], src_shared_base
	s_load_dwordx2 s[4:5], s[4:5], 0x4
	s_waitcnt lgkmcnt(0)
	s_bitcmp1_b32 s25, 0
	s_cselect_b64 s[0:1], -1, 0
	s_and_b64 vcc, s[0:1], exec
	s_cselect_b32 s2, s3, s15
	s_lshr_b32 s4, s4, 16
	v_and_b32_e32 v1, 0x3ff, v0
	s_mul_i32 s4, s4, s5
	v_mul_lo_u32 v2, s4, v1
	v_bfe_u32 v3, v0, 10, 10
	v_mad_u32_u24 v2, v3, s5, v2
	v_bfe_u32 v0, v0, 20, 10
	v_add_lshl_u32 v0, v2, v0, 3
	v_mov_b32_e32 v6, s14
	v_add_u32_e32 v7, 0x800, v0
	v_pk_mov_b32 v[2:3], s[14:15], s[14:15] op_sel:[0,1]
	v_pk_mov_b32 v[4:5], s[20:21], s[20:21] op_sel:[0,1]
	ds_write2st64_b64 v0, v[4:5], v[2:3] offset1:4
	v_cndmask_b32_e64 v2, v6, v7, s[0:1]
	v_mov_b32_e32 v3, s2
	flat_load_dwordx2 v[4:5], v[2:3]
	s_xor_b64 s[4:5], s[0:1], -1
	v_pk_mov_b32 v[6:7], s[16:17], s[16:17] op_sel:[0,1]
	s_cbranch_vccnz .LBB389_2
; %bb.1:
	v_pk_mov_b32 v[2:3], s[14:15], s[14:15] op_sel:[0,1]
	flat_load_dwordx2 v[6:7], v[2:3] offset:8
.LBB389_2:
	s_and_b64 s[10:11], s[0:1], exec
	s_cselect_b32 s2, s3, s21
	v_mov_b32_e32 v2, s20
	v_cndmask_b32_e64 v2, v2, v0, s[0:1]
	v_mov_b32_e32 v3, s2
	flat_load_dwordx2 v[8:9], v[2:3]
	s_andn2_b64 vcc, exec, s[4:5]
	v_pk_mov_b32 v[10:11], s[22:23], s[22:23] op_sel:[0,1]
	s_cbranch_vccnz .LBB389_4
; %bb.3:
	v_pk_mov_b32 v[2:3], s[20:21], s[20:21] op_sel:[0,1]
	flat_load_dwordx2 v[10:11], v[2:3] offset:8
.LBB389_4:
	s_waitcnt vmcnt(0) lgkmcnt(0)
	v_cmp_eq_f64_e32 vcc, 0, v[4:5]
	v_cmp_eq_f64_e64 s[0:1], 0, v[6:7]
	s_and_b64 s[4:5], vcc, s[0:1]
	s_mov_b64 s[0:1], -1
	s_and_saveexec_b64 s[2:3], s[4:5]
; %bb.5:
	v_cmp_neq_f64_e32 vcc, 1.0, v[8:9]
	v_cmp_neq_f64_e64 s[0:1], 0, v[10:11]
	s_or_b64 s[0:1], vcc, s[0:1]
	s_orn2_b64 s[0:1], s[0:1], exec
; %bb.6:
	s_or_b64 exec, exec, s[2:3]
	s_and_saveexec_b64 s[2:3], s[0:1]
	s_cbranch_execz .LBB389_18
; %bb.7:
	s_load_dwordx2 s[4:5], s[6:7], 0x28
	v_lshl_or_b32 v0, s8, 8, v1
	v_lshrrev_b32_e32 v12, 5, v0
	v_mov_b32_e32 v13, 0
	v_cmp_gt_i64_e32 vcc, s[12:13], v[12:13]
	s_and_b64 exec, exec, vcc
	s_cbranch_execz .LBB389_18
; %bb.8:
	s_load_dword s2, s[6:7], 0x68
	s_load_dwordx4 s[8:11], s[6:7], 0x30
	s_load_dword s3, s[6:7], 0x0
	s_load_dwordx2 s[14:15], s[6:7], 0x58
	s_load_dwordx2 s[0:1], s[6:7], 0x40
	v_and_b32_e32 v0, 31, v1
	s_waitcnt lgkmcnt(0)
	s_lshl_b32 s25, s2, 3
	v_subrev_co_u32_e32 v22, vcc, s24, v0
	s_bitcmp1_b32 s3, 0
	v_subb_co_u32_e64 v23, s[2:3], 0, 0, vcc
	s_cselect_b64 s[6:7], -1, 0
	s_ashr_i32 s3, s24, 31
	s_mov_b32 s2, s24
	s_lshl_b64 s[2:3], s[2:3], 4
	s_sub_u32 s27, s0, s2
	s_subb_u32 s23, s1, s3
	v_cmp_neq_f64_e32 vcc, 0, v[8:9]
	v_cmp_neq_f64_e64 s[2:3], 0, v[10:11]
	s_or_b64 s[20:21], vcc, s[2:3]
	s_mov_b32 s26, 0
	s_add_u32 s28, s10, 4
	v_cmp_eq_u32_e64 s[0:1], 31, v0
	s_mov_b64 s[16:17], 0
	s_addc_u32 s29, s11, 0
	v_mov_b32_e32 v24, s19
	v_mov_b32_e32 v25, s5
	;; [unrolled: 1-line block ×4, first 2 shown]
	s_branch .LBB389_11
.LBB389_9:                              ;   in Loop: Header=BB389_11 Depth=1
	s_or_b64 exec, exec, s[10:11]
	global_store_dwordx4 v[14:15], v[0:3], off
.LBB389_10:                             ;   in Loop: Header=BB389_11 Depth=1
	s_or_b64 exec, exec, s[2:3]
	v_mov_b32_e32 v0, s26
	v_add_co_u32_e32 v12, vcc, s25, v12
	v_addc_co_u32_e32 v13, vcc, v13, v0, vcc
	v_cmp_le_i64_e32 vcc, s[12:13], v[12:13]
	s_or_b64 s[16:17], vcc, s[16:17]
	s_andn2_b64 exec, exec, s[16:17]
	s_cbranch_execz .LBB389_18
.LBB389_11:                             ; =>This Loop Header: Depth=1
                                        ;     Child Loop BB389_13 Depth 2
	v_lshlrev_b64 v[0:1], 3, v[12:13]
	v_add_co_u32_e32 v2, vcc, s4, v0
	v_addc_co_u32_e32 v3, vcc, v25, v1, vcc
	global_load_dwordx2 v[2:3], v[2:3], off
	v_add_co_u32_e32 v0, vcc, s18, v0
	v_addc_co_u32_e32 v1, vcc, v24, v1, vcc
	global_load_dwordx2 v[14:15], v[0:1], off
	v_pk_mov_b32 v[0:1], 0, 0
	v_pk_mov_b32 v[16:17], v[0:1], v[0:1] op_sel:[0,1]
	s_waitcnt vmcnt(1)
	v_subrev_co_u32_e32 v2, vcc, s24, v2
	v_subb_co_u32_e32 v3, vcc, v3, v26, vcc
	s_waitcnt vmcnt(0)
	v_add_co_u32_e32 v14, vcc, v14, v22
	v_addc_co_u32_e32 v15, vcc, v15, v23, vcc
	v_cmp_lt_i64_e32 vcc, v[14:15], v[2:3]
	s_and_saveexec_b64 s[10:11], vcc
	s_cbranch_execz .LBB389_15
; %bb.12:                               ;   in Loop: Header=BB389_11 Depth=1
	v_lshlrev_b64 v[0:1], 3, v[14:15]
	v_mov_b32_e32 v16, s29
	v_add_co_u32_e32 v18, vcc, s28, v0
	v_addc_co_u32_e32 v19, vcc, v16, v1, vcc
	v_mov_b32_e32 v16, s9
	v_add_co_u32_e32 v20, vcc, s8, v0
	v_addc_co_u32_e32 v21, vcc, v16, v1, vcc
	v_pk_mov_b32 v[0:1], 0, 0
	s_mov_b64 s[22:23], 0
	v_pk_mov_b32 v[16:17], v[0:1], v[0:1] op_sel:[0,1]
.LBB389_13:                             ;   Parent Loop BB389_11 Depth=1
                                        ; =>  This Inner Loop Header: Depth=2
	global_load_dwordx2 v[28:29], v[20:21], off
	global_load_dwordx2 v[32:33], v[18:19], off offset:-4
	s_waitcnt vmcnt(1)
	v_lshlrev_b64 v[28:29], 4, v[28:29]
	v_add_co_u32_e32 v28, vcc, s27, v28
	v_addc_co_u32_e32 v29, vcc, v27, v29, vcc
	global_load_dwordx4 v[28:31], v[28:29], off
	v_add_co_u32_e32 v14, vcc, 32, v14
	s_waitcnt vmcnt(1)
	v_cndmask_b32_e64 v34, v33, -v33, s[6:7]
	v_addc_co_u32_e32 v15, vcc, 0, v15, vcc
	v_cvt_f64_f32_e32 v[34:35], v34
	v_add_co_u32_e32 v18, vcc, 0x100, v18
	v_cvt_f64_f32_e32 v[32:33], v32
	v_mul_f64 v[36:37], -v[6:7], v[34:35]
	v_mul_f64 v[34:35], v[4:5], v[34:35]
	v_addc_co_u32_e32 v19, vcc, 0, v19, vcc
	v_fmac_f64_e32 v[36:37], v[4:5], v[32:33]
	v_fmac_f64_e32 v[34:35], v[6:7], v[32:33]
	v_add_co_u32_e32 v20, vcc, 0x100, v20
	v_cmp_ge_i64_e64 s[2:3], v[14:15], v[2:3]
	v_addc_co_u32_e32 v21, vcc, 0, v21, vcc
	s_or_b64 s[22:23], s[2:3], s[22:23]
	s_waitcnt vmcnt(0)
	v_fmac_f64_e32 v[16:17], v[36:37], v[28:29]
	v_fmac_f64_e32 v[0:1], v[34:35], v[28:29]
	v_fma_f64 v[16:17], -v[34:35], v[30:31], v[16:17]
	v_fmac_f64_e32 v[0:1], v[36:37], v[30:31]
	s_andn2_b64 exec, exec, s[22:23]
	s_cbranch_execnz .LBB389_13
; %bb.14:                               ;   in Loop: Header=BB389_11 Depth=1
	s_or_b64 exec, exec, s[22:23]
.LBB389_15:                             ;   in Loop: Header=BB389_11 Depth=1
	s_or_b64 exec, exec, s[10:11]
	v_mov_b32_dpp v2, v16 row_shr:1 row_mask:0xf bank_mask:0xf
	v_mov_b32_dpp v3, v17 row_shr:1 row_mask:0xf bank_mask:0xf
	v_add_f64 v[2:3], v[16:17], v[2:3]
	v_mov_b32_dpp v16, v0 row_shr:1 row_mask:0xf bank_mask:0xf
	v_mov_b32_dpp v17, v1 row_shr:1 row_mask:0xf bank_mask:0xf
	v_add_f64 v[0:1], v[0:1], v[16:17]
	v_mov_b32_dpp v14, v2 row_shr:2 row_mask:0xf bank_mask:0xf
	v_mov_b32_dpp v15, v3 row_shr:2 row_mask:0xf bank_mask:0xf
	v_mov_b32_dpp v16, v0 row_shr:2 row_mask:0xf bank_mask:0xf
	v_mov_b32_dpp v17, v1 row_shr:2 row_mask:0xf bank_mask:0xf
	v_add_f64 v[2:3], v[2:3], v[14:15]
	v_add_f64 v[0:1], v[0:1], v[16:17]
	s_nop 0
	v_mov_b32_dpp v14, v2 row_shr:4 row_mask:0xf bank_mask:0xe
	v_mov_b32_dpp v15, v3 row_shr:4 row_mask:0xf bank_mask:0xe
	v_mov_b32_dpp v16, v0 row_shr:4 row_mask:0xf bank_mask:0xe
	v_mov_b32_dpp v17, v1 row_shr:4 row_mask:0xf bank_mask:0xe
	v_add_f64 v[2:3], v[2:3], v[14:15]
	v_add_f64 v[0:1], v[0:1], v[16:17]
	s_nop 0
	v_mov_b32_dpp v14, v2 row_shr:8 row_mask:0xf bank_mask:0xc
	v_mov_b32_dpp v15, v3 row_shr:8 row_mask:0xf bank_mask:0xc
	v_mov_b32_dpp v16, v0 row_shr:8 row_mask:0xf bank_mask:0xc
	v_mov_b32_dpp v17, v1 row_shr:8 row_mask:0xf bank_mask:0xc
	v_add_f64 v[2:3], v[2:3], v[14:15]
	v_add_f64 v[16:17], v[0:1], v[16:17]
	s_nop 0
	v_mov_b32_dpp v14, v2 row_bcast:15 row_mask:0xa bank_mask:0xf
	v_mov_b32_dpp v15, v3 row_bcast:15 row_mask:0xa bank_mask:0xf
	;; [unrolled: 1-line block ×4, first 2 shown]
	s_and_saveexec_b64 s[2:3], s[0:1]
	s_cbranch_execz .LBB389_10
; %bb.16:                               ;   in Loop: Header=BB389_11 Depth=1
	v_add_f64 v[0:1], v[2:3], v[14:15]
	v_lshlrev_b64 v[14:15], 4, v[12:13]
	v_add_f64 v[2:3], v[16:17], v[18:19]
	v_mov_b32_e32 v16, s15
	v_add_co_u32_e32 v14, vcc, s14, v14
	v_addc_co_u32_e32 v15, vcc, v16, v15, vcc
	s_and_saveexec_b64 s[10:11], s[20:21]
	s_cbranch_execz .LBB389_9
; %bb.17:                               ;   in Loop: Header=BB389_11 Depth=1
	global_load_dwordx4 v[16:19], v[14:15], off
	s_waitcnt vmcnt(0)
	v_fmac_f64_e32 v[0:1], v[8:9], v[16:17]
	v_fmac_f64_e32 v[2:3], v[10:11], v[16:17]
	v_fma_f64 v[0:1], -v[10:11], v[18:19], v[0:1]
	v_fmac_f64_e32 v[2:3], v[8:9], v[18:19]
	s_branch .LBB389_9
.LBB389_18:
	s_endpgm
	.section	.rodata,"a",@progbits
	.p2align	6, 0x0
	.amdhsa_kernel _ZN9rocsparseL21csrmvn_general_kernelILj256ELj32Ell21rocsparse_complex_numIfES1_IdES3_S3_EEvbT2_NS_24const_host_device_scalarIT6_EEPKT1_SA_PKS4_PKT3_PKT4_S7_PT5_21rocsparse_index_base_b
		.amdhsa_group_segment_fixed_size 4096
		.amdhsa_private_segment_fixed_size 0
		.amdhsa_kernarg_size 360
		.amdhsa_user_sgpr_count 8
		.amdhsa_user_sgpr_private_segment_buffer 1
		.amdhsa_user_sgpr_dispatch_ptr 1
		.amdhsa_user_sgpr_queue_ptr 0
		.amdhsa_user_sgpr_kernarg_segment_ptr 1
		.amdhsa_user_sgpr_dispatch_id 0
		.amdhsa_user_sgpr_flat_scratch_init 0
		.amdhsa_user_sgpr_kernarg_preload_length 0
		.amdhsa_user_sgpr_kernarg_preload_offset 0
		.amdhsa_user_sgpr_private_segment_size 0
		.amdhsa_uses_dynamic_stack 0
		.amdhsa_system_sgpr_private_segment_wavefront_offset 0
		.amdhsa_system_sgpr_workgroup_id_x 1
		.amdhsa_system_sgpr_workgroup_id_y 0
		.amdhsa_system_sgpr_workgroup_id_z 0
		.amdhsa_system_sgpr_workgroup_info 0
		.amdhsa_system_vgpr_workitem_id 2
		.amdhsa_next_free_vgpr 38
		.amdhsa_next_free_sgpr 30
		.amdhsa_accum_offset 40
		.amdhsa_reserve_vcc 1
		.amdhsa_reserve_flat_scratch 0
		.amdhsa_float_round_mode_32 0
		.amdhsa_float_round_mode_16_64 0
		.amdhsa_float_denorm_mode_32 3
		.amdhsa_float_denorm_mode_16_64 3
		.amdhsa_dx10_clamp 1
		.amdhsa_ieee_mode 1
		.amdhsa_fp16_overflow 0
		.amdhsa_tg_split 0
		.amdhsa_exception_fp_ieee_invalid_op 0
		.amdhsa_exception_fp_denorm_src 0
		.amdhsa_exception_fp_ieee_div_zero 0
		.amdhsa_exception_fp_ieee_overflow 0
		.amdhsa_exception_fp_ieee_underflow 0
		.amdhsa_exception_fp_ieee_inexact 0
		.amdhsa_exception_int_div_zero 0
	.end_amdhsa_kernel
	.section	.text._ZN9rocsparseL21csrmvn_general_kernelILj256ELj32Ell21rocsparse_complex_numIfES1_IdES3_S3_EEvbT2_NS_24const_host_device_scalarIT6_EEPKT1_SA_PKS4_PKT3_PKT4_S7_PT5_21rocsparse_index_base_b,"axG",@progbits,_ZN9rocsparseL21csrmvn_general_kernelILj256ELj32Ell21rocsparse_complex_numIfES1_IdES3_S3_EEvbT2_NS_24const_host_device_scalarIT6_EEPKT1_SA_PKS4_PKT3_PKT4_S7_PT5_21rocsparse_index_base_b,comdat
.Lfunc_end389:
	.size	_ZN9rocsparseL21csrmvn_general_kernelILj256ELj32Ell21rocsparse_complex_numIfES1_IdES3_S3_EEvbT2_NS_24const_host_device_scalarIT6_EEPKT1_SA_PKS4_PKT3_PKT4_S7_PT5_21rocsparse_index_base_b, .Lfunc_end389-_ZN9rocsparseL21csrmvn_general_kernelILj256ELj32Ell21rocsparse_complex_numIfES1_IdES3_S3_EEvbT2_NS_24const_host_device_scalarIT6_EEPKT1_SA_PKS4_PKT3_PKT4_S7_PT5_21rocsparse_index_base_b
                                        ; -- End function
	.section	.AMDGPU.csdata,"",@progbits
; Kernel info:
; codeLenInByte = 1200
; NumSgprs: 34
; NumVgprs: 38
; NumAgprs: 0
; TotalNumVgprs: 38
; ScratchSize: 0
; MemoryBound: 0
; FloatMode: 240
; IeeeMode: 1
; LDSByteSize: 4096 bytes/workgroup (compile time only)
; SGPRBlocks: 4
; VGPRBlocks: 4
; NumSGPRsForWavesPerEU: 34
; NumVGPRsForWavesPerEU: 38
; AccumOffset: 40
; Occupancy: 8
; WaveLimiterHint : 1
; COMPUTE_PGM_RSRC2:SCRATCH_EN: 0
; COMPUTE_PGM_RSRC2:USER_SGPR: 8
; COMPUTE_PGM_RSRC2:TRAP_HANDLER: 0
; COMPUTE_PGM_RSRC2:TGID_X_EN: 1
; COMPUTE_PGM_RSRC2:TGID_Y_EN: 0
; COMPUTE_PGM_RSRC2:TGID_Z_EN: 0
; COMPUTE_PGM_RSRC2:TIDIG_COMP_CNT: 2
; COMPUTE_PGM_RSRC3_GFX90A:ACCUM_OFFSET: 9
; COMPUTE_PGM_RSRC3_GFX90A:TG_SPLIT: 0
	.section	.text._ZN9rocsparseL21csrmvn_general_kernelILj256ELj64Ell21rocsparse_complex_numIfES1_IdES3_S3_EEvbT2_NS_24const_host_device_scalarIT6_EEPKT1_SA_PKS4_PKT3_PKT4_S7_PT5_21rocsparse_index_base_b,"axG",@progbits,_ZN9rocsparseL21csrmvn_general_kernelILj256ELj64Ell21rocsparse_complex_numIfES1_IdES3_S3_EEvbT2_NS_24const_host_device_scalarIT6_EEPKT1_SA_PKS4_PKT3_PKT4_S7_PT5_21rocsparse_index_base_b,comdat
	.globl	_ZN9rocsparseL21csrmvn_general_kernelILj256ELj64Ell21rocsparse_complex_numIfES1_IdES3_S3_EEvbT2_NS_24const_host_device_scalarIT6_EEPKT1_SA_PKS4_PKT3_PKT4_S7_PT5_21rocsparse_index_base_b ; -- Begin function _ZN9rocsparseL21csrmvn_general_kernelILj256ELj64Ell21rocsparse_complex_numIfES1_IdES3_S3_EEvbT2_NS_24const_host_device_scalarIT6_EEPKT1_SA_PKS4_PKT3_PKT4_S7_PT5_21rocsparse_index_base_b
	.p2align	8
	.type	_ZN9rocsparseL21csrmvn_general_kernelILj256ELj64Ell21rocsparse_complex_numIfES1_IdES3_S3_EEvbT2_NS_24const_host_device_scalarIT6_EEPKT1_SA_PKS4_PKT3_PKT4_S7_PT5_21rocsparse_index_base_b,@function
_ZN9rocsparseL21csrmvn_general_kernelILj256ELj64Ell21rocsparse_complex_numIfES1_IdES3_S3_EEvbT2_NS_24const_host_device_scalarIT6_EEPKT1_SA_PKS4_PKT3_PKT4_S7_PT5_21rocsparse_index_base_b: ; @_ZN9rocsparseL21csrmvn_general_kernelILj256ELj64Ell21rocsparse_complex_numIfES1_IdES3_S3_EEvbT2_NS_24const_host_device_scalarIT6_EEPKT1_SA_PKS4_PKT3_PKT4_S7_PT5_21rocsparse_index_base_b
; %bb.0:
	s_load_dwordx2 s[24:25], s[6:7], 0x60
	s_load_dwordx8 s[12:19], s[6:7], 0x8
	s_load_dwordx4 s[20:23], s[6:7], 0x48
	s_mov_b64 s[2:3], src_shared_base
	s_load_dwordx2 s[4:5], s[4:5], 0x4
	s_waitcnt lgkmcnt(0)
	s_bitcmp1_b32 s25, 0
	s_cselect_b64 s[0:1], -1, 0
	s_and_b64 vcc, s[0:1], exec
	s_cselect_b32 s2, s3, s15
	s_lshr_b32 s4, s4, 16
	v_and_b32_e32 v1, 0x3ff, v0
	s_mul_i32 s4, s4, s5
	v_mul_lo_u32 v2, s4, v1
	v_bfe_u32 v3, v0, 10, 10
	v_mad_u32_u24 v2, v3, s5, v2
	v_bfe_u32 v0, v0, 20, 10
	v_add_lshl_u32 v0, v2, v0, 3
	v_mov_b32_e32 v6, s14
	v_add_u32_e32 v7, 0x800, v0
	v_pk_mov_b32 v[2:3], s[14:15], s[14:15] op_sel:[0,1]
	v_pk_mov_b32 v[4:5], s[20:21], s[20:21] op_sel:[0,1]
	ds_write2st64_b64 v0, v[4:5], v[2:3] offset1:4
	v_cndmask_b32_e64 v2, v6, v7, s[0:1]
	v_mov_b32_e32 v3, s2
	flat_load_dwordx2 v[4:5], v[2:3]
	s_xor_b64 s[4:5], s[0:1], -1
	v_pk_mov_b32 v[6:7], s[16:17], s[16:17] op_sel:[0,1]
	s_cbranch_vccnz .LBB390_2
; %bb.1:
	v_pk_mov_b32 v[2:3], s[14:15], s[14:15] op_sel:[0,1]
	flat_load_dwordx2 v[6:7], v[2:3] offset:8
.LBB390_2:
	s_and_b64 s[10:11], s[0:1], exec
	s_cselect_b32 s2, s3, s21
	v_mov_b32_e32 v2, s20
	v_cndmask_b32_e64 v2, v2, v0, s[0:1]
	v_mov_b32_e32 v3, s2
	flat_load_dwordx2 v[8:9], v[2:3]
	s_andn2_b64 vcc, exec, s[4:5]
	v_pk_mov_b32 v[10:11], s[22:23], s[22:23] op_sel:[0,1]
	s_cbranch_vccnz .LBB390_4
; %bb.3:
	v_pk_mov_b32 v[2:3], s[20:21], s[20:21] op_sel:[0,1]
	flat_load_dwordx2 v[10:11], v[2:3] offset:8
.LBB390_4:
	s_waitcnt vmcnt(0) lgkmcnt(0)
	v_cmp_eq_f64_e32 vcc, 0, v[4:5]
	v_cmp_eq_f64_e64 s[0:1], 0, v[6:7]
	s_and_b64 s[4:5], vcc, s[0:1]
	s_mov_b64 s[0:1], -1
	s_and_saveexec_b64 s[2:3], s[4:5]
; %bb.5:
	v_cmp_neq_f64_e32 vcc, 1.0, v[8:9]
	v_cmp_neq_f64_e64 s[0:1], 0, v[10:11]
	s_or_b64 s[0:1], vcc, s[0:1]
	s_orn2_b64 s[0:1], s[0:1], exec
; %bb.6:
	s_or_b64 exec, exec, s[2:3]
	s_and_saveexec_b64 s[2:3], s[0:1]
	s_cbranch_execz .LBB390_18
; %bb.7:
	s_load_dwordx2 s[4:5], s[6:7], 0x28
	v_lshl_or_b32 v0, s8, 8, v1
	v_lshrrev_b32_e32 v12, 6, v0
	v_mov_b32_e32 v13, 0
	v_cmp_gt_i64_e32 vcc, s[12:13], v[12:13]
	s_and_b64 exec, exec, vcc
	s_cbranch_execz .LBB390_18
; %bb.8:
	s_load_dword s2, s[6:7], 0x68
	s_load_dwordx4 s[8:11], s[6:7], 0x30
	s_load_dword s3, s[6:7], 0x0
	s_load_dwordx2 s[14:15], s[6:7], 0x58
	s_load_dwordx2 s[0:1], s[6:7], 0x40
	v_and_b32_e32 v0, 63, v1
	s_waitcnt lgkmcnt(0)
	s_lshl_b32 s25, s2, 2
	v_subrev_co_u32_e32 v22, vcc, s24, v0
	s_bitcmp1_b32 s3, 0
	v_subb_co_u32_e64 v23, s[2:3], 0, 0, vcc
	s_cselect_b64 s[6:7], -1, 0
	s_ashr_i32 s3, s24, 31
	s_mov_b32 s2, s24
	s_lshl_b64 s[2:3], s[2:3], 4
	s_sub_u32 s27, s0, s2
	s_subb_u32 s23, s1, s3
	v_cmp_neq_f64_e32 vcc, 0, v[8:9]
	v_cmp_neq_f64_e64 s[2:3], 0, v[10:11]
	s_or_b64 s[20:21], vcc, s[2:3]
	s_mov_b32 s26, 0
	s_add_u32 s28, s10, 4
	v_cmp_eq_u32_e64 s[0:1], 63, v0
	s_mov_b64 s[16:17], 0
	s_addc_u32 s29, s11, 0
	v_mov_b32_e32 v24, s19
	v_mov_b32_e32 v25, s5
	;; [unrolled: 1-line block ×4, first 2 shown]
	s_branch .LBB390_11
.LBB390_9:                              ;   in Loop: Header=BB390_11 Depth=1
	s_or_b64 exec, exec, s[10:11]
	global_store_dwordx4 v[14:15], v[0:3], off
.LBB390_10:                             ;   in Loop: Header=BB390_11 Depth=1
	s_or_b64 exec, exec, s[2:3]
	v_mov_b32_e32 v0, s26
	v_add_co_u32_e32 v12, vcc, s25, v12
	v_addc_co_u32_e32 v13, vcc, v13, v0, vcc
	v_cmp_le_i64_e32 vcc, s[12:13], v[12:13]
	s_or_b64 s[16:17], vcc, s[16:17]
	s_andn2_b64 exec, exec, s[16:17]
	s_cbranch_execz .LBB390_18
.LBB390_11:                             ; =>This Loop Header: Depth=1
                                        ;     Child Loop BB390_13 Depth 2
	v_lshlrev_b64 v[0:1], 3, v[12:13]
	v_add_co_u32_e32 v2, vcc, s4, v0
	v_addc_co_u32_e32 v3, vcc, v25, v1, vcc
	global_load_dwordx2 v[2:3], v[2:3], off
	v_add_co_u32_e32 v0, vcc, s18, v0
	v_addc_co_u32_e32 v1, vcc, v24, v1, vcc
	global_load_dwordx2 v[14:15], v[0:1], off
	v_pk_mov_b32 v[0:1], 0, 0
	v_pk_mov_b32 v[16:17], v[0:1], v[0:1] op_sel:[0,1]
	s_waitcnt vmcnt(1)
	v_subrev_co_u32_e32 v2, vcc, s24, v2
	v_subb_co_u32_e32 v3, vcc, v3, v26, vcc
	s_waitcnt vmcnt(0)
	v_add_co_u32_e32 v14, vcc, v14, v22
	v_addc_co_u32_e32 v15, vcc, v15, v23, vcc
	v_cmp_lt_i64_e32 vcc, v[14:15], v[2:3]
	s_and_saveexec_b64 s[10:11], vcc
	s_cbranch_execz .LBB390_15
; %bb.12:                               ;   in Loop: Header=BB390_11 Depth=1
	v_lshlrev_b64 v[0:1], 3, v[14:15]
	v_mov_b32_e32 v16, s29
	v_add_co_u32_e32 v18, vcc, s28, v0
	v_addc_co_u32_e32 v19, vcc, v16, v1, vcc
	v_mov_b32_e32 v16, s9
	v_add_co_u32_e32 v20, vcc, s8, v0
	v_addc_co_u32_e32 v21, vcc, v16, v1, vcc
	v_pk_mov_b32 v[0:1], 0, 0
	s_mov_b64 s[22:23], 0
	v_pk_mov_b32 v[16:17], v[0:1], v[0:1] op_sel:[0,1]
.LBB390_13:                             ;   Parent Loop BB390_11 Depth=1
                                        ; =>  This Inner Loop Header: Depth=2
	global_load_dwordx2 v[28:29], v[20:21], off
	global_load_dwordx2 v[32:33], v[18:19], off offset:-4
	s_waitcnt vmcnt(1)
	v_lshlrev_b64 v[28:29], 4, v[28:29]
	v_add_co_u32_e32 v28, vcc, s27, v28
	v_addc_co_u32_e32 v29, vcc, v27, v29, vcc
	global_load_dwordx4 v[28:31], v[28:29], off
	v_add_co_u32_e32 v14, vcc, 64, v14
	s_waitcnt vmcnt(1)
	v_cndmask_b32_e64 v34, v33, -v33, s[6:7]
	v_addc_co_u32_e32 v15, vcc, 0, v15, vcc
	v_cvt_f64_f32_e32 v[34:35], v34
	v_add_co_u32_e32 v18, vcc, 0x200, v18
	v_cvt_f64_f32_e32 v[32:33], v32
	v_mul_f64 v[36:37], -v[6:7], v[34:35]
	v_mul_f64 v[34:35], v[4:5], v[34:35]
	v_addc_co_u32_e32 v19, vcc, 0, v19, vcc
	v_fmac_f64_e32 v[36:37], v[4:5], v[32:33]
	v_fmac_f64_e32 v[34:35], v[6:7], v[32:33]
	v_add_co_u32_e32 v20, vcc, 0x200, v20
	v_cmp_ge_i64_e64 s[2:3], v[14:15], v[2:3]
	v_addc_co_u32_e32 v21, vcc, 0, v21, vcc
	s_or_b64 s[22:23], s[2:3], s[22:23]
	s_waitcnt vmcnt(0)
	v_fmac_f64_e32 v[16:17], v[36:37], v[28:29]
	v_fmac_f64_e32 v[0:1], v[34:35], v[28:29]
	v_fma_f64 v[16:17], -v[34:35], v[30:31], v[16:17]
	v_fmac_f64_e32 v[0:1], v[36:37], v[30:31]
	s_andn2_b64 exec, exec, s[22:23]
	s_cbranch_execnz .LBB390_13
; %bb.14:                               ;   in Loop: Header=BB390_11 Depth=1
	s_or_b64 exec, exec, s[22:23]
.LBB390_15:                             ;   in Loop: Header=BB390_11 Depth=1
	s_or_b64 exec, exec, s[10:11]
	v_mov_b32_dpp v2, v16 row_shr:1 row_mask:0xf bank_mask:0xf
	v_mov_b32_dpp v3, v17 row_shr:1 row_mask:0xf bank_mask:0xf
	v_add_f64 v[2:3], v[16:17], v[2:3]
	v_mov_b32_dpp v16, v0 row_shr:1 row_mask:0xf bank_mask:0xf
	v_mov_b32_dpp v17, v1 row_shr:1 row_mask:0xf bank_mask:0xf
	v_add_f64 v[0:1], v[0:1], v[16:17]
	v_mov_b32_dpp v14, v2 row_shr:2 row_mask:0xf bank_mask:0xf
	v_mov_b32_dpp v15, v3 row_shr:2 row_mask:0xf bank_mask:0xf
	v_mov_b32_dpp v16, v0 row_shr:2 row_mask:0xf bank_mask:0xf
	v_mov_b32_dpp v17, v1 row_shr:2 row_mask:0xf bank_mask:0xf
	v_add_f64 v[2:3], v[2:3], v[14:15]
	v_add_f64 v[0:1], v[0:1], v[16:17]
	s_nop 0
	v_mov_b32_dpp v14, v2 row_shr:4 row_mask:0xf bank_mask:0xe
	v_mov_b32_dpp v15, v3 row_shr:4 row_mask:0xf bank_mask:0xe
	v_mov_b32_dpp v16, v0 row_shr:4 row_mask:0xf bank_mask:0xe
	v_mov_b32_dpp v17, v1 row_shr:4 row_mask:0xf bank_mask:0xe
	v_add_f64 v[2:3], v[2:3], v[14:15]
	v_add_f64 v[0:1], v[0:1], v[16:17]
	s_nop 0
	;; [unrolled: 7-line block ×3, first 2 shown]
	v_mov_b32_dpp v14, v2 row_bcast:15 row_mask:0xa bank_mask:0xf
	v_mov_b32_dpp v15, v3 row_bcast:15 row_mask:0xa bank_mask:0xf
	;; [unrolled: 1-line block ×4, first 2 shown]
	v_add_f64 v[2:3], v[2:3], v[14:15]
	v_add_f64 v[16:17], v[0:1], v[16:17]
	s_nop 0
	v_mov_b32_dpp v14, v2 row_bcast:31 row_mask:0xc bank_mask:0xf
	v_mov_b32_dpp v15, v3 row_bcast:31 row_mask:0xc bank_mask:0xf
	;; [unrolled: 1-line block ×4, first 2 shown]
	s_and_saveexec_b64 s[2:3], s[0:1]
	s_cbranch_execz .LBB390_10
; %bb.16:                               ;   in Loop: Header=BB390_11 Depth=1
	v_add_f64 v[0:1], v[2:3], v[14:15]
	v_lshlrev_b64 v[14:15], 4, v[12:13]
	v_add_f64 v[2:3], v[16:17], v[18:19]
	v_mov_b32_e32 v16, s15
	v_add_co_u32_e32 v14, vcc, s14, v14
	v_addc_co_u32_e32 v15, vcc, v16, v15, vcc
	s_and_saveexec_b64 s[10:11], s[20:21]
	s_cbranch_execz .LBB390_9
; %bb.17:                               ;   in Loop: Header=BB390_11 Depth=1
	global_load_dwordx4 v[16:19], v[14:15], off
	s_waitcnt vmcnt(0)
	v_fmac_f64_e32 v[0:1], v[8:9], v[16:17]
	v_fmac_f64_e32 v[2:3], v[10:11], v[16:17]
	v_fma_f64 v[0:1], -v[10:11], v[18:19], v[0:1]
	v_fmac_f64_e32 v[2:3], v[8:9], v[18:19]
	s_branch .LBB390_9
.LBB390_18:
	s_endpgm
	.section	.rodata,"a",@progbits
	.p2align	6, 0x0
	.amdhsa_kernel _ZN9rocsparseL21csrmvn_general_kernelILj256ELj64Ell21rocsparse_complex_numIfES1_IdES3_S3_EEvbT2_NS_24const_host_device_scalarIT6_EEPKT1_SA_PKS4_PKT3_PKT4_S7_PT5_21rocsparse_index_base_b
		.amdhsa_group_segment_fixed_size 4096
		.amdhsa_private_segment_fixed_size 0
		.amdhsa_kernarg_size 360
		.amdhsa_user_sgpr_count 8
		.amdhsa_user_sgpr_private_segment_buffer 1
		.amdhsa_user_sgpr_dispatch_ptr 1
		.amdhsa_user_sgpr_queue_ptr 0
		.amdhsa_user_sgpr_kernarg_segment_ptr 1
		.amdhsa_user_sgpr_dispatch_id 0
		.amdhsa_user_sgpr_flat_scratch_init 0
		.amdhsa_user_sgpr_kernarg_preload_length 0
		.amdhsa_user_sgpr_kernarg_preload_offset 0
		.amdhsa_user_sgpr_private_segment_size 0
		.amdhsa_uses_dynamic_stack 0
		.amdhsa_system_sgpr_private_segment_wavefront_offset 0
		.amdhsa_system_sgpr_workgroup_id_x 1
		.amdhsa_system_sgpr_workgroup_id_y 0
		.amdhsa_system_sgpr_workgroup_id_z 0
		.amdhsa_system_sgpr_workgroup_info 0
		.amdhsa_system_vgpr_workitem_id 2
		.amdhsa_next_free_vgpr 38
		.amdhsa_next_free_sgpr 30
		.amdhsa_accum_offset 40
		.amdhsa_reserve_vcc 1
		.amdhsa_reserve_flat_scratch 0
		.amdhsa_float_round_mode_32 0
		.amdhsa_float_round_mode_16_64 0
		.amdhsa_float_denorm_mode_32 3
		.amdhsa_float_denorm_mode_16_64 3
		.amdhsa_dx10_clamp 1
		.amdhsa_ieee_mode 1
		.amdhsa_fp16_overflow 0
		.amdhsa_tg_split 0
		.amdhsa_exception_fp_ieee_invalid_op 0
		.amdhsa_exception_fp_denorm_src 0
		.amdhsa_exception_fp_ieee_div_zero 0
		.amdhsa_exception_fp_ieee_overflow 0
		.amdhsa_exception_fp_ieee_underflow 0
		.amdhsa_exception_fp_ieee_inexact 0
		.amdhsa_exception_int_div_zero 0
	.end_amdhsa_kernel
	.section	.text._ZN9rocsparseL21csrmvn_general_kernelILj256ELj64Ell21rocsparse_complex_numIfES1_IdES3_S3_EEvbT2_NS_24const_host_device_scalarIT6_EEPKT1_SA_PKS4_PKT3_PKT4_S7_PT5_21rocsparse_index_base_b,"axG",@progbits,_ZN9rocsparseL21csrmvn_general_kernelILj256ELj64Ell21rocsparse_complex_numIfES1_IdES3_S3_EEvbT2_NS_24const_host_device_scalarIT6_EEPKT1_SA_PKS4_PKT3_PKT4_S7_PT5_21rocsparse_index_base_b,comdat
.Lfunc_end390:
	.size	_ZN9rocsparseL21csrmvn_general_kernelILj256ELj64Ell21rocsparse_complex_numIfES1_IdES3_S3_EEvbT2_NS_24const_host_device_scalarIT6_EEPKT1_SA_PKS4_PKT3_PKT4_S7_PT5_21rocsparse_index_base_b, .Lfunc_end390-_ZN9rocsparseL21csrmvn_general_kernelILj256ELj64Ell21rocsparse_complex_numIfES1_IdES3_S3_EEvbT2_NS_24const_host_device_scalarIT6_EEPKT1_SA_PKS4_PKT3_PKT4_S7_PT5_21rocsparse_index_base_b
                                        ; -- End function
	.section	.AMDGPU.csdata,"",@progbits
; Kernel info:
; codeLenInByte = 1252
; NumSgprs: 34
; NumVgprs: 38
; NumAgprs: 0
; TotalNumVgprs: 38
; ScratchSize: 0
; MemoryBound: 0
; FloatMode: 240
; IeeeMode: 1
; LDSByteSize: 4096 bytes/workgroup (compile time only)
; SGPRBlocks: 4
; VGPRBlocks: 4
; NumSGPRsForWavesPerEU: 34
; NumVGPRsForWavesPerEU: 38
; AccumOffset: 40
; Occupancy: 8
; WaveLimiterHint : 1
; COMPUTE_PGM_RSRC2:SCRATCH_EN: 0
; COMPUTE_PGM_RSRC2:USER_SGPR: 8
; COMPUTE_PGM_RSRC2:TRAP_HANDLER: 0
; COMPUTE_PGM_RSRC2:TGID_X_EN: 1
; COMPUTE_PGM_RSRC2:TGID_Y_EN: 0
; COMPUTE_PGM_RSRC2:TGID_Z_EN: 0
; COMPUTE_PGM_RSRC2:TIDIG_COMP_CNT: 2
; COMPUTE_PGM_RSRC3_GFX90A:ACCUM_OFFSET: 9
; COMPUTE_PGM_RSRC3_GFX90A:TG_SPLIT: 0
	.section	.text._ZN9rocsparseL21csrmvt_general_kernelILj256ELj4Ell21rocsparse_complex_numIfES1_IdES3_S3_EEvbbT2_NS_24const_host_device_scalarIT6_EEPKT1_SA_PKS4_PKT3_PKT4_PT5_21rocsparse_index_base_b,"axG",@progbits,_ZN9rocsparseL21csrmvt_general_kernelILj256ELj4Ell21rocsparse_complex_numIfES1_IdES3_S3_EEvbbT2_NS_24const_host_device_scalarIT6_EEPKT1_SA_PKS4_PKT3_PKT4_PT5_21rocsparse_index_base_b,comdat
	.globl	_ZN9rocsparseL21csrmvt_general_kernelILj256ELj4Ell21rocsparse_complex_numIfES1_IdES3_S3_EEvbbT2_NS_24const_host_device_scalarIT6_EEPKT1_SA_PKS4_PKT3_PKT4_PT5_21rocsparse_index_base_b ; -- Begin function _ZN9rocsparseL21csrmvt_general_kernelILj256ELj4Ell21rocsparse_complex_numIfES1_IdES3_S3_EEvbbT2_NS_24const_host_device_scalarIT6_EEPKT1_SA_PKS4_PKT3_PKT4_PT5_21rocsparse_index_base_b
	.p2align	8
	.type	_ZN9rocsparseL21csrmvt_general_kernelILj256ELj4Ell21rocsparse_complex_numIfES1_IdES3_S3_EEvbbT2_NS_24const_host_device_scalarIT6_EEPKT1_SA_PKS4_PKT3_PKT4_PT5_21rocsparse_index_base_b,@function
_ZN9rocsparseL21csrmvt_general_kernelILj256ELj4Ell21rocsparse_complex_numIfES1_IdES3_S3_EEvbbT2_NS_24const_host_device_scalarIT6_EEPKT1_SA_PKS4_PKT3_PKT4_PT5_21rocsparse_index_base_b: ; @_ZN9rocsparseL21csrmvt_general_kernelILj256ELj4Ell21rocsparse_complex_numIfES1_IdES3_S3_EEvbbT2_NS_24const_host_device_scalarIT6_EEPKT1_SA_PKS4_PKT3_PKT4_PT5_21rocsparse_index_base_b
; %bb.0:
	s_load_dwordx2 s[2:3], s[6:7], 0x50
	s_load_dwordx2 s[0:1], s[4:5], 0x4
	s_load_dwordx8 s[12:19], s[6:7], 0x8
	v_and_b32_e32 v1, 0x3ff, v0
	v_bfe_u32 v3, v0, 10, 10
	s_waitcnt lgkmcnt(0)
	s_and_b32 s3, 1, s3
	s_lshr_b32 s0, s0, 16
	s_mul_i32 s0, s0, s1
	v_mul_lo_u32 v2, s0, v1
	s_cmp_eq_u32 s3, 1
	v_mad_u32_u24 v2, v3, s1, v2
	v_bfe_u32 v0, v0, 20, 10
	v_add_lshl_u32 v0, v2, v0, 3
	v_pk_mov_b32 v[2:3], s[14:15], s[14:15] op_sel:[0,1]
	s_cselect_b64 vcc, -1, 0
	ds_write_b64 v0, v[2:3]
	s_mov_b64 s[0:1], src_shared_base
	v_cndmask_b32_e32 v2, v2, v0, vcc
	s_and_b64 vcc, vcc, exec
	s_cselect_b32 s0, s1, s15
	v_mov_b32_e32 v3, s0
	flat_load_dwordx2 v[4:5], v[2:3]
	v_pk_mov_b32 v[6:7], s[16:17], s[16:17] op_sel:[0,1]
	s_cbranch_vccnz .LBB391_2
; %bb.1:
	v_pk_mov_b32 v[2:3], s[14:15], s[14:15] op_sel:[0,1]
	flat_load_dwordx2 v[6:7], v[2:3] offset:8
.LBB391_2:
	s_waitcnt vmcnt(0) lgkmcnt(0)
	v_cmp_neq_f64_e32 vcc, 0, v[4:5]
	v_cmp_neq_f64_e64 s[0:1], 0, v[6:7]
	s_or_b64 s[0:1], vcc, s[0:1]
	s_and_saveexec_b64 s[4:5], s[0:1]
	s_cbranch_execz .LBB391_27
; %bb.3:
	s_load_dword s0, s[6:7], 0x0
	s_load_dwordx2 s[4:5], s[6:7], 0x48
	s_load_dword s1, s[6:7], 0x58
	s_load_dwordx8 s[20:27], s[6:7], 0x28
	v_lshl_or_b32 v0, s8, 8, v1
	s_waitcnt lgkmcnt(0)
	s_and_b32 s9, s0, 1
	s_bitcmp1_b32 s0, 8
	s_cselect_b64 s[6:7], -1, 0
	s_lshl_b32 s3, s1, 6
	v_lshrrev_b32_e32 v8, 2, v0
	v_mov_b32_e32 v9, 0
	s_cmp_eq_u32 s9, 0
	v_and_b32_e32 v28, 3, v1
	v_cmp_gt_i64_e64 s[0:1], s[12:13], v[8:9]
	s_mov_b64 s[8:9], -1
	s_cbranch_scc0 .LBB391_15
; %bb.4:
	s_and_saveexec_b64 s[8:9], s[0:1]
	s_cbranch_execz .LBB391_14
; %bb.5:
	v_subrev_co_u32_e32 v29, vcc, s2, v28
	s_mov_b32 s14, 0
	v_subb_co_u32_e64 v30, s[10:11], 0, 0, vcc
	s_mov_b64 s[10:11], 0
	v_mov_b32_e32 v31, s19
	v_mov_b32_e32 v32, s21
	;; [unrolled: 1-line block ×3, first 2 shown]
	v_pk_mov_b32 v[10:11], v[8:9], v[8:9] op_sel:[0,1]
	s_branch .LBB391_7
.LBB391_6:                              ;   in Loop: Header=BB391_7 Depth=1
	s_or_b64 exec, exec, s[14:15]
	v_add_co_u32_e32 v10, vcc, s3, v10
	v_addc_co_u32_e32 v11, vcc, 0, v11, vcc
	v_cmp_le_i64_e32 vcc, s[12:13], v[10:11]
	s_or_b64 s[10:11], vcc, s[10:11]
	s_andn2_b64 exec, exec, s[10:11]
	s_cbranch_execz .LBB391_14
.LBB391_7:                              ; =>This Loop Header: Depth=1
                                        ;     Child Loop BB391_9 Depth 2
                                        ;       Child Loop BB391_10 Depth 3
                                        ;       Child Loop BB391_12 Depth 3
	v_lshlrev_b64 v[0:1], 3, v[10:11]
	v_add_co_u32_e32 v2, vcc, s20, v0
	v_addc_co_u32_e32 v3, vcc, v32, v1, vcc
	global_load_dwordx2 v[2:3], v[2:3], off
	v_add_co_u32_e32 v0, vcc, s18, v0
	v_addc_co_u32_e32 v1, vcc, v31, v1, vcc
	global_load_dwordx2 v[0:1], v[0:1], off
	s_waitcnt vmcnt(1)
	v_subrev_co_u32_e32 v12, vcc, s2, v2
	v_subb_co_u32_e32 v13, vcc, v3, v33, vcc
	s_waitcnt vmcnt(0)
	v_add_co_u32_e32 v14, vcc, v0, v29
	v_addc_co_u32_e32 v15, vcc, v1, v30, vcc
	v_cmp_lt_i64_e32 vcc, v[14:15], v[12:13]
	s_and_saveexec_b64 s[14:15], vcc
	s_cbranch_execz .LBB391_6
; %bb.8:                                ;   in Loop: Header=BB391_7 Depth=1
	v_lshlrev_b64 v[0:1], 4, v[10:11]
	v_mov_b32_e32 v2, s27
	v_add_co_u32_e32 v0, vcc, s26, v0
	v_addc_co_u32_e32 v1, vcc, v2, v1, vcc
	global_load_dwordx4 v[0:3], v[0:1], off
	s_mov_b64 s[16:17], 0
	s_waitcnt vmcnt(0)
	v_mul_f64 v[16:17], v[2:3], -v[6:7]
	v_mul_f64 v[18:19], v[4:5], v[2:3]
	v_fmac_f64_e32 v[16:17], v[4:5], v[0:1]
	v_fmac_f64_e32 v[18:19], v[6:7], v[0:1]
.LBB391_9:                              ;   Parent Loop BB391_7 Depth=1
                                        ; =>  This Loop Header: Depth=2
                                        ;       Child Loop BB391_10 Depth 3
                                        ;       Child Loop BB391_12 Depth 3
	v_lshlrev_b64 v[0:1], 3, v[14:15]
	v_mov_b32_e32 v3, s23
	v_add_co_u32_e32 v2, vcc, s22, v0
	v_addc_co_u32_e32 v3, vcc, v3, v1, vcc
	global_load_dwordx2 v[2:3], v[2:3], off
	v_mov_b32_e32 v20, s25
	v_add_co_u32_e32 v0, vcc, s24, v0
	v_addc_co_u32_e32 v1, vcc, v20, v1, vcc
	global_load_dwordx2 v[0:1], v[0:1], off
	v_mov_b32_e32 v21, s5
	s_mov_b64 s[28:29], 0
	s_waitcnt vmcnt(1)
	v_subrev_co_u32_e32 v2, vcc, s2, v2
	v_subb_co_u32_e32 v3, vcc, v3, v33, vcc
	v_lshlrev_b64 v[2:3], 4, v[2:3]
	v_add_co_u32_e32 v20, vcc, s4, v2
	v_addc_co_u32_e32 v21, vcc, v21, v3, vcc
	global_load_dwordx2 v[2:3], v[20:21], off
	s_waitcnt vmcnt(1)
	v_cndmask_b32_e64 v1, v1, -v1, s[6:7]
	v_cvt_f64_f32_e32 v[24:25], v1
	v_cvt_f64_f32_e32 v[22:23], v0
	v_mul_f64 v[26:27], -v[18:19], v[24:25]
	v_fmac_f64_e32 v[26:27], v[16:17], v[22:23]
.LBB391_10:                             ;   Parent Loop BB391_7 Depth=1
                                        ;     Parent Loop BB391_9 Depth=2
                                        ; =>    This Inner Loop Header: Depth=3
	s_waitcnt vmcnt(0)
	v_add_f64 v[0:1], v[2:3], v[26:27]
	global_atomic_cmpswap_x2 v[0:1], v[20:21], v[0:3], off glc
	s_waitcnt vmcnt(0)
	v_cmp_eq_u64_e32 vcc, v[0:1], v[2:3]
	s_or_b64 s[28:29], vcc, s[28:29]
	v_pk_mov_b32 v[2:3], v[0:1], v[0:1] op_sel:[0,1]
	s_andn2_b64 exec, exec, s[28:29]
	s_cbranch_execnz .LBB391_10
; %bb.11:                               ;   in Loop: Header=BB391_9 Depth=2
	s_or_b64 exec, exec, s[28:29]
	global_load_dwordx2 v[2:3], v[20:21], off offset:8
	v_mul_f64 v[24:25], v[16:17], v[24:25]
	v_fmac_f64_e32 v[24:25], v[18:19], v[22:23]
	s_mov_b64 s[28:29], 0
.LBB391_12:                             ;   Parent Loop BB391_7 Depth=1
                                        ;     Parent Loop BB391_9 Depth=2
                                        ; =>    This Inner Loop Header: Depth=3
	s_waitcnt vmcnt(0)
	v_add_f64 v[0:1], v[2:3], v[24:25]
	global_atomic_cmpswap_x2 v[0:1], v[20:21], v[0:3], off offset:8 glc
	s_waitcnt vmcnt(0)
	v_cmp_eq_u64_e32 vcc, v[0:1], v[2:3]
	s_or_b64 s[28:29], vcc, s[28:29]
	v_pk_mov_b32 v[2:3], v[0:1], v[0:1] op_sel:[0,1]
	s_andn2_b64 exec, exec, s[28:29]
	s_cbranch_execnz .LBB391_12
; %bb.13:                               ;   in Loop: Header=BB391_9 Depth=2
	s_or_b64 exec, exec, s[28:29]
	v_add_co_u32_e32 v14, vcc, 4, v14
	v_addc_co_u32_e32 v15, vcc, 0, v15, vcc
	v_cmp_ge_i64_e32 vcc, v[14:15], v[12:13]
	s_or_b64 s[16:17], vcc, s[16:17]
	s_andn2_b64 exec, exec, s[16:17]
	s_cbranch_execnz .LBB391_9
	s_branch .LBB391_6
.LBB391_14:
	s_or_b64 exec, exec, s[8:9]
	s_mov_b64 s[8:9], 0
.LBB391_15:
	s_andn2_b64 vcc, exec, s[8:9]
	s_cbranch_vccnz .LBB391_27
; %bb.16:
	s_and_b64 exec, exec, s[0:1]
	s_cbranch_execz .LBB391_27
; %bb.17:
	v_subrev_co_u32_e32 v26, vcc, s2, v28
	s_mov_b32 s8, 0
	v_subb_co_u32_e64 v27, s[0:1], 0, 0, vcc
	s_mov_b64 s[0:1], 0
	v_mov_b32_e32 v28, s19
	v_mov_b32_e32 v29, s21
	;; [unrolled: 1-line block ×3, first 2 shown]
	s_branch .LBB391_19
.LBB391_18:                             ;   in Loop: Header=BB391_19 Depth=1
	s_or_b64 exec, exec, s[8:9]
	v_add_co_u32_e32 v8, vcc, s3, v8
	v_addc_co_u32_e32 v9, vcc, 0, v9, vcc
	v_cmp_le_i64_e32 vcc, s[12:13], v[8:9]
	s_or_b64 s[0:1], vcc, s[0:1]
	s_andn2_b64 exec, exec, s[0:1]
	s_cbranch_execz .LBB391_27
.LBB391_19:                             ; =>This Loop Header: Depth=1
                                        ;     Child Loop BB391_22 Depth 2
                                        ;       Child Loop BB391_24 Depth 3
                                        ;       Child Loop BB391_26 Depth 3
	v_lshlrev_b64 v[0:1], 3, v[8:9]
	v_add_co_u32_e32 v2, vcc, s20, v0
	v_addc_co_u32_e32 v3, vcc, v29, v1, vcc
	global_load_dwordx2 v[2:3], v[2:3], off
	v_add_co_u32_e32 v0, vcc, s18, v0
	v_addc_co_u32_e32 v1, vcc, v28, v1, vcc
	global_load_dwordx2 v[0:1], v[0:1], off
	s_waitcnt vmcnt(1)
	v_subrev_co_u32_e32 v10, vcc, s2, v2
	v_subb_co_u32_e32 v11, vcc, v3, v30, vcc
	s_waitcnt vmcnt(0)
	v_add_co_u32_e32 v12, vcc, v0, v26
	v_addc_co_u32_e32 v13, vcc, v1, v27, vcc
	v_cmp_lt_i64_e32 vcc, v[12:13], v[10:11]
	s_and_saveexec_b64 s[8:9], vcc
	s_cbranch_execz .LBB391_18
; %bb.20:                               ;   in Loop: Header=BB391_19 Depth=1
	v_lshlrev_b64 v[0:1], 4, v[8:9]
	v_mov_b32_e32 v2, s27
	v_add_co_u32_e32 v0, vcc, s26, v0
	v_addc_co_u32_e32 v1, vcc, v2, v1, vcc
	global_load_dwordx4 v[0:3], v[0:1], off
	s_mov_b64 s[10:11], 0
	s_waitcnt vmcnt(0)
	v_mul_f64 v[14:15], v[2:3], -v[6:7]
	v_mul_f64 v[16:17], v[4:5], v[2:3]
	v_fmac_f64_e32 v[14:15], v[4:5], v[0:1]
	v_fmac_f64_e32 v[16:17], v[6:7], v[0:1]
	s_branch .LBB391_22
.LBB391_21:                             ;   in Loop: Header=BB391_22 Depth=2
	s_or_b64 exec, exec, s[14:15]
	v_add_co_u32_e32 v12, vcc, 4, v12
	v_addc_co_u32_e32 v13, vcc, 0, v13, vcc
	v_cmp_ge_i64_e32 vcc, v[12:13], v[10:11]
	s_or_b64 s[10:11], vcc, s[10:11]
	s_andn2_b64 exec, exec, s[10:11]
	s_cbranch_execz .LBB391_18
.LBB391_22:                             ;   Parent Loop BB391_19 Depth=1
                                        ; =>  This Loop Header: Depth=2
                                        ;       Child Loop BB391_24 Depth 3
                                        ;       Child Loop BB391_26 Depth 3
	v_lshlrev_b64 v[0:1], 3, v[12:13]
	v_mov_b32_e32 v3, s23
	v_add_co_u32_e32 v2, vcc, s22, v0
	v_addc_co_u32_e32 v3, vcc, v3, v1, vcc
	global_load_dwordx2 v[2:3], v[2:3], off
	s_waitcnt vmcnt(0)
	v_subrev_co_u32_e32 v2, vcc, s2, v2
	v_subb_co_u32_e32 v3, vcc, v3, v30, vcc
	v_cmp_ne_u64_e32 vcc, v[2:3], v[8:9]
	s_and_saveexec_b64 s[14:15], vcc
	s_cbranch_execz .LBB391_21
; %bb.23:                               ;   in Loop: Header=BB391_22 Depth=2
	v_mov_b32_e32 v18, s25
	v_add_co_u32_e32 v0, vcc, s24, v0
	v_addc_co_u32_e32 v1, vcc, v18, v1, vcc
	global_load_dwordx2 v[0:1], v[0:1], off
	v_lshlrev_b64 v[2:3], 4, v[2:3]
	v_mov_b32_e32 v19, s5
	v_add_co_u32_e32 v18, vcc, s4, v2
	v_addc_co_u32_e32 v19, vcc, v19, v3, vcc
	global_load_dwordx2 v[2:3], v[18:19], off
	s_mov_b64 s[16:17], 0
	s_waitcnt vmcnt(1)
	v_cndmask_b32_e64 v1, v1, -v1, s[6:7]
	v_cvt_f64_f32_e32 v[22:23], v1
	v_cvt_f64_f32_e32 v[20:21], v0
	v_mul_f64 v[24:25], -v[16:17], v[22:23]
	v_fmac_f64_e32 v[24:25], v[14:15], v[20:21]
.LBB391_24:                             ;   Parent Loop BB391_19 Depth=1
                                        ;     Parent Loop BB391_22 Depth=2
                                        ; =>    This Inner Loop Header: Depth=3
	s_waitcnt vmcnt(0)
	v_add_f64 v[0:1], v[2:3], v[24:25]
	global_atomic_cmpswap_x2 v[0:1], v[18:19], v[0:3], off glc
	s_waitcnt vmcnt(0)
	v_cmp_eq_u64_e32 vcc, v[0:1], v[2:3]
	s_or_b64 s[16:17], vcc, s[16:17]
	v_pk_mov_b32 v[2:3], v[0:1], v[0:1] op_sel:[0,1]
	s_andn2_b64 exec, exec, s[16:17]
	s_cbranch_execnz .LBB391_24
; %bb.25:                               ;   in Loop: Header=BB391_22 Depth=2
	s_or_b64 exec, exec, s[16:17]
	global_load_dwordx2 v[2:3], v[18:19], off offset:8
	v_mul_f64 v[22:23], v[14:15], v[22:23]
	v_fmac_f64_e32 v[22:23], v[16:17], v[20:21]
	s_mov_b64 s[16:17], 0
.LBB391_26:                             ;   Parent Loop BB391_19 Depth=1
                                        ;     Parent Loop BB391_22 Depth=2
                                        ; =>    This Inner Loop Header: Depth=3
	s_waitcnt vmcnt(0)
	v_add_f64 v[0:1], v[2:3], v[22:23]
	global_atomic_cmpswap_x2 v[0:1], v[18:19], v[0:3], off offset:8 glc
	s_waitcnt vmcnt(0)
	v_cmp_eq_u64_e32 vcc, v[0:1], v[2:3]
	s_or_b64 s[16:17], vcc, s[16:17]
	v_pk_mov_b32 v[2:3], v[0:1], v[0:1] op_sel:[0,1]
	s_andn2_b64 exec, exec, s[16:17]
	s_cbranch_execnz .LBB391_26
	s_branch .LBB391_21
.LBB391_27:
	s_endpgm
	.section	.rodata,"a",@progbits
	.p2align	6, 0x0
	.amdhsa_kernel _ZN9rocsparseL21csrmvt_general_kernelILj256ELj4Ell21rocsparse_complex_numIfES1_IdES3_S3_EEvbbT2_NS_24const_host_device_scalarIT6_EEPKT1_SA_PKS4_PKT3_PKT4_PT5_21rocsparse_index_base_b
		.amdhsa_group_segment_fixed_size 2048
		.amdhsa_private_segment_fixed_size 0
		.amdhsa_kernarg_size 344
		.amdhsa_user_sgpr_count 8
		.amdhsa_user_sgpr_private_segment_buffer 1
		.amdhsa_user_sgpr_dispatch_ptr 1
		.amdhsa_user_sgpr_queue_ptr 0
		.amdhsa_user_sgpr_kernarg_segment_ptr 1
		.amdhsa_user_sgpr_dispatch_id 0
		.amdhsa_user_sgpr_flat_scratch_init 0
		.amdhsa_user_sgpr_kernarg_preload_length 0
		.amdhsa_user_sgpr_kernarg_preload_offset 0
		.amdhsa_user_sgpr_private_segment_size 0
		.amdhsa_uses_dynamic_stack 0
		.amdhsa_system_sgpr_private_segment_wavefront_offset 0
		.amdhsa_system_sgpr_workgroup_id_x 1
		.amdhsa_system_sgpr_workgroup_id_y 0
		.amdhsa_system_sgpr_workgroup_id_z 0
		.amdhsa_system_sgpr_workgroup_info 0
		.amdhsa_system_vgpr_workitem_id 2
		.amdhsa_next_free_vgpr 34
		.amdhsa_next_free_sgpr 30
		.amdhsa_accum_offset 36
		.amdhsa_reserve_vcc 1
		.amdhsa_reserve_flat_scratch 0
		.amdhsa_float_round_mode_32 0
		.amdhsa_float_round_mode_16_64 0
		.amdhsa_float_denorm_mode_32 3
		.amdhsa_float_denorm_mode_16_64 3
		.amdhsa_dx10_clamp 1
		.amdhsa_ieee_mode 1
		.amdhsa_fp16_overflow 0
		.amdhsa_tg_split 0
		.amdhsa_exception_fp_ieee_invalid_op 0
		.amdhsa_exception_fp_denorm_src 0
		.amdhsa_exception_fp_ieee_div_zero 0
		.amdhsa_exception_fp_ieee_overflow 0
		.amdhsa_exception_fp_ieee_underflow 0
		.amdhsa_exception_fp_ieee_inexact 0
		.amdhsa_exception_int_div_zero 0
	.end_amdhsa_kernel
	.section	.text._ZN9rocsparseL21csrmvt_general_kernelILj256ELj4Ell21rocsparse_complex_numIfES1_IdES3_S3_EEvbbT2_NS_24const_host_device_scalarIT6_EEPKT1_SA_PKS4_PKT3_PKT4_PT5_21rocsparse_index_base_b,"axG",@progbits,_ZN9rocsparseL21csrmvt_general_kernelILj256ELj4Ell21rocsparse_complex_numIfES1_IdES3_S3_EEvbbT2_NS_24const_host_device_scalarIT6_EEPKT1_SA_PKS4_PKT3_PKT4_PT5_21rocsparse_index_base_b,comdat
.Lfunc_end391:
	.size	_ZN9rocsparseL21csrmvt_general_kernelILj256ELj4Ell21rocsparse_complex_numIfES1_IdES3_S3_EEvbbT2_NS_24const_host_device_scalarIT6_EEPKT1_SA_PKS4_PKT3_PKT4_PT5_21rocsparse_index_base_b, .Lfunc_end391-_ZN9rocsparseL21csrmvt_general_kernelILj256ELj4Ell21rocsparse_complex_numIfES1_IdES3_S3_EEvbbT2_NS_24const_host_device_scalarIT6_EEPKT1_SA_PKS4_PKT3_PKT4_PT5_21rocsparse_index_base_b
                                        ; -- End function
	.section	.AMDGPU.csdata,"",@progbits
; Kernel info:
; codeLenInByte = 1308
; NumSgprs: 34
; NumVgprs: 34
; NumAgprs: 0
; TotalNumVgprs: 34
; ScratchSize: 0
; MemoryBound: 0
; FloatMode: 240
; IeeeMode: 1
; LDSByteSize: 2048 bytes/workgroup (compile time only)
; SGPRBlocks: 4
; VGPRBlocks: 4
; NumSGPRsForWavesPerEU: 34
; NumVGPRsForWavesPerEU: 34
; AccumOffset: 36
; Occupancy: 8
; WaveLimiterHint : 1
; COMPUTE_PGM_RSRC2:SCRATCH_EN: 0
; COMPUTE_PGM_RSRC2:USER_SGPR: 8
; COMPUTE_PGM_RSRC2:TRAP_HANDLER: 0
; COMPUTE_PGM_RSRC2:TGID_X_EN: 1
; COMPUTE_PGM_RSRC2:TGID_Y_EN: 0
; COMPUTE_PGM_RSRC2:TGID_Z_EN: 0
; COMPUTE_PGM_RSRC2:TIDIG_COMP_CNT: 2
; COMPUTE_PGM_RSRC3_GFX90A:ACCUM_OFFSET: 8
; COMPUTE_PGM_RSRC3_GFX90A:TG_SPLIT: 0
	.section	.text._ZN9rocsparseL21csrmvt_general_kernelILj256ELj8Ell21rocsparse_complex_numIfES1_IdES3_S3_EEvbbT2_NS_24const_host_device_scalarIT6_EEPKT1_SA_PKS4_PKT3_PKT4_PT5_21rocsparse_index_base_b,"axG",@progbits,_ZN9rocsparseL21csrmvt_general_kernelILj256ELj8Ell21rocsparse_complex_numIfES1_IdES3_S3_EEvbbT2_NS_24const_host_device_scalarIT6_EEPKT1_SA_PKS4_PKT3_PKT4_PT5_21rocsparse_index_base_b,comdat
	.globl	_ZN9rocsparseL21csrmvt_general_kernelILj256ELj8Ell21rocsparse_complex_numIfES1_IdES3_S3_EEvbbT2_NS_24const_host_device_scalarIT6_EEPKT1_SA_PKS4_PKT3_PKT4_PT5_21rocsparse_index_base_b ; -- Begin function _ZN9rocsparseL21csrmvt_general_kernelILj256ELj8Ell21rocsparse_complex_numIfES1_IdES3_S3_EEvbbT2_NS_24const_host_device_scalarIT6_EEPKT1_SA_PKS4_PKT3_PKT4_PT5_21rocsparse_index_base_b
	.p2align	8
	.type	_ZN9rocsparseL21csrmvt_general_kernelILj256ELj8Ell21rocsparse_complex_numIfES1_IdES3_S3_EEvbbT2_NS_24const_host_device_scalarIT6_EEPKT1_SA_PKS4_PKT3_PKT4_PT5_21rocsparse_index_base_b,@function
_ZN9rocsparseL21csrmvt_general_kernelILj256ELj8Ell21rocsparse_complex_numIfES1_IdES3_S3_EEvbbT2_NS_24const_host_device_scalarIT6_EEPKT1_SA_PKS4_PKT3_PKT4_PT5_21rocsparse_index_base_b: ; @_ZN9rocsparseL21csrmvt_general_kernelILj256ELj8Ell21rocsparse_complex_numIfES1_IdES3_S3_EEvbbT2_NS_24const_host_device_scalarIT6_EEPKT1_SA_PKS4_PKT3_PKT4_PT5_21rocsparse_index_base_b
; %bb.0:
	s_load_dwordx2 s[2:3], s[6:7], 0x50
	s_load_dwordx2 s[0:1], s[4:5], 0x4
	s_load_dwordx8 s[12:19], s[6:7], 0x8
	v_and_b32_e32 v1, 0x3ff, v0
	v_bfe_u32 v3, v0, 10, 10
	s_waitcnt lgkmcnt(0)
	s_and_b32 s3, 1, s3
	s_lshr_b32 s0, s0, 16
	s_mul_i32 s0, s0, s1
	v_mul_lo_u32 v2, s0, v1
	s_cmp_eq_u32 s3, 1
	v_mad_u32_u24 v2, v3, s1, v2
	v_bfe_u32 v0, v0, 20, 10
	v_add_lshl_u32 v0, v2, v0, 3
	v_pk_mov_b32 v[2:3], s[14:15], s[14:15] op_sel:[0,1]
	s_cselect_b64 vcc, -1, 0
	ds_write_b64 v0, v[2:3]
	s_mov_b64 s[0:1], src_shared_base
	v_cndmask_b32_e32 v2, v2, v0, vcc
	s_and_b64 vcc, vcc, exec
	s_cselect_b32 s0, s1, s15
	v_mov_b32_e32 v3, s0
	flat_load_dwordx2 v[4:5], v[2:3]
	v_pk_mov_b32 v[6:7], s[16:17], s[16:17] op_sel:[0,1]
	s_cbranch_vccnz .LBB392_2
; %bb.1:
	v_pk_mov_b32 v[2:3], s[14:15], s[14:15] op_sel:[0,1]
	flat_load_dwordx2 v[6:7], v[2:3] offset:8
.LBB392_2:
	s_waitcnt vmcnt(0) lgkmcnt(0)
	v_cmp_neq_f64_e32 vcc, 0, v[4:5]
	v_cmp_neq_f64_e64 s[0:1], 0, v[6:7]
	s_or_b64 s[0:1], vcc, s[0:1]
	s_and_saveexec_b64 s[4:5], s[0:1]
	s_cbranch_execz .LBB392_27
; %bb.3:
	s_load_dword s0, s[6:7], 0x0
	s_load_dwordx2 s[4:5], s[6:7], 0x48
	s_load_dword s1, s[6:7], 0x58
	s_load_dwordx8 s[20:27], s[6:7], 0x28
	v_lshl_or_b32 v0, s8, 8, v1
	s_waitcnt lgkmcnt(0)
	s_and_b32 s9, s0, 1
	s_bitcmp1_b32 s0, 8
	s_cselect_b64 s[6:7], -1, 0
	s_lshl_b32 s3, s1, 5
	v_lshrrev_b32_e32 v8, 3, v0
	v_mov_b32_e32 v9, 0
	s_cmp_eq_u32 s9, 0
	v_and_b32_e32 v28, 7, v1
	v_cmp_gt_i64_e64 s[0:1], s[12:13], v[8:9]
	s_mov_b64 s[8:9], -1
	s_cbranch_scc0 .LBB392_15
; %bb.4:
	s_and_saveexec_b64 s[8:9], s[0:1]
	s_cbranch_execz .LBB392_14
; %bb.5:
	v_subrev_co_u32_e32 v29, vcc, s2, v28
	s_mov_b32 s14, 0
	v_subb_co_u32_e64 v30, s[10:11], 0, 0, vcc
	s_mov_b64 s[10:11], 0
	v_mov_b32_e32 v31, s19
	v_mov_b32_e32 v32, s21
	;; [unrolled: 1-line block ×3, first 2 shown]
	v_pk_mov_b32 v[10:11], v[8:9], v[8:9] op_sel:[0,1]
	s_branch .LBB392_7
.LBB392_6:                              ;   in Loop: Header=BB392_7 Depth=1
	s_or_b64 exec, exec, s[14:15]
	v_add_co_u32_e32 v10, vcc, s3, v10
	v_addc_co_u32_e32 v11, vcc, 0, v11, vcc
	v_cmp_le_i64_e32 vcc, s[12:13], v[10:11]
	s_or_b64 s[10:11], vcc, s[10:11]
	s_andn2_b64 exec, exec, s[10:11]
	s_cbranch_execz .LBB392_14
.LBB392_7:                              ; =>This Loop Header: Depth=1
                                        ;     Child Loop BB392_9 Depth 2
                                        ;       Child Loop BB392_10 Depth 3
                                        ;       Child Loop BB392_12 Depth 3
	v_lshlrev_b64 v[0:1], 3, v[10:11]
	v_add_co_u32_e32 v2, vcc, s20, v0
	v_addc_co_u32_e32 v3, vcc, v32, v1, vcc
	global_load_dwordx2 v[2:3], v[2:3], off
	v_add_co_u32_e32 v0, vcc, s18, v0
	v_addc_co_u32_e32 v1, vcc, v31, v1, vcc
	global_load_dwordx2 v[0:1], v[0:1], off
	s_waitcnt vmcnt(1)
	v_subrev_co_u32_e32 v12, vcc, s2, v2
	v_subb_co_u32_e32 v13, vcc, v3, v33, vcc
	s_waitcnt vmcnt(0)
	v_add_co_u32_e32 v14, vcc, v0, v29
	v_addc_co_u32_e32 v15, vcc, v1, v30, vcc
	v_cmp_lt_i64_e32 vcc, v[14:15], v[12:13]
	s_and_saveexec_b64 s[14:15], vcc
	s_cbranch_execz .LBB392_6
; %bb.8:                                ;   in Loop: Header=BB392_7 Depth=1
	v_lshlrev_b64 v[0:1], 4, v[10:11]
	v_mov_b32_e32 v2, s27
	v_add_co_u32_e32 v0, vcc, s26, v0
	v_addc_co_u32_e32 v1, vcc, v2, v1, vcc
	global_load_dwordx4 v[0:3], v[0:1], off
	s_mov_b64 s[16:17], 0
	s_waitcnt vmcnt(0)
	v_mul_f64 v[16:17], v[2:3], -v[6:7]
	v_mul_f64 v[18:19], v[4:5], v[2:3]
	v_fmac_f64_e32 v[16:17], v[4:5], v[0:1]
	v_fmac_f64_e32 v[18:19], v[6:7], v[0:1]
.LBB392_9:                              ;   Parent Loop BB392_7 Depth=1
                                        ; =>  This Loop Header: Depth=2
                                        ;       Child Loop BB392_10 Depth 3
                                        ;       Child Loop BB392_12 Depth 3
	v_lshlrev_b64 v[0:1], 3, v[14:15]
	v_mov_b32_e32 v3, s23
	v_add_co_u32_e32 v2, vcc, s22, v0
	v_addc_co_u32_e32 v3, vcc, v3, v1, vcc
	global_load_dwordx2 v[2:3], v[2:3], off
	v_mov_b32_e32 v20, s25
	v_add_co_u32_e32 v0, vcc, s24, v0
	v_addc_co_u32_e32 v1, vcc, v20, v1, vcc
	global_load_dwordx2 v[0:1], v[0:1], off
	v_mov_b32_e32 v21, s5
	s_mov_b64 s[28:29], 0
	s_waitcnt vmcnt(1)
	v_subrev_co_u32_e32 v2, vcc, s2, v2
	v_subb_co_u32_e32 v3, vcc, v3, v33, vcc
	v_lshlrev_b64 v[2:3], 4, v[2:3]
	v_add_co_u32_e32 v20, vcc, s4, v2
	v_addc_co_u32_e32 v21, vcc, v21, v3, vcc
	global_load_dwordx2 v[2:3], v[20:21], off
	s_waitcnt vmcnt(1)
	v_cndmask_b32_e64 v1, v1, -v1, s[6:7]
	v_cvt_f64_f32_e32 v[24:25], v1
	v_cvt_f64_f32_e32 v[22:23], v0
	v_mul_f64 v[26:27], -v[18:19], v[24:25]
	v_fmac_f64_e32 v[26:27], v[16:17], v[22:23]
.LBB392_10:                             ;   Parent Loop BB392_7 Depth=1
                                        ;     Parent Loop BB392_9 Depth=2
                                        ; =>    This Inner Loop Header: Depth=3
	s_waitcnt vmcnt(0)
	v_add_f64 v[0:1], v[2:3], v[26:27]
	global_atomic_cmpswap_x2 v[0:1], v[20:21], v[0:3], off glc
	s_waitcnt vmcnt(0)
	v_cmp_eq_u64_e32 vcc, v[0:1], v[2:3]
	s_or_b64 s[28:29], vcc, s[28:29]
	v_pk_mov_b32 v[2:3], v[0:1], v[0:1] op_sel:[0,1]
	s_andn2_b64 exec, exec, s[28:29]
	s_cbranch_execnz .LBB392_10
; %bb.11:                               ;   in Loop: Header=BB392_9 Depth=2
	s_or_b64 exec, exec, s[28:29]
	global_load_dwordx2 v[2:3], v[20:21], off offset:8
	v_mul_f64 v[24:25], v[16:17], v[24:25]
	v_fmac_f64_e32 v[24:25], v[18:19], v[22:23]
	s_mov_b64 s[28:29], 0
.LBB392_12:                             ;   Parent Loop BB392_7 Depth=1
                                        ;     Parent Loop BB392_9 Depth=2
                                        ; =>    This Inner Loop Header: Depth=3
	s_waitcnt vmcnt(0)
	v_add_f64 v[0:1], v[2:3], v[24:25]
	global_atomic_cmpswap_x2 v[0:1], v[20:21], v[0:3], off offset:8 glc
	s_waitcnt vmcnt(0)
	v_cmp_eq_u64_e32 vcc, v[0:1], v[2:3]
	s_or_b64 s[28:29], vcc, s[28:29]
	v_pk_mov_b32 v[2:3], v[0:1], v[0:1] op_sel:[0,1]
	s_andn2_b64 exec, exec, s[28:29]
	s_cbranch_execnz .LBB392_12
; %bb.13:                               ;   in Loop: Header=BB392_9 Depth=2
	s_or_b64 exec, exec, s[28:29]
	v_add_co_u32_e32 v14, vcc, 8, v14
	v_addc_co_u32_e32 v15, vcc, 0, v15, vcc
	v_cmp_ge_i64_e32 vcc, v[14:15], v[12:13]
	s_or_b64 s[16:17], vcc, s[16:17]
	s_andn2_b64 exec, exec, s[16:17]
	s_cbranch_execnz .LBB392_9
	s_branch .LBB392_6
.LBB392_14:
	s_or_b64 exec, exec, s[8:9]
	s_mov_b64 s[8:9], 0
.LBB392_15:
	s_andn2_b64 vcc, exec, s[8:9]
	s_cbranch_vccnz .LBB392_27
; %bb.16:
	s_and_b64 exec, exec, s[0:1]
	s_cbranch_execz .LBB392_27
; %bb.17:
	v_subrev_co_u32_e32 v26, vcc, s2, v28
	s_mov_b32 s8, 0
	v_subb_co_u32_e64 v27, s[0:1], 0, 0, vcc
	s_mov_b64 s[0:1], 0
	v_mov_b32_e32 v28, s19
	v_mov_b32_e32 v29, s21
	v_mov_b32_e32 v30, s8
	s_branch .LBB392_19
.LBB392_18:                             ;   in Loop: Header=BB392_19 Depth=1
	s_or_b64 exec, exec, s[8:9]
	v_add_co_u32_e32 v8, vcc, s3, v8
	v_addc_co_u32_e32 v9, vcc, 0, v9, vcc
	v_cmp_le_i64_e32 vcc, s[12:13], v[8:9]
	s_or_b64 s[0:1], vcc, s[0:1]
	s_andn2_b64 exec, exec, s[0:1]
	s_cbranch_execz .LBB392_27
.LBB392_19:                             ; =>This Loop Header: Depth=1
                                        ;     Child Loop BB392_22 Depth 2
                                        ;       Child Loop BB392_24 Depth 3
                                        ;       Child Loop BB392_26 Depth 3
	v_lshlrev_b64 v[0:1], 3, v[8:9]
	v_add_co_u32_e32 v2, vcc, s20, v0
	v_addc_co_u32_e32 v3, vcc, v29, v1, vcc
	global_load_dwordx2 v[2:3], v[2:3], off
	v_add_co_u32_e32 v0, vcc, s18, v0
	v_addc_co_u32_e32 v1, vcc, v28, v1, vcc
	global_load_dwordx2 v[0:1], v[0:1], off
	s_waitcnt vmcnt(1)
	v_subrev_co_u32_e32 v10, vcc, s2, v2
	v_subb_co_u32_e32 v11, vcc, v3, v30, vcc
	s_waitcnt vmcnt(0)
	v_add_co_u32_e32 v12, vcc, v0, v26
	v_addc_co_u32_e32 v13, vcc, v1, v27, vcc
	v_cmp_lt_i64_e32 vcc, v[12:13], v[10:11]
	s_and_saveexec_b64 s[8:9], vcc
	s_cbranch_execz .LBB392_18
; %bb.20:                               ;   in Loop: Header=BB392_19 Depth=1
	v_lshlrev_b64 v[0:1], 4, v[8:9]
	v_mov_b32_e32 v2, s27
	v_add_co_u32_e32 v0, vcc, s26, v0
	v_addc_co_u32_e32 v1, vcc, v2, v1, vcc
	global_load_dwordx4 v[0:3], v[0:1], off
	s_mov_b64 s[10:11], 0
	s_waitcnt vmcnt(0)
	v_mul_f64 v[14:15], v[2:3], -v[6:7]
	v_mul_f64 v[16:17], v[4:5], v[2:3]
	v_fmac_f64_e32 v[14:15], v[4:5], v[0:1]
	v_fmac_f64_e32 v[16:17], v[6:7], v[0:1]
	s_branch .LBB392_22
.LBB392_21:                             ;   in Loop: Header=BB392_22 Depth=2
	s_or_b64 exec, exec, s[14:15]
	v_add_co_u32_e32 v12, vcc, 8, v12
	v_addc_co_u32_e32 v13, vcc, 0, v13, vcc
	v_cmp_ge_i64_e32 vcc, v[12:13], v[10:11]
	s_or_b64 s[10:11], vcc, s[10:11]
	s_andn2_b64 exec, exec, s[10:11]
	s_cbranch_execz .LBB392_18
.LBB392_22:                             ;   Parent Loop BB392_19 Depth=1
                                        ; =>  This Loop Header: Depth=2
                                        ;       Child Loop BB392_24 Depth 3
                                        ;       Child Loop BB392_26 Depth 3
	v_lshlrev_b64 v[0:1], 3, v[12:13]
	v_mov_b32_e32 v3, s23
	v_add_co_u32_e32 v2, vcc, s22, v0
	v_addc_co_u32_e32 v3, vcc, v3, v1, vcc
	global_load_dwordx2 v[2:3], v[2:3], off
	s_waitcnt vmcnt(0)
	v_subrev_co_u32_e32 v2, vcc, s2, v2
	v_subb_co_u32_e32 v3, vcc, v3, v30, vcc
	v_cmp_ne_u64_e32 vcc, v[2:3], v[8:9]
	s_and_saveexec_b64 s[14:15], vcc
	s_cbranch_execz .LBB392_21
; %bb.23:                               ;   in Loop: Header=BB392_22 Depth=2
	v_mov_b32_e32 v18, s25
	v_add_co_u32_e32 v0, vcc, s24, v0
	v_addc_co_u32_e32 v1, vcc, v18, v1, vcc
	global_load_dwordx2 v[0:1], v[0:1], off
	v_lshlrev_b64 v[2:3], 4, v[2:3]
	v_mov_b32_e32 v19, s5
	v_add_co_u32_e32 v18, vcc, s4, v2
	v_addc_co_u32_e32 v19, vcc, v19, v3, vcc
	global_load_dwordx2 v[2:3], v[18:19], off
	s_mov_b64 s[16:17], 0
	s_waitcnt vmcnt(1)
	v_cndmask_b32_e64 v1, v1, -v1, s[6:7]
	v_cvt_f64_f32_e32 v[22:23], v1
	v_cvt_f64_f32_e32 v[20:21], v0
	v_mul_f64 v[24:25], -v[16:17], v[22:23]
	v_fmac_f64_e32 v[24:25], v[14:15], v[20:21]
.LBB392_24:                             ;   Parent Loop BB392_19 Depth=1
                                        ;     Parent Loop BB392_22 Depth=2
                                        ; =>    This Inner Loop Header: Depth=3
	s_waitcnt vmcnt(0)
	v_add_f64 v[0:1], v[2:3], v[24:25]
	global_atomic_cmpswap_x2 v[0:1], v[18:19], v[0:3], off glc
	s_waitcnt vmcnt(0)
	v_cmp_eq_u64_e32 vcc, v[0:1], v[2:3]
	s_or_b64 s[16:17], vcc, s[16:17]
	v_pk_mov_b32 v[2:3], v[0:1], v[0:1] op_sel:[0,1]
	s_andn2_b64 exec, exec, s[16:17]
	s_cbranch_execnz .LBB392_24
; %bb.25:                               ;   in Loop: Header=BB392_22 Depth=2
	s_or_b64 exec, exec, s[16:17]
	global_load_dwordx2 v[2:3], v[18:19], off offset:8
	v_mul_f64 v[22:23], v[14:15], v[22:23]
	v_fmac_f64_e32 v[22:23], v[16:17], v[20:21]
	s_mov_b64 s[16:17], 0
.LBB392_26:                             ;   Parent Loop BB392_19 Depth=1
                                        ;     Parent Loop BB392_22 Depth=2
                                        ; =>    This Inner Loop Header: Depth=3
	s_waitcnt vmcnt(0)
	v_add_f64 v[0:1], v[2:3], v[22:23]
	global_atomic_cmpswap_x2 v[0:1], v[18:19], v[0:3], off offset:8 glc
	s_waitcnt vmcnt(0)
	v_cmp_eq_u64_e32 vcc, v[0:1], v[2:3]
	s_or_b64 s[16:17], vcc, s[16:17]
	v_pk_mov_b32 v[2:3], v[0:1], v[0:1] op_sel:[0,1]
	s_andn2_b64 exec, exec, s[16:17]
	s_cbranch_execnz .LBB392_26
	s_branch .LBB392_21
.LBB392_27:
	s_endpgm
	.section	.rodata,"a",@progbits
	.p2align	6, 0x0
	.amdhsa_kernel _ZN9rocsparseL21csrmvt_general_kernelILj256ELj8Ell21rocsparse_complex_numIfES1_IdES3_S3_EEvbbT2_NS_24const_host_device_scalarIT6_EEPKT1_SA_PKS4_PKT3_PKT4_PT5_21rocsparse_index_base_b
		.amdhsa_group_segment_fixed_size 2048
		.amdhsa_private_segment_fixed_size 0
		.amdhsa_kernarg_size 344
		.amdhsa_user_sgpr_count 8
		.amdhsa_user_sgpr_private_segment_buffer 1
		.amdhsa_user_sgpr_dispatch_ptr 1
		.amdhsa_user_sgpr_queue_ptr 0
		.amdhsa_user_sgpr_kernarg_segment_ptr 1
		.amdhsa_user_sgpr_dispatch_id 0
		.amdhsa_user_sgpr_flat_scratch_init 0
		.amdhsa_user_sgpr_kernarg_preload_length 0
		.amdhsa_user_sgpr_kernarg_preload_offset 0
		.amdhsa_user_sgpr_private_segment_size 0
		.amdhsa_uses_dynamic_stack 0
		.amdhsa_system_sgpr_private_segment_wavefront_offset 0
		.amdhsa_system_sgpr_workgroup_id_x 1
		.amdhsa_system_sgpr_workgroup_id_y 0
		.amdhsa_system_sgpr_workgroup_id_z 0
		.amdhsa_system_sgpr_workgroup_info 0
		.amdhsa_system_vgpr_workitem_id 2
		.amdhsa_next_free_vgpr 34
		.amdhsa_next_free_sgpr 30
		.amdhsa_accum_offset 36
		.amdhsa_reserve_vcc 1
		.amdhsa_reserve_flat_scratch 0
		.amdhsa_float_round_mode_32 0
		.amdhsa_float_round_mode_16_64 0
		.amdhsa_float_denorm_mode_32 3
		.amdhsa_float_denorm_mode_16_64 3
		.amdhsa_dx10_clamp 1
		.amdhsa_ieee_mode 1
		.amdhsa_fp16_overflow 0
		.amdhsa_tg_split 0
		.amdhsa_exception_fp_ieee_invalid_op 0
		.amdhsa_exception_fp_denorm_src 0
		.amdhsa_exception_fp_ieee_div_zero 0
		.amdhsa_exception_fp_ieee_overflow 0
		.amdhsa_exception_fp_ieee_underflow 0
		.amdhsa_exception_fp_ieee_inexact 0
		.amdhsa_exception_int_div_zero 0
	.end_amdhsa_kernel
	.section	.text._ZN9rocsparseL21csrmvt_general_kernelILj256ELj8Ell21rocsparse_complex_numIfES1_IdES3_S3_EEvbbT2_NS_24const_host_device_scalarIT6_EEPKT1_SA_PKS4_PKT3_PKT4_PT5_21rocsparse_index_base_b,"axG",@progbits,_ZN9rocsparseL21csrmvt_general_kernelILj256ELj8Ell21rocsparse_complex_numIfES1_IdES3_S3_EEvbbT2_NS_24const_host_device_scalarIT6_EEPKT1_SA_PKS4_PKT3_PKT4_PT5_21rocsparse_index_base_b,comdat
.Lfunc_end392:
	.size	_ZN9rocsparseL21csrmvt_general_kernelILj256ELj8Ell21rocsparse_complex_numIfES1_IdES3_S3_EEvbbT2_NS_24const_host_device_scalarIT6_EEPKT1_SA_PKS4_PKT3_PKT4_PT5_21rocsparse_index_base_b, .Lfunc_end392-_ZN9rocsparseL21csrmvt_general_kernelILj256ELj8Ell21rocsparse_complex_numIfES1_IdES3_S3_EEvbbT2_NS_24const_host_device_scalarIT6_EEPKT1_SA_PKS4_PKT3_PKT4_PT5_21rocsparse_index_base_b
                                        ; -- End function
	.section	.AMDGPU.csdata,"",@progbits
; Kernel info:
; codeLenInByte = 1308
; NumSgprs: 34
; NumVgprs: 34
; NumAgprs: 0
; TotalNumVgprs: 34
; ScratchSize: 0
; MemoryBound: 0
; FloatMode: 240
; IeeeMode: 1
; LDSByteSize: 2048 bytes/workgroup (compile time only)
; SGPRBlocks: 4
; VGPRBlocks: 4
; NumSGPRsForWavesPerEU: 34
; NumVGPRsForWavesPerEU: 34
; AccumOffset: 36
; Occupancy: 8
; WaveLimiterHint : 1
; COMPUTE_PGM_RSRC2:SCRATCH_EN: 0
; COMPUTE_PGM_RSRC2:USER_SGPR: 8
; COMPUTE_PGM_RSRC2:TRAP_HANDLER: 0
; COMPUTE_PGM_RSRC2:TGID_X_EN: 1
; COMPUTE_PGM_RSRC2:TGID_Y_EN: 0
; COMPUTE_PGM_RSRC2:TGID_Z_EN: 0
; COMPUTE_PGM_RSRC2:TIDIG_COMP_CNT: 2
; COMPUTE_PGM_RSRC3_GFX90A:ACCUM_OFFSET: 8
; COMPUTE_PGM_RSRC3_GFX90A:TG_SPLIT: 0
	.section	.text._ZN9rocsparseL21csrmvt_general_kernelILj256ELj16Ell21rocsparse_complex_numIfES1_IdES3_S3_EEvbbT2_NS_24const_host_device_scalarIT6_EEPKT1_SA_PKS4_PKT3_PKT4_PT5_21rocsparse_index_base_b,"axG",@progbits,_ZN9rocsparseL21csrmvt_general_kernelILj256ELj16Ell21rocsparse_complex_numIfES1_IdES3_S3_EEvbbT2_NS_24const_host_device_scalarIT6_EEPKT1_SA_PKS4_PKT3_PKT4_PT5_21rocsparse_index_base_b,comdat
	.globl	_ZN9rocsparseL21csrmvt_general_kernelILj256ELj16Ell21rocsparse_complex_numIfES1_IdES3_S3_EEvbbT2_NS_24const_host_device_scalarIT6_EEPKT1_SA_PKS4_PKT3_PKT4_PT5_21rocsparse_index_base_b ; -- Begin function _ZN9rocsparseL21csrmvt_general_kernelILj256ELj16Ell21rocsparse_complex_numIfES1_IdES3_S3_EEvbbT2_NS_24const_host_device_scalarIT6_EEPKT1_SA_PKS4_PKT3_PKT4_PT5_21rocsparse_index_base_b
	.p2align	8
	.type	_ZN9rocsparseL21csrmvt_general_kernelILj256ELj16Ell21rocsparse_complex_numIfES1_IdES3_S3_EEvbbT2_NS_24const_host_device_scalarIT6_EEPKT1_SA_PKS4_PKT3_PKT4_PT5_21rocsparse_index_base_b,@function
_ZN9rocsparseL21csrmvt_general_kernelILj256ELj16Ell21rocsparse_complex_numIfES1_IdES3_S3_EEvbbT2_NS_24const_host_device_scalarIT6_EEPKT1_SA_PKS4_PKT3_PKT4_PT5_21rocsparse_index_base_b: ; @_ZN9rocsparseL21csrmvt_general_kernelILj256ELj16Ell21rocsparse_complex_numIfES1_IdES3_S3_EEvbbT2_NS_24const_host_device_scalarIT6_EEPKT1_SA_PKS4_PKT3_PKT4_PT5_21rocsparse_index_base_b
; %bb.0:
	s_load_dwordx2 s[2:3], s[6:7], 0x50
	s_load_dwordx2 s[0:1], s[4:5], 0x4
	s_load_dwordx8 s[12:19], s[6:7], 0x8
	v_and_b32_e32 v1, 0x3ff, v0
	v_bfe_u32 v3, v0, 10, 10
	s_waitcnt lgkmcnt(0)
	s_and_b32 s3, 1, s3
	s_lshr_b32 s0, s0, 16
	s_mul_i32 s0, s0, s1
	v_mul_lo_u32 v2, s0, v1
	s_cmp_eq_u32 s3, 1
	v_mad_u32_u24 v2, v3, s1, v2
	v_bfe_u32 v0, v0, 20, 10
	v_add_lshl_u32 v0, v2, v0, 3
	v_pk_mov_b32 v[2:3], s[14:15], s[14:15] op_sel:[0,1]
	s_cselect_b64 vcc, -1, 0
	ds_write_b64 v0, v[2:3]
	s_mov_b64 s[0:1], src_shared_base
	v_cndmask_b32_e32 v2, v2, v0, vcc
	s_and_b64 vcc, vcc, exec
	s_cselect_b32 s0, s1, s15
	v_mov_b32_e32 v3, s0
	flat_load_dwordx2 v[4:5], v[2:3]
	v_pk_mov_b32 v[6:7], s[16:17], s[16:17] op_sel:[0,1]
	s_cbranch_vccnz .LBB393_2
; %bb.1:
	v_pk_mov_b32 v[2:3], s[14:15], s[14:15] op_sel:[0,1]
	flat_load_dwordx2 v[6:7], v[2:3] offset:8
.LBB393_2:
	s_waitcnt vmcnt(0) lgkmcnt(0)
	v_cmp_neq_f64_e32 vcc, 0, v[4:5]
	v_cmp_neq_f64_e64 s[0:1], 0, v[6:7]
	s_or_b64 s[0:1], vcc, s[0:1]
	s_and_saveexec_b64 s[4:5], s[0:1]
	s_cbranch_execz .LBB393_27
; %bb.3:
	s_load_dword s0, s[6:7], 0x0
	s_load_dwordx2 s[4:5], s[6:7], 0x48
	s_load_dword s1, s[6:7], 0x58
	s_load_dwordx8 s[20:27], s[6:7], 0x28
	v_lshl_or_b32 v0, s8, 8, v1
	s_waitcnt lgkmcnt(0)
	s_and_b32 s9, s0, 1
	s_bitcmp1_b32 s0, 8
	s_cselect_b64 s[6:7], -1, 0
	s_lshl_b32 s3, s1, 4
	v_lshrrev_b32_e32 v8, 4, v0
	v_mov_b32_e32 v9, 0
	s_cmp_eq_u32 s9, 0
	v_and_b32_e32 v28, 15, v1
	v_cmp_gt_i64_e64 s[0:1], s[12:13], v[8:9]
	s_mov_b64 s[8:9], -1
	s_cbranch_scc0 .LBB393_15
; %bb.4:
	s_and_saveexec_b64 s[8:9], s[0:1]
	s_cbranch_execz .LBB393_14
; %bb.5:
	v_subrev_co_u32_e32 v29, vcc, s2, v28
	s_mov_b32 s14, 0
	v_subb_co_u32_e64 v30, s[10:11], 0, 0, vcc
	s_mov_b64 s[10:11], 0
	v_mov_b32_e32 v31, s19
	v_mov_b32_e32 v32, s21
	;; [unrolled: 1-line block ×3, first 2 shown]
	v_pk_mov_b32 v[10:11], v[8:9], v[8:9] op_sel:[0,1]
	s_branch .LBB393_7
.LBB393_6:                              ;   in Loop: Header=BB393_7 Depth=1
	s_or_b64 exec, exec, s[14:15]
	v_add_co_u32_e32 v10, vcc, s3, v10
	v_addc_co_u32_e32 v11, vcc, 0, v11, vcc
	v_cmp_le_i64_e32 vcc, s[12:13], v[10:11]
	s_or_b64 s[10:11], vcc, s[10:11]
	s_andn2_b64 exec, exec, s[10:11]
	s_cbranch_execz .LBB393_14
.LBB393_7:                              ; =>This Loop Header: Depth=1
                                        ;     Child Loop BB393_9 Depth 2
                                        ;       Child Loop BB393_10 Depth 3
                                        ;       Child Loop BB393_12 Depth 3
	v_lshlrev_b64 v[0:1], 3, v[10:11]
	v_add_co_u32_e32 v2, vcc, s20, v0
	v_addc_co_u32_e32 v3, vcc, v32, v1, vcc
	global_load_dwordx2 v[2:3], v[2:3], off
	v_add_co_u32_e32 v0, vcc, s18, v0
	v_addc_co_u32_e32 v1, vcc, v31, v1, vcc
	global_load_dwordx2 v[0:1], v[0:1], off
	s_waitcnt vmcnt(1)
	v_subrev_co_u32_e32 v12, vcc, s2, v2
	v_subb_co_u32_e32 v13, vcc, v3, v33, vcc
	s_waitcnt vmcnt(0)
	v_add_co_u32_e32 v14, vcc, v0, v29
	v_addc_co_u32_e32 v15, vcc, v1, v30, vcc
	v_cmp_lt_i64_e32 vcc, v[14:15], v[12:13]
	s_and_saveexec_b64 s[14:15], vcc
	s_cbranch_execz .LBB393_6
; %bb.8:                                ;   in Loop: Header=BB393_7 Depth=1
	v_lshlrev_b64 v[0:1], 4, v[10:11]
	v_mov_b32_e32 v2, s27
	v_add_co_u32_e32 v0, vcc, s26, v0
	v_addc_co_u32_e32 v1, vcc, v2, v1, vcc
	global_load_dwordx4 v[0:3], v[0:1], off
	s_mov_b64 s[16:17], 0
	s_waitcnt vmcnt(0)
	v_mul_f64 v[16:17], v[2:3], -v[6:7]
	v_mul_f64 v[18:19], v[4:5], v[2:3]
	v_fmac_f64_e32 v[16:17], v[4:5], v[0:1]
	v_fmac_f64_e32 v[18:19], v[6:7], v[0:1]
.LBB393_9:                              ;   Parent Loop BB393_7 Depth=1
                                        ; =>  This Loop Header: Depth=2
                                        ;       Child Loop BB393_10 Depth 3
                                        ;       Child Loop BB393_12 Depth 3
	v_lshlrev_b64 v[0:1], 3, v[14:15]
	v_mov_b32_e32 v3, s23
	v_add_co_u32_e32 v2, vcc, s22, v0
	v_addc_co_u32_e32 v3, vcc, v3, v1, vcc
	global_load_dwordx2 v[2:3], v[2:3], off
	v_mov_b32_e32 v20, s25
	v_add_co_u32_e32 v0, vcc, s24, v0
	v_addc_co_u32_e32 v1, vcc, v20, v1, vcc
	global_load_dwordx2 v[0:1], v[0:1], off
	v_mov_b32_e32 v21, s5
	s_mov_b64 s[28:29], 0
	s_waitcnt vmcnt(1)
	v_subrev_co_u32_e32 v2, vcc, s2, v2
	v_subb_co_u32_e32 v3, vcc, v3, v33, vcc
	v_lshlrev_b64 v[2:3], 4, v[2:3]
	v_add_co_u32_e32 v20, vcc, s4, v2
	v_addc_co_u32_e32 v21, vcc, v21, v3, vcc
	global_load_dwordx2 v[2:3], v[20:21], off
	s_waitcnt vmcnt(1)
	v_cndmask_b32_e64 v1, v1, -v1, s[6:7]
	v_cvt_f64_f32_e32 v[24:25], v1
	v_cvt_f64_f32_e32 v[22:23], v0
	v_mul_f64 v[26:27], -v[18:19], v[24:25]
	v_fmac_f64_e32 v[26:27], v[16:17], v[22:23]
.LBB393_10:                             ;   Parent Loop BB393_7 Depth=1
                                        ;     Parent Loop BB393_9 Depth=2
                                        ; =>    This Inner Loop Header: Depth=3
	s_waitcnt vmcnt(0)
	v_add_f64 v[0:1], v[2:3], v[26:27]
	global_atomic_cmpswap_x2 v[0:1], v[20:21], v[0:3], off glc
	s_waitcnt vmcnt(0)
	v_cmp_eq_u64_e32 vcc, v[0:1], v[2:3]
	s_or_b64 s[28:29], vcc, s[28:29]
	v_pk_mov_b32 v[2:3], v[0:1], v[0:1] op_sel:[0,1]
	s_andn2_b64 exec, exec, s[28:29]
	s_cbranch_execnz .LBB393_10
; %bb.11:                               ;   in Loop: Header=BB393_9 Depth=2
	s_or_b64 exec, exec, s[28:29]
	global_load_dwordx2 v[2:3], v[20:21], off offset:8
	v_mul_f64 v[24:25], v[16:17], v[24:25]
	v_fmac_f64_e32 v[24:25], v[18:19], v[22:23]
	s_mov_b64 s[28:29], 0
.LBB393_12:                             ;   Parent Loop BB393_7 Depth=1
                                        ;     Parent Loop BB393_9 Depth=2
                                        ; =>    This Inner Loop Header: Depth=3
	s_waitcnt vmcnt(0)
	v_add_f64 v[0:1], v[2:3], v[24:25]
	global_atomic_cmpswap_x2 v[0:1], v[20:21], v[0:3], off offset:8 glc
	s_waitcnt vmcnt(0)
	v_cmp_eq_u64_e32 vcc, v[0:1], v[2:3]
	s_or_b64 s[28:29], vcc, s[28:29]
	v_pk_mov_b32 v[2:3], v[0:1], v[0:1] op_sel:[0,1]
	s_andn2_b64 exec, exec, s[28:29]
	s_cbranch_execnz .LBB393_12
; %bb.13:                               ;   in Loop: Header=BB393_9 Depth=2
	s_or_b64 exec, exec, s[28:29]
	v_add_co_u32_e32 v14, vcc, 16, v14
	v_addc_co_u32_e32 v15, vcc, 0, v15, vcc
	v_cmp_ge_i64_e32 vcc, v[14:15], v[12:13]
	s_or_b64 s[16:17], vcc, s[16:17]
	s_andn2_b64 exec, exec, s[16:17]
	s_cbranch_execnz .LBB393_9
	s_branch .LBB393_6
.LBB393_14:
	s_or_b64 exec, exec, s[8:9]
	s_mov_b64 s[8:9], 0
.LBB393_15:
	s_andn2_b64 vcc, exec, s[8:9]
	s_cbranch_vccnz .LBB393_27
; %bb.16:
	s_and_b64 exec, exec, s[0:1]
	s_cbranch_execz .LBB393_27
; %bb.17:
	v_subrev_co_u32_e32 v26, vcc, s2, v28
	s_mov_b32 s8, 0
	v_subb_co_u32_e64 v27, s[0:1], 0, 0, vcc
	s_mov_b64 s[0:1], 0
	v_mov_b32_e32 v28, s19
	v_mov_b32_e32 v29, s21
	;; [unrolled: 1-line block ×3, first 2 shown]
	s_branch .LBB393_19
.LBB393_18:                             ;   in Loop: Header=BB393_19 Depth=1
	s_or_b64 exec, exec, s[8:9]
	v_add_co_u32_e32 v8, vcc, s3, v8
	v_addc_co_u32_e32 v9, vcc, 0, v9, vcc
	v_cmp_le_i64_e32 vcc, s[12:13], v[8:9]
	s_or_b64 s[0:1], vcc, s[0:1]
	s_andn2_b64 exec, exec, s[0:1]
	s_cbranch_execz .LBB393_27
.LBB393_19:                             ; =>This Loop Header: Depth=1
                                        ;     Child Loop BB393_22 Depth 2
                                        ;       Child Loop BB393_24 Depth 3
                                        ;       Child Loop BB393_26 Depth 3
	v_lshlrev_b64 v[0:1], 3, v[8:9]
	v_add_co_u32_e32 v2, vcc, s20, v0
	v_addc_co_u32_e32 v3, vcc, v29, v1, vcc
	global_load_dwordx2 v[2:3], v[2:3], off
	v_add_co_u32_e32 v0, vcc, s18, v0
	v_addc_co_u32_e32 v1, vcc, v28, v1, vcc
	global_load_dwordx2 v[0:1], v[0:1], off
	s_waitcnt vmcnt(1)
	v_subrev_co_u32_e32 v10, vcc, s2, v2
	v_subb_co_u32_e32 v11, vcc, v3, v30, vcc
	s_waitcnt vmcnt(0)
	v_add_co_u32_e32 v12, vcc, v0, v26
	v_addc_co_u32_e32 v13, vcc, v1, v27, vcc
	v_cmp_lt_i64_e32 vcc, v[12:13], v[10:11]
	s_and_saveexec_b64 s[8:9], vcc
	s_cbranch_execz .LBB393_18
; %bb.20:                               ;   in Loop: Header=BB393_19 Depth=1
	v_lshlrev_b64 v[0:1], 4, v[8:9]
	v_mov_b32_e32 v2, s27
	v_add_co_u32_e32 v0, vcc, s26, v0
	v_addc_co_u32_e32 v1, vcc, v2, v1, vcc
	global_load_dwordx4 v[0:3], v[0:1], off
	s_mov_b64 s[10:11], 0
	s_waitcnt vmcnt(0)
	v_mul_f64 v[14:15], v[2:3], -v[6:7]
	v_mul_f64 v[16:17], v[4:5], v[2:3]
	v_fmac_f64_e32 v[14:15], v[4:5], v[0:1]
	v_fmac_f64_e32 v[16:17], v[6:7], v[0:1]
	s_branch .LBB393_22
.LBB393_21:                             ;   in Loop: Header=BB393_22 Depth=2
	s_or_b64 exec, exec, s[14:15]
	v_add_co_u32_e32 v12, vcc, 16, v12
	v_addc_co_u32_e32 v13, vcc, 0, v13, vcc
	v_cmp_ge_i64_e32 vcc, v[12:13], v[10:11]
	s_or_b64 s[10:11], vcc, s[10:11]
	s_andn2_b64 exec, exec, s[10:11]
	s_cbranch_execz .LBB393_18
.LBB393_22:                             ;   Parent Loop BB393_19 Depth=1
                                        ; =>  This Loop Header: Depth=2
                                        ;       Child Loop BB393_24 Depth 3
                                        ;       Child Loop BB393_26 Depth 3
	v_lshlrev_b64 v[0:1], 3, v[12:13]
	v_mov_b32_e32 v3, s23
	v_add_co_u32_e32 v2, vcc, s22, v0
	v_addc_co_u32_e32 v3, vcc, v3, v1, vcc
	global_load_dwordx2 v[2:3], v[2:3], off
	s_waitcnt vmcnt(0)
	v_subrev_co_u32_e32 v2, vcc, s2, v2
	v_subb_co_u32_e32 v3, vcc, v3, v30, vcc
	v_cmp_ne_u64_e32 vcc, v[2:3], v[8:9]
	s_and_saveexec_b64 s[14:15], vcc
	s_cbranch_execz .LBB393_21
; %bb.23:                               ;   in Loop: Header=BB393_22 Depth=2
	v_mov_b32_e32 v18, s25
	v_add_co_u32_e32 v0, vcc, s24, v0
	v_addc_co_u32_e32 v1, vcc, v18, v1, vcc
	global_load_dwordx2 v[0:1], v[0:1], off
	v_lshlrev_b64 v[2:3], 4, v[2:3]
	v_mov_b32_e32 v19, s5
	v_add_co_u32_e32 v18, vcc, s4, v2
	v_addc_co_u32_e32 v19, vcc, v19, v3, vcc
	global_load_dwordx2 v[2:3], v[18:19], off
	s_mov_b64 s[16:17], 0
	s_waitcnt vmcnt(1)
	v_cndmask_b32_e64 v1, v1, -v1, s[6:7]
	v_cvt_f64_f32_e32 v[22:23], v1
	v_cvt_f64_f32_e32 v[20:21], v0
	v_mul_f64 v[24:25], -v[16:17], v[22:23]
	v_fmac_f64_e32 v[24:25], v[14:15], v[20:21]
.LBB393_24:                             ;   Parent Loop BB393_19 Depth=1
                                        ;     Parent Loop BB393_22 Depth=2
                                        ; =>    This Inner Loop Header: Depth=3
	s_waitcnt vmcnt(0)
	v_add_f64 v[0:1], v[2:3], v[24:25]
	global_atomic_cmpswap_x2 v[0:1], v[18:19], v[0:3], off glc
	s_waitcnt vmcnt(0)
	v_cmp_eq_u64_e32 vcc, v[0:1], v[2:3]
	s_or_b64 s[16:17], vcc, s[16:17]
	v_pk_mov_b32 v[2:3], v[0:1], v[0:1] op_sel:[0,1]
	s_andn2_b64 exec, exec, s[16:17]
	s_cbranch_execnz .LBB393_24
; %bb.25:                               ;   in Loop: Header=BB393_22 Depth=2
	s_or_b64 exec, exec, s[16:17]
	global_load_dwordx2 v[2:3], v[18:19], off offset:8
	v_mul_f64 v[22:23], v[14:15], v[22:23]
	v_fmac_f64_e32 v[22:23], v[16:17], v[20:21]
	s_mov_b64 s[16:17], 0
.LBB393_26:                             ;   Parent Loop BB393_19 Depth=1
                                        ;     Parent Loop BB393_22 Depth=2
                                        ; =>    This Inner Loop Header: Depth=3
	s_waitcnt vmcnt(0)
	v_add_f64 v[0:1], v[2:3], v[22:23]
	global_atomic_cmpswap_x2 v[0:1], v[18:19], v[0:3], off offset:8 glc
	s_waitcnt vmcnt(0)
	v_cmp_eq_u64_e32 vcc, v[0:1], v[2:3]
	s_or_b64 s[16:17], vcc, s[16:17]
	v_pk_mov_b32 v[2:3], v[0:1], v[0:1] op_sel:[0,1]
	s_andn2_b64 exec, exec, s[16:17]
	s_cbranch_execnz .LBB393_26
	s_branch .LBB393_21
.LBB393_27:
	s_endpgm
	.section	.rodata,"a",@progbits
	.p2align	6, 0x0
	.amdhsa_kernel _ZN9rocsparseL21csrmvt_general_kernelILj256ELj16Ell21rocsparse_complex_numIfES1_IdES3_S3_EEvbbT2_NS_24const_host_device_scalarIT6_EEPKT1_SA_PKS4_PKT3_PKT4_PT5_21rocsparse_index_base_b
		.amdhsa_group_segment_fixed_size 2048
		.amdhsa_private_segment_fixed_size 0
		.amdhsa_kernarg_size 344
		.amdhsa_user_sgpr_count 8
		.amdhsa_user_sgpr_private_segment_buffer 1
		.amdhsa_user_sgpr_dispatch_ptr 1
		.amdhsa_user_sgpr_queue_ptr 0
		.amdhsa_user_sgpr_kernarg_segment_ptr 1
		.amdhsa_user_sgpr_dispatch_id 0
		.amdhsa_user_sgpr_flat_scratch_init 0
		.amdhsa_user_sgpr_kernarg_preload_length 0
		.amdhsa_user_sgpr_kernarg_preload_offset 0
		.amdhsa_user_sgpr_private_segment_size 0
		.amdhsa_uses_dynamic_stack 0
		.amdhsa_system_sgpr_private_segment_wavefront_offset 0
		.amdhsa_system_sgpr_workgroup_id_x 1
		.amdhsa_system_sgpr_workgroup_id_y 0
		.amdhsa_system_sgpr_workgroup_id_z 0
		.amdhsa_system_sgpr_workgroup_info 0
		.amdhsa_system_vgpr_workitem_id 2
		.amdhsa_next_free_vgpr 34
		.amdhsa_next_free_sgpr 30
		.amdhsa_accum_offset 36
		.amdhsa_reserve_vcc 1
		.amdhsa_reserve_flat_scratch 0
		.amdhsa_float_round_mode_32 0
		.amdhsa_float_round_mode_16_64 0
		.amdhsa_float_denorm_mode_32 3
		.amdhsa_float_denorm_mode_16_64 3
		.amdhsa_dx10_clamp 1
		.amdhsa_ieee_mode 1
		.amdhsa_fp16_overflow 0
		.amdhsa_tg_split 0
		.amdhsa_exception_fp_ieee_invalid_op 0
		.amdhsa_exception_fp_denorm_src 0
		.amdhsa_exception_fp_ieee_div_zero 0
		.amdhsa_exception_fp_ieee_overflow 0
		.amdhsa_exception_fp_ieee_underflow 0
		.amdhsa_exception_fp_ieee_inexact 0
		.amdhsa_exception_int_div_zero 0
	.end_amdhsa_kernel
	.section	.text._ZN9rocsparseL21csrmvt_general_kernelILj256ELj16Ell21rocsparse_complex_numIfES1_IdES3_S3_EEvbbT2_NS_24const_host_device_scalarIT6_EEPKT1_SA_PKS4_PKT3_PKT4_PT5_21rocsparse_index_base_b,"axG",@progbits,_ZN9rocsparseL21csrmvt_general_kernelILj256ELj16Ell21rocsparse_complex_numIfES1_IdES3_S3_EEvbbT2_NS_24const_host_device_scalarIT6_EEPKT1_SA_PKS4_PKT3_PKT4_PT5_21rocsparse_index_base_b,comdat
.Lfunc_end393:
	.size	_ZN9rocsparseL21csrmvt_general_kernelILj256ELj16Ell21rocsparse_complex_numIfES1_IdES3_S3_EEvbbT2_NS_24const_host_device_scalarIT6_EEPKT1_SA_PKS4_PKT3_PKT4_PT5_21rocsparse_index_base_b, .Lfunc_end393-_ZN9rocsparseL21csrmvt_general_kernelILj256ELj16Ell21rocsparse_complex_numIfES1_IdES3_S3_EEvbbT2_NS_24const_host_device_scalarIT6_EEPKT1_SA_PKS4_PKT3_PKT4_PT5_21rocsparse_index_base_b
                                        ; -- End function
	.section	.AMDGPU.csdata,"",@progbits
; Kernel info:
; codeLenInByte = 1308
; NumSgprs: 34
; NumVgprs: 34
; NumAgprs: 0
; TotalNumVgprs: 34
; ScratchSize: 0
; MemoryBound: 0
; FloatMode: 240
; IeeeMode: 1
; LDSByteSize: 2048 bytes/workgroup (compile time only)
; SGPRBlocks: 4
; VGPRBlocks: 4
; NumSGPRsForWavesPerEU: 34
; NumVGPRsForWavesPerEU: 34
; AccumOffset: 36
; Occupancy: 8
; WaveLimiterHint : 1
; COMPUTE_PGM_RSRC2:SCRATCH_EN: 0
; COMPUTE_PGM_RSRC2:USER_SGPR: 8
; COMPUTE_PGM_RSRC2:TRAP_HANDLER: 0
; COMPUTE_PGM_RSRC2:TGID_X_EN: 1
; COMPUTE_PGM_RSRC2:TGID_Y_EN: 0
; COMPUTE_PGM_RSRC2:TGID_Z_EN: 0
; COMPUTE_PGM_RSRC2:TIDIG_COMP_CNT: 2
; COMPUTE_PGM_RSRC3_GFX90A:ACCUM_OFFSET: 8
; COMPUTE_PGM_RSRC3_GFX90A:TG_SPLIT: 0
	.section	.text._ZN9rocsparseL21csrmvt_general_kernelILj256ELj32Ell21rocsparse_complex_numIfES1_IdES3_S3_EEvbbT2_NS_24const_host_device_scalarIT6_EEPKT1_SA_PKS4_PKT3_PKT4_PT5_21rocsparse_index_base_b,"axG",@progbits,_ZN9rocsparseL21csrmvt_general_kernelILj256ELj32Ell21rocsparse_complex_numIfES1_IdES3_S3_EEvbbT2_NS_24const_host_device_scalarIT6_EEPKT1_SA_PKS4_PKT3_PKT4_PT5_21rocsparse_index_base_b,comdat
	.globl	_ZN9rocsparseL21csrmvt_general_kernelILj256ELj32Ell21rocsparse_complex_numIfES1_IdES3_S3_EEvbbT2_NS_24const_host_device_scalarIT6_EEPKT1_SA_PKS4_PKT3_PKT4_PT5_21rocsparse_index_base_b ; -- Begin function _ZN9rocsparseL21csrmvt_general_kernelILj256ELj32Ell21rocsparse_complex_numIfES1_IdES3_S3_EEvbbT2_NS_24const_host_device_scalarIT6_EEPKT1_SA_PKS4_PKT3_PKT4_PT5_21rocsparse_index_base_b
	.p2align	8
	.type	_ZN9rocsparseL21csrmvt_general_kernelILj256ELj32Ell21rocsparse_complex_numIfES1_IdES3_S3_EEvbbT2_NS_24const_host_device_scalarIT6_EEPKT1_SA_PKS4_PKT3_PKT4_PT5_21rocsparse_index_base_b,@function
_ZN9rocsparseL21csrmvt_general_kernelILj256ELj32Ell21rocsparse_complex_numIfES1_IdES3_S3_EEvbbT2_NS_24const_host_device_scalarIT6_EEPKT1_SA_PKS4_PKT3_PKT4_PT5_21rocsparse_index_base_b: ; @_ZN9rocsparseL21csrmvt_general_kernelILj256ELj32Ell21rocsparse_complex_numIfES1_IdES3_S3_EEvbbT2_NS_24const_host_device_scalarIT6_EEPKT1_SA_PKS4_PKT3_PKT4_PT5_21rocsparse_index_base_b
; %bb.0:
	s_load_dwordx2 s[2:3], s[6:7], 0x50
	s_load_dwordx2 s[0:1], s[4:5], 0x4
	s_load_dwordx8 s[12:19], s[6:7], 0x8
	v_and_b32_e32 v1, 0x3ff, v0
	v_bfe_u32 v3, v0, 10, 10
	s_waitcnt lgkmcnt(0)
	s_and_b32 s3, 1, s3
	s_lshr_b32 s0, s0, 16
	s_mul_i32 s0, s0, s1
	v_mul_lo_u32 v2, s0, v1
	s_cmp_eq_u32 s3, 1
	v_mad_u32_u24 v2, v3, s1, v2
	v_bfe_u32 v0, v0, 20, 10
	v_add_lshl_u32 v0, v2, v0, 3
	v_pk_mov_b32 v[2:3], s[14:15], s[14:15] op_sel:[0,1]
	s_cselect_b64 vcc, -1, 0
	ds_write_b64 v0, v[2:3]
	s_mov_b64 s[0:1], src_shared_base
	v_cndmask_b32_e32 v2, v2, v0, vcc
	s_and_b64 vcc, vcc, exec
	s_cselect_b32 s0, s1, s15
	v_mov_b32_e32 v3, s0
	flat_load_dwordx2 v[4:5], v[2:3]
	v_pk_mov_b32 v[6:7], s[16:17], s[16:17] op_sel:[0,1]
	s_cbranch_vccnz .LBB394_2
; %bb.1:
	v_pk_mov_b32 v[2:3], s[14:15], s[14:15] op_sel:[0,1]
	flat_load_dwordx2 v[6:7], v[2:3] offset:8
.LBB394_2:
	s_waitcnt vmcnt(0) lgkmcnt(0)
	v_cmp_neq_f64_e32 vcc, 0, v[4:5]
	v_cmp_neq_f64_e64 s[0:1], 0, v[6:7]
	s_or_b64 s[0:1], vcc, s[0:1]
	s_and_saveexec_b64 s[4:5], s[0:1]
	s_cbranch_execz .LBB394_27
; %bb.3:
	s_load_dword s0, s[6:7], 0x0
	s_load_dwordx2 s[4:5], s[6:7], 0x48
	s_load_dword s1, s[6:7], 0x58
	s_load_dwordx8 s[20:27], s[6:7], 0x28
	v_lshl_or_b32 v0, s8, 8, v1
	s_waitcnt lgkmcnt(0)
	s_and_b32 s9, s0, 1
	s_bitcmp1_b32 s0, 8
	s_cselect_b64 s[6:7], -1, 0
	s_lshl_b32 s3, s1, 3
	v_lshrrev_b32_e32 v8, 5, v0
	v_mov_b32_e32 v9, 0
	s_cmp_eq_u32 s9, 0
	v_and_b32_e32 v28, 31, v1
	v_cmp_gt_i64_e64 s[0:1], s[12:13], v[8:9]
	s_mov_b64 s[8:9], -1
	s_cbranch_scc0 .LBB394_15
; %bb.4:
	s_and_saveexec_b64 s[8:9], s[0:1]
	s_cbranch_execz .LBB394_14
; %bb.5:
	v_subrev_co_u32_e32 v29, vcc, s2, v28
	s_mov_b32 s14, 0
	v_subb_co_u32_e64 v30, s[10:11], 0, 0, vcc
	s_mov_b64 s[10:11], 0
	v_mov_b32_e32 v31, s19
	v_mov_b32_e32 v32, s21
	;; [unrolled: 1-line block ×3, first 2 shown]
	v_pk_mov_b32 v[10:11], v[8:9], v[8:9] op_sel:[0,1]
	s_branch .LBB394_7
.LBB394_6:                              ;   in Loop: Header=BB394_7 Depth=1
	s_or_b64 exec, exec, s[14:15]
	v_add_co_u32_e32 v10, vcc, s3, v10
	v_addc_co_u32_e32 v11, vcc, 0, v11, vcc
	v_cmp_le_i64_e32 vcc, s[12:13], v[10:11]
	s_or_b64 s[10:11], vcc, s[10:11]
	s_andn2_b64 exec, exec, s[10:11]
	s_cbranch_execz .LBB394_14
.LBB394_7:                              ; =>This Loop Header: Depth=1
                                        ;     Child Loop BB394_9 Depth 2
                                        ;       Child Loop BB394_10 Depth 3
                                        ;       Child Loop BB394_12 Depth 3
	v_lshlrev_b64 v[0:1], 3, v[10:11]
	v_add_co_u32_e32 v2, vcc, s20, v0
	v_addc_co_u32_e32 v3, vcc, v32, v1, vcc
	global_load_dwordx2 v[2:3], v[2:3], off
	v_add_co_u32_e32 v0, vcc, s18, v0
	v_addc_co_u32_e32 v1, vcc, v31, v1, vcc
	global_load_dwordx2 v[0:1], v[0:1], off
	s_waitcnt vmcnt(1)
	v_subrev_co_u32_e32 v12, vcc, s2, v2
	v_subb_co_u32_e32 v13, vcc, v3, v33, vcc
	s_waitcnt vmcnt(0)
	v_add_co_u32_e32 v14, vcc, v0, v29
	v_addc_co_u32_e32 v15, vcc, v1, v30, vcc
	v_cmp_lt_i64_e32 vcc, v[14:15], v[12:13]
	s_and_saveexec_b64 s[14:15], vcc
	s_cbranch_execz .LBB394_6
; %bb.8:                                ;   in Loop: Header=BB394_7 Depth=1
	v_lshlrev_b64 v[0:1], 4, v[10:11]
	v_mov_b32_e32 v2, s27
	v_add_co_u32_e32 v0, vcc, s26, v0
	v_addc_co_u32_e32 v1, vcc, v2, v1, vcc
	global_load_dwordx4 v[0:3], v[0:1], off
	s_mov_b64 s[16:17], 0
	s_waitcnt vmcnt(0)
	v_mul_f64 v[16:17], v[2:3], -v[6:7]
	v_mul_f64 v[18:19], v[4:5], v[2:3]
	v_fmac_f64_e32 v[16:17], v[4:5], v[0:1]
	v_fmac_f64_e32 v[18:19], v[6:7], v[0:1]
.LBB394_9:                              ;   Parent Loop BB394_7 Depth=1
                                        ; =>  This Loop Header: Depth=2
                                        ;       Child Loop BB394_10 Depth 3
                                        ;       Child Loop BB394_12 Depth 3
	v_lshlrev_b64 v[0:1], 3, v[14:15]
	v_mov_b32_e32 v3, s23
	v_add_co_u32_e32 v2, vcc, s22, v0
	v_addc_co_u32_e32 v3, vcc, v3, v1, vcc
	global_load_dwordx2 v[2:3], v[2:3], off
	v_mov_b32_e32 v20, s25
	v_add_co_u32_e32 v0, vcc, s24, v0
	v_addc_co_u32_e32 v1, vcc, v20, v1, vcc
	global_load_dwordx2 v[0:1], v[0:1], off
	v_mov_b32_e32 v21, s5
	s_mov_b64 s[28:29], 0
	s_waitcnt vmcnt(1)
	v_subrev_co_u32_e32 v2, vcc, s2, v2
	v_subb_co_u32_e32 v3, vcc, v3, v33, vcc
	v_lshlrev_b64 v[2:3], 4, v[2:3]
	v_add_co_u32_e32 v20, vcc, s4, v2
	v_addc_co_u32_e32 v21, vcc, v21, v3, vcc
	global_load_dwordx2 v[2:3], v[20:21], off
	s_waitcnt vmcnt(1)
	v_cndmask_b32_e64 v1, v1, -v1, s[6:7]
	v_cvt_f64_f32_e32 v[24:25], v1
	v_cvt_f64_f32_e32 v[22:23], v0
	v_mul_f64 v[26:27], -v[18:19], v[24:25]
	v_fmac_f64_e32 v[26:27], v[16:17], v[22:23]
.LBB394_10:                             ;   Parent Loop BB394_7 Depth=1
                                        ;     Parent Loop BB394_9 Depth=2
                                        ; =>    This Inner Loop Header: Depth=3
	s_waitcnt vmcnt(0)
	v_add_f64 v[0:1], v[2:3], v[26:27]
	global_atomic_cmpswap_x2 v[0:1], v[20:21], v[0:3], off glc
	s_waitcnt vmcnt(0)
	v_cmp_eq_u64_e32 vcc, v[0:1], v[2:3]
	s_or_b64 s[28:29], vcc, s[28:29]
	v_pk_mov_b32 v[2:3], v[0:1], v[0:1] op_sel:[0,1]
	s_andn2_b64 exec, exec, s[28:29]
	s_cbranch_execnz .LBB394_10
; %bb.11:                               ;   in Loop: Header=BB394_9 Depth=2
	s_or_b64 exec, exec, s[28:29]
	global_load_dwordx2 v[2:3], v[20:21], off offset:8
	v_mul_f64 v[24:25], v[16:17], v[24:25]
	v_fmac_f64_e32 v[24:25], v[18:19], v[22:23]
	s_mov_b64 s[28:29], 0
.LBB394_12:                             ;   Parent Loop BB394_7 Depth=1
                                        ;     Parent Loop BB394_9 Depth=2
                                        ; =>    This Inner Loop Header: Depth=3
	s_waitcnt vmcnt(0)
	v_add_f64 v[0:1], v[2:3], v[24:25]
	global_atomic_cmpswap_x2 v[0:1], v[20:21], v[0:3], off offset:8 glc
	s_waitcnt vmcnt(0)
	v_cmp_eq_u64_e32 vcc, v[0:1], v[2:3]
	s_or_b64 s[28:29], vcc, s[28:29]
	v_pk_mov_b32 v[2:3], v[0:1], v[0:1] op_sel:[0,1]
	s_andn2_b64 exec, exec, s[28:29]
	s_cbranch_execnz .LBB394_12
; %bb.13:                               ;   in Loop: Header=BB394_9 Depth=2
	s_or_b64 exec, exec, s[28:29]
	v_add_co_u32_e32 v14, vcc, 32, v14
	v_addc_co_u32_e32 v15, vcc, 0, v15, vcc
	v_cmp_ge_i64_e32 vcc, v[14:15], v[12:13]
	s_or_b64 s[16:17], vcc, s[16:17]
	s_andn2_b64 exec, exec, s[16:17]
	s_cbranch_execnz .LBB394_9
	s_branch .LBB394_6
.LBB394_14:
	s_or_b64 exec, exec, s[8:9]
	s_mov_b64 s[8:9], 0
.LBB394_15:
	s_andn2_b64 vcc, exec, s[8:9]
	s_cbranch_vccnz .LBB394_27
; %bb.16:
	s_and_b64 exec, exec, s[0:1]
	s_cbranch_execz .LBB394_27
; %bb.17:
	v_subrev_co_u32_e32 v26, vcc, s2, v28
	s_mov_b32 s8, 0
	v_subb_co_u32_e64 v27, s[0:1], 0, 0, vcc
	s_mov_b64 s[0:1], 0
	v_mov_b32_e32 v28, s19
	v_mov_b32_e32 v29, s21
	;; [unrolled: 1-line block ×3, first 2 shown]
	s_branch .LBB394_19
.LBB394_18:                             ;   in Loop: Header=BB394_19 Depth=1
	s_or_b64 exec, exec, s[8:9]
	v_add_co_u32_e32 v8, vcc, s3, v8
	v_addc_co_u32_e32 v9, vcc, 0, v9, vcc
	v_cmp_le_i64_e32 vcc, s[12:13], v[8:9]
	s_or_b64 s[0:1], vcc, s[0:1]
	s_andn2_b64 exec, exec, s[0:1]
	s_cbranch_execz .LBB394_27
.LBB394_19:                             ; =>This Loop Header: Depth=1
                                        ;     Child Loop BB394_22 Depth 2
                                        ;       Child Loop BB394_24 Depth 3
                                        ;       Child Loop BB394_26 Depth 3
	v_lshlrev_b64 v[0:1], 3, v[8:9]
	v_add_co_u32_e32 v2, vcc, s20, v0
	v_addc_co_u32_e32 v3, vcc, v29, v1, vcc
	global_load_dwordx2 v[2:3], v[2:3], off
	v_add_co_u32_e32 v0, vcc, s18, v0
	v_addc_co_u32_e32 v1, vcc, v28, v1, vcc
	global_load_dwordx2 v[0:1], v[0:1], off
	s_waitcnt vmcnt(1)
	v_subrev_co_u32_e32 v10, vcc, s2, v2
	v_subb_co_u32_e32 v11, vcc, v3, v30, vcc
	s_waitcnt vmcnt(0)
	v_add_co_u32_e32 v12, vcc, v0, v26
	v_addc_co_u32_e32 v13, vcc, v1, v27, vcc
	v_cmp_lt_i64_e32 vcc, v[12:13], v[10:11]
	s_and_saveexec_b64 s[8:9], vcc
	s_cbranch_execz .LBB394_18
; %bb.20:                               ;   in Loop: Header=BB394_19 Depth=1
	v_lshlrev_b64 v[0:1], 4, v[8:9]
	v_mov_b32_e32 v2, s27
	v_add_co_u32_e32 v0, vcc, s26, v0
	v_addc_co_u32_e32 v1, vcc, v2, v1, vcc
	global_load_dwordx4 v[0:3], v[0:1], off
	s_mov_b64 s[10:11], 0
	s_waitcnt vmcnt(0)
	v_mul_f64 v[14:15], v[2:3], -v[6:7]
	v_mul_f64 v[16:17], v[4:5], v[2:3]
	v_fmac_f64_e32 v[14:15], v[4:5], v[0:1]
	v_fmac_f64_e32 v[16:17], v[6:7], v[0:1]
	s_branch .LBB394_22
.LBB394_21:                             ;   in Loop: Header=BB394_22 Depth=2
	s_or_b64 exec, exec, s[14:15]
	v_add_co_u32_e32 v12, vcc, 32, v12
	v_addc_co_u32_e32 v13, vcc, 0, v13, vcc
	v_cmp_ge_i64_e32 vcc, v[12:13], v[10:11]
	s_or_b64 s[10:11], vcc, s[10:11]
	s_andn2_b64 exec, exec, s[10:11]
	s_cbranch_execz .LBB394_18
.LBB394_22:                             ;   Parent Loop BB394_19 Depth=1
                                        ; =>  This Loop Header: Depth=2
                                        ;       Child Loop BB394_24 Depth 3
                                        ;       Child Loop BB394_26 Depth 3
	v_lshlrev_b64 v[0:1], 3, v[12:13]
	v_mov_b32_e32 v3, s23
	v_add_co_u32_e32 v2, vcc, s22, v0
	v_addc_co_u32_e32 v3, vcc, v3, v1, vcc
	global_load_dwordx2 v[2:3], v[2:3], off
	s_waitcnt vmcnt(0)
	v_subrev_co_u32_e32 v2, vcc, s2, v2
	v_subb_co_u32_e32 v3, vcc, v3, v30, vcc
	v_cmp_ne_u64_e32 vcc, v[2:3], v[8:9]
	s_and_saveexec_b64 s[14:15], vcc
	s_cbranch_execz .LBB394_21
; %bb.23:                               ;   in Loop: Header=BB394_22 Depth=2
	v_mov_b32_e32 v18, s25
	v_add_co_u32_e32 v0, vcc, s24, v0
	v_addc_co_u32_e32 v1, vcc, v18, v1, vcc
	global_load_dwordx2 v[0:1], v[0:1], off
	v_lshlrev_b64 v[2:3], 4, v[2:3]
	v_mov_b32_e32 v19, s5
	v_add_co_u32_e32 v18, vcc, s4, v2
	v_addc_co_u32_e32 v19, vcc, v19, v3, vcc
	global_load_dwordx2 v[2:3], v[18:19], off
	s_mov_b64 s[16:17], 0
	s_waitcnt vmcnt(1)
	v_cndmask_b32_e64 v1, v1, -v1, s[6:7]
	v_cvt_f64_f32_e32 v[22:23], v1
	v_cvt_f64_f32_e32 v[20:21], v0
	v_mul_f64 v[24:25], -v[16:17], v[22:23]
	v_fmac_f64_e32 v[24:25], v[14:15], v[20:21]
.LBB394_24:                             ;   Parent Loop BB394_19 Depth=1
                                        ;     Parent Loop BB394_22 Depth=2
                                        ; =>    This Inner Loop Header: Depth=3
	s_waitcnt vmcnt(0)
	v_add_f64 v[0:1], v[2:3], v[24:25]
	global_atomic_cmpswap_x2 v[0:1], v[18:19], v[0:3], off glc
	s_waitcnt vmcnt(0)
	v_cmp_eq_u64_e32 vcc, v[0:1], v[2:3]
	s_or_b64 s[16:17], vcc, s[16:17]
	v_pk_mov_b32 v[2:3], v[0:1], v[0:1] op_sel:[0,1]
	s_andn2_b64 exec, exec, s[16:17]
	s_cbranch_execnz .LBB394_24
; %bb.25:                               ;   in Loop: Header=BB394_22 Depth=2
	s_or_b64 exec, exec, s[16:17]
	global_load_dwordx2 v[2:3], v[18:19], off offset:8
	v_mul_f64 v[22:23], v[14:15], v[22:23]
	v_fmac_f64_e32 v[22:23], v[16:17], v[20:21]
	s_mov_b64 s[16:17], 0
.LBB394_26:                             ;   Parent Loop BB394_19 Depth=1
                                        ;     Parent Loop BB394_22 Depth=2
                                        ; =>    This Inner Loop Header: Depth=3
	s_waitcnt vmcnt(0)
	v_add_f64 v[0:1], v[2:3], v[22:23]
	global_atomic_cmpswap_x2 v[0:1], v[18:19], v[0:3], off offset:8 glc
	s_waitcnt vmcnt(0)
	v_cmp_eq_u64_e32 vcc, v[0:1], v[2:3]
	s_or_b64 s[16:17], vcc, s[16:17]
	v_pk_mov_b32 v[2:3], v[0:1], v[0:1] op_sel:[0,1]
	s_andn2_b64 exec, exec, s[16:17]
	s_cbranch_execnz .LBB394_26
	s_branch .LBB394_21
.LBB394_27:
	s_endpgm
	.section	.rodata,"a",@progbits
	.p2align	6, 0x0
	.amdhsa_kernel _ZN9rocsparseL21csrmvt_general_kernelILj256ELj32Ell21rocsparse_complex_numIfES1_IdES3_S3_EEvbbT2_NS_24const_host_device_scalarIT6_EEPKT1_SA_PKS4_PKT3_PKT4_PT5_21rocsparse_index_base_b
		.amdhsa_group_segment_fixed_size 2048
		.amdhsa_private_segment_fixed_size 0
		.amdhsa_kernarg_size 344
		.amdhsa_user_sgpr_count 8
		.amdhsa_user_sgpr_private_segment_buffer 1
		.amdhsa_user_sgpr_dispatch_ptr 1
		.amdhsa_user_sgpr_queue_ptr 0
		.amdhsa_user_sgpr_kernarg_segment_ptr 1
		.amdhsa_user_sgpr_dispatch_id 0
		.amdhsa_user_sgpr_flat_scratch_init 0
		.amdhsa_user_sgpr_kernarg_preload_length 0
		.amdhsa_user_sgpr_kernarg_preload_offset 0
		.amdhsa_user_sgpr_private_segment_size 0
		.amdhsa_uses_dynamic_stack 0
		.amdhsa_system_sgpr_private_segment_wavefront_offset 0
		.amdhsa_system_sgpr_workgroup_id_x 1
		.amdhsa_system_sgpr_workgroup_id_y 0
		.amdhsa_system_sgpr_workgroup_id_z 0
		.amdhsa_system_sgpr_workgroup_info 0
		.amdhsa_system_vgpr_workitem_id 2
		.amdhsa_next_free_vgpr 34
		.amdhsa_next_free_sgpr 30
		.amdhsa_accum_offset 36
		.amdhsa_reserve_vcc 1
		.amdhsa_reserve_flat_scratch 0
		.amdhsa_float_round_mode_32 0
		.amdhsa_float_round_mode_16_64 0
		.amdhsa_float_denorm_mode_32 3
		.amdhsa_float_denorm_mode_16_64 3
		.amdhsa_dx10_clamp 1
		.amdhsa_ieee_mode 1
		.amdhsa_fp16_overflow 0
		.amdhsa_tg_split 0
		.amdhsa_exception_fp_ieee_invalid_op 0
		.amdhsa_exception_fp_denorm_src 0
		.amdhsa_exception_fp_ieee_div_zero 0
		.amdhsa_exception_fp_ieee_overflow 0
		.amdhsa_exception_fp_ieee_underflow 0
		.amdhsa_exception_fp_ieee_inexact 0
		.amdhsa_exception_int_div_zero 0
	.end_amdhsa_kernel
	.section	.text._ZN9rocsparseL21csrmvt_general_kernelILj256ELj32Ell21rocsparse_complex_numIfES1_IdES3_S3_EEvbbT2_NS_24const_host_device_scalarIT6_EEPKT1_SA_PKS4_PKT3_PKT4_PT5_21rocsparse_index_base_b,"axG",@progbits,_ZN9rocsparseL21csrmvt_general_kernelILj256ELj32Ell21rocsparse_complex_numIfES1_IdES3_S3_EEvbbT2_NS_24const_host_device_scalarIT6_EEPKT1_SA_PKS4_PKT3_PKT4_PT5_21rocsparse_index_base_b,comdat
.Lfunc_end394:
	.size	_ZN9rocsparseL21csrmvt_general_kernelILj256ELj32Ell21rocsparse_complex_numIfES1_IdES3_S3_EEvbbT2_NS_24const_host_device_scalarIT6_EEPKT1_SA_PKS4_PKT3_PKT4_PT5_21rocsparse_index_base_b, .Lfunc_end394-_ZN9rocsparseL21csrmvt_general_kernelILj256ELj32Ell21rocsparse_complex_numIfES1_IdES3_S3_EEvbbT2_NS_24const_host_device_scalarIT6_EEPKT1_SA_PKS4_PKT3_PKT4_PT5_21rocsparse_index_base_b
                                        ; -- End function
	.section	.AMDGPU.csdata,"",@progbits
; Kernel info:
; codeLenInByte = 1308
; NumSgprs: 34
; NumVgprs: 34
; NumAgprs: 0
; TotalNumVgprs: 34
; ScratchSize: 0
; MemoryBound: 0
; FloatMode: 240
; IeeeMode: 1
; LDSByteSize: 2048 bytes/workgroup (compile time only)
; SGPRBlocks: 4
; VGPRBlocks: 4
; NumSGPRsForWavesPerEU: 34
; NumVGPRsForWavesPerEU: 34
; AccumOffset: 36
; Occupancy: 8
; WaveLimiterHint : 1
; COMPUTE_PGM_RSRC2:SCRATCH_EN: 0
; COMPUTE_PGM_RSRC2:USER_SGPR: 8
; COMPUTE_PGM_RSRC2:TRAP_HANDLER: 0
; COMPUTE_PGM_RSRC2:TGID_X_EN: 1
; COMPUTE_PGM_RSRC2:TGID_Y_EN: 0
; COMPUTE_PGM_RSRC2:TGID_Z_EN: 0
; COMPUTE_PGM_RSRC2:TIDIG_COMP_CNT: 2
; COMPUTE_PGM_RSRC3_GFX90A:ACCUM_OFFSET: 8
; COMPUTE_PGM_RSRC3_GFX90A:TG_SPLIT: 0
	.section	.text._ZN9rocsparseL21csrmvt_general_kernelILj256ELj64Ell21rocsparse_complex_numIfES1_IdES3_S3_EEvbbT2_NS_24const_host_device_scalarIT6_EEPKT1_SA_PKS4_PKT3_PKT4_PT5_21rocsparse_index_base_b,"axG",@progbits,_ZN9rocsparseL21csrmvt_general_kernelILj256ELj64Ell21rocsparse_complex_numIfES1_IdES3_S3_EEvbbT2_NS_24const_host_device_scalarIT6_EEPKT1_SA_PKS4_PKT3_PKT4_PT5_21rocsparse_index_base_b,comdat
	.globl	_ZN9rocsparseL21csrmvt_general_kernelILj256ELj64Ell21rocsparse_complex_numIfES1_IdES3_S3_EEvbbT2_NS_24const_host_device_scalarIT6_EEPKT1_SA_PKS4_PKT3_PKT4_PT5_21rocsparse_index_base_b ; -- Begin function _ZN9rocsparseL21csrmvt_general_kernelILj256ELj64Ell21rocsparse_complex_numIfES1_IdES3_S3_EEvbbT2_NS_24const_host_device_scalarIT6_EEPKT1_SA_PKS4_PKT3_PKT4_PT5_21rocsparse_index_base_b
	.p2align	8
	.type	_ZN9rocsparseL21csrmvt_general_kernelILj256ELj64Ell21rocsparse_complex_numIfES1_IdES3_S3_EEvbbT2_NS_24const_host_device_scalarIT6_EEPKT1_SA_PKS4_PKT3_PKT4_PT5_21rocsparse_index_base_b,@function
_ZN9rocsparseL21csrmvt_general_kernelILj256ELj64Ell21rocsparse_complex_numIfES1_IdES3_S3_EEvbbT2_NS_24const_host_device_scalarIT6_EEPKT1_SA_PKS4_PKT3_PKT4_PT5_21rocsparse_index_base_b: ; @_ZN9rocsparseL21csrmvt_general_kernelILj256ELj64Ell21rocsparse_complex_numIfES1_IdES3_S3_EEvbbT2_NS_24const_host_device_scalarIT6_EEPKT1_SA_PKS4_PKT3_PKT4_PT5_21rocsparse_index_base_b
; %bb.0:
	s_load_dwordx2 s[2:3], s[6:7], 0x50
	s_load_dwordx2 s[0:1], s[4:5], 0x4
	s_load_dwordx8 s[12:19], s[6:7], 0x8
	v_and_b32_e32 v1, 0x3ff, v0
	v_bfe_u32 v3, v0, 10, 10
	s_waitcnt lgkmcnt(0)
	s_and_b32 s3, 1, s3
	s_lshr_b32 s0, s0, 16
	s_mul_i32 s0, s0, s1
	v_mul_lo_u32 v2, s0, v1
	s_cmp_eq_u32 s3, 1
	v_mad_u32_u24 v2, v3, s1, v2
	v_bfe_u32 v0, v0, 20, 10
	v_add_lshl_u32 v0, v2, v0, 3
	v_pk_mov_b32 v[2:3], s[14:15], s[14:15] op_sel:[0,1]
	s_cselect_b64 vcc, -1, 0
	ds_write_b64 v0, v[2:3]
	s_mov_b64 s[0:1], src_shared_base
	v_cndmask_b32_e32 v2, v2, v0, vcc
	s_and_b64 vcc, vcc, exec
	s_cselect_b32 s0, s1, s15
	v_mov_b32_e32 v3, s0
	flat_load_dwordx2 v[4:5], v[2:3]
	v_pk_mov_b32 v[6:7], s[16:17], s[16:17] op_sel:[0,1]
	s_cbranch_vccnz .LBB395_2
; %bb.1:
	v_pk_mov_b32 v[2:3], s[14:15], s[14:15] op_sel:[0,1]
	flat_load_dwordx2 v[6:7], v[2:3] offset:8
.LBB395_2:
	s_waitcnt vmcnt(0) lgkmcnt(0)
	v_cmp_neq_f64_e32 vcc, 0, v[4:5]
	v_cmp_neq_f64_e64 s[0:1], 0, v[6:7]
	s_or_b64 s[0:1], vcc, s[0:1]
	s_and_saveexec_b64 s[4:5], s[0:1]
	s_cbranch_execz .LBB395_27
; %bb.3:
	s_load_dword s0, s[6:7], 0x0
	s_load_dwordx2 s[4:5], s[6:7], 0x48
	s_load_dword s1, s[6:7], 0x58
	s_load_dwordx8 s[20:27], s[6:7], 0x28
	v_lshl_or_b32 v0, s8, 8, v1
	s_waitcnt lgkmcnt(0)
	s_and_b32 s9, s0, 1
	s_bitcmp1_b32 s0, 8
	s_cselect_b64 s[6:7], -1, 0
	s_lshl_b32 s3, s1, 2
	v_lshrrev_b32_e32 v8, 6, v0
	v_mov_b32_e32 v9, 0
	s_cmp_eq_u32 s9, 0
	v_and_b32_e32 v28, 63, v1
	v_cmp_gt_i64_e64 s[0:1], s[12:13], v[8:9]
	s_mov_b64 s[8:9], -1
	s_cbranch_scc0 .LBB395_15
; %bb.4:
	s_and_saveexec_b64 s[8:9], s[0:1]
	s_cbranch_execz .LBB395_14
; %bb.5:
	v_subrev_co_u32_e32 v29, vcc, s2, v28
	s_mov_b32 s14, 0
	v_subb_co_u32_e64 v30, s[10:11], 0, 0, vcc
	s_mov_b64 s[10:11], 0
	v_mov_b32_e32 v31, s19
	v_mov_b32_e32 v32, s21
	;; [unrolled: 1-line block ×3, first 2 shown]
	v_pk_mov_b32 v[10:11], v[8:9], v[8:9] op_sel:[0,1]
	s_branch .LBB395_7
.LBB395_6:                              ;   in Loop: Header=BB395_7 Depth=1
	s_or_b64 exec, exec, s[14:15]
	v_add_co_u32_e32 v10, vcc, s3, v10
	v_addc_co_u32_e32 v11, vcc, 0, v11, vcc
	v_cmp_le_i64_e32 vcc, s[12:13], v[10:11]
	s_or_b64 s[10:11], vcc, s[10:11]
	s_andn2_b64 exec, exec, s[10:11]
	s_cbranch_execz .LBB395_14
.LBB395_7:                              ; =>This Loop Header: Depth=1
                                        ;     Child Loop BB395_9 Depth 2
                                        ;       Child Loop BB395_10 Depth 3
                                        ;       Child Loop BB395_12 Depth 3
	v_lshlrev_b64 v[0:1], 3, v[10:11]
	v_add_co_u32_e32 v2, vcc, s20, v0
	v_addc_co_u32_e32 v3, vcc, v32, v1, vcc
	global_load_dwordx2 v[2:3], v[2:3], off
	v_add_co_u32_e32 v0, vcc, s18, v0
	v_addc_co_u32_e32 v1, vcc, v31, v1, vcc
	global_load_dwordx2 v[0:1], v[0:1], off
	s_waitcnt vmcnt(1)
	v_subrev_co_u32_e32 v12, vcc, s2, v2
	v_subb_co_u32_e32 v13, vcc, v3, v33, vcc
	s_waitcnt vmcnt(0)
	v_add_co_u32_e32 v14, vcc, v0, v29
	v_addc_co_u32_e32 v15, vcc, v1, v30, vcc
	v_cmp_lt_i64_e32 vcc, v[14:15], v[12:13]
	s_and_saveexec_b64 s[14:15], vcc
	s_cbranch_execz .LBB395_6
; %bb.8:                                ;   in Loop: Header=BB395_7 Depth=1
	v_lshlrev_b64 v[0:1], 4, v[10:11]
	v_mov_b32_e32 v2, s27
	v_add_co_u32_e32 v0, vcc, s26, v0
	v_addc_co_u32_e32 v1, vcc, v2, v1, vcc
	global_load_dwordx4 v[0:3], v[0:1], off
	s_mov_b64 s[16:17], 0
	s_waitcnt vmcnt(0)
	v_mul_f64 v[16:17], v[2:3], -v[6:7]
	v_mul_f64 v[18:19], v[4:5], v[2:3]
	v_fmac_f64_e32 v[16:17], v[4:5], v[0:1]
	v_fmac_f64_e32 v[18:19], v[6:7], v[0:1]
.LBB395_9:                              ;   Parent Loop BB395_7 Depth=1
                                        ; =>  This Loop Header: Depth=2
                                        ;       Child Loop BB395_10 Depth 3
                                        ;       Child Loop BB395_12 Depth 3
	v_lshlrev_b64 v[0:1], 3, v[14:15]
	v_mov_b32_e32 v3, s23
	v_add_co_u32_e32 v2, vcc, s22, v0
	v_addc_co_u32_e32 v3, vcc, v3, v1, vcc
	global_load_dwordx2 v[2:3], v[2:3], off
	v_mov_b32_e32 v20, s25
	v_add_co_u32_e32 v0, vcc, s24, v0
	v_addc_co_u32_e32 v1, vcc, v20, v1, vcc
	global_load_dwordx2 v[0:1], v[0:1], off
	v_mov_b32_e32 v21, s5
	s_mov_b64 s[28:29], 0
	s_waitcnt vmcnt(1)
	v_subrev_co_u32_e32 v2, vcc, s2, v2
	v_subb_co_u32_e32 v3, vcc, v3, v33, vcc
	v_lshlrev_b64 v[2:3], 4, v[2:3]
	v_add_co_u32_e32 v20, vcc, s4, v2
	v_addc_co_u32_e32 v21, vcc, v21, v3, vcc
	global_load_dwordx2 v[2:3], v[20:21], off
	s_waitcnt vmcnt(1)
	v_cndmask_b32_e64 v1, v1, -v1, s[6:7]
	v_cvt_f64_f32_e32 v[24:25], v1
	v_cvt_f64_f32_e32 v[22:23], v0
	v_mul_f64 v[26:27], -v[18:19], v[24:25]
	v_fmac_f64_e32 v[26:27], v[16:17], v[22:23]
.LBB395_10:                             ;   Parent Loop BB395_7 Depth=1
                                        ;     Parent Loop BB395_9 Depth=2
                                        ; =>    This Inner Loop Header: Depth=3
	s_waitcnt vmcnt(0)
	v_add_f64 v[0:1], v[2:3], v[26:27]
	global_atomic_cmpswap_x2 v[0:1], v[20:21], v[0:3], off glc
	s_waitcnt vmcnt(0)
	v_cmp_eq_u64_e32 vcc, v[0:1], v[2:3]
	s_or_b64 s[28:29], vcc, s[28:29]
	v_pk_mov_b32 v[2:3], v[0:1], v[0:1] op_sel:[0,1]
	s_andn2_b64 exec, exec, s[28:29]
	s_cbranch_execnz .LBB395_10
; %bb.11:                               ;   in Loop: Header=BB395_9 Depth=2
	s_or_b64 exec, exec, s[28:29]
	global_load_dwordx2 v[2:3], v[20:21], off offset:8
	v_mul_f64 v[24:25], v[16:17], v[24:25]
	v_fmac_f64_e32 v[24:25], v[18:19], v[22:23]
	s_mov_b64 s[28:29], 0
.LBB395_12:                             ;   Parent Loop BB395_7 Depth=1
                                        ;     Parent Loop BB395_9 Depth=2
                                        ; =>    This Inner Loop Header: Depth=3
	s_waitcnt vmcnt(0)
	v_add_f64 v[0:1], v[2:3], v[24:25]
	global_atomic_cmpswap_x2 v[0:1], v[20:21], v[0:3], off offset:8 glc
	s_waitcnt vmcnt(0)
	v_cmp_eq_u64_e32 vcc, v[0:1], v[2:3]
	s_or_b64 s[28:29], vcc, s[28:29]
	v_pk_mov_b32 v[2:3], v[0:1], v[0:1] op_sel:[0,1]
	s_andn2_b64 exec, exec, s[28:29]
	s_cbranch_execnz .LBB395_12
; %bb.13:                               ;   in Loop: Header=BB395_9 Depth=2
	s_or_b64 exec, exec, s[28:29]
	v_add_co_u32_e32 v14, vcc, 64, v14
	v_addc_co_u32_e32 v15, vcc, 0, v15, vcc
	v_cmp_ge_i64_e32 vcc, v[14:15], v[12:13]
	s_or_b64 s[16:17], vcc, s[16:17]
	s_andn2_b64 exec, exec, s[16:17]
	s_cbranch_execnz .LBB395_9
	s_branch .LBB395_6
.LBB395_14:
	s_or_b64 exec, exec, s[8:9]
	s_mov_b64 s[8:9], 0
.LBB395_15:
	s_andn2_b64 vcc, exec, s[8:9]
	s_cbranch_vccnz .LBB395_27
; %bb.16:
	s_and_b64 exec, exec, s[0:1]
	s_cbranch_execz .LBB395_27
; %bb.17:
	v_subrev_co_u32_e32 v26, vcc, s2, v28
	s_mov_b32 s8, 0
	v_subb_co_u32_e64 v27, s[0:1], 0, 0, vcc
	s_mov_b64 s[0:1], 0
	v_mov_b32_e32 v28, s19
	v_mov_b32_e32 v29, s21
	;; [unrolled: 1-line block ×3, first 2 shown]
	s_branch .LBB395_19
.LBB395_18:                             ;   in Loop: Header=BB395_19 Depth=1
	s_or_b64 exec, exec, s[8:9]
	v_add_co_u32_e32 v8, vcc, s3, v8
	v_addc_co_u32_e32 v9, vcc, 0, v9, vcc
	v_cmp_le_i64_e32 vcc, s[12:13], v[8:9]
	s_or_b64 s[0:1], vcc, s[0:1]
	s_andn2_b64 exec, exec, s[0:1]
	s_cbranch_execz .LBB395_27
.LBB395_19:                             ; =>This Loop Header: Depth=1
                                        ;     Child Loop BB395_22 Depth 2
                                        ;       Child Loop BB395_24 Depth 3
                                        ;       Child Loop BB395_26 Depth 3
	v_lshlrev_b64 v[0:1], 3, v[8:9]
	v_add_co_u32_e32 v2, vcc, s20, v0
	v_addc_co_u32_e32 v3, vcc, v29, v1, vcc
	global_load_dwordx2 v[2:3], v[2:3], off
	v_add_co_u32_e32 v0, vcc, s18, v0
	v_addc_co_u32_e32 v1, vcc, v28, v1, vcc
	global_load_dwordx2 v[0:1], v[0:1], off
	s_waitcnt vmcnt(1)
	v_subrev_co_u32_e32 v10, vcc, s2, v2
	v_subb_co_u32_e32 v11, vcc, v3, v30, vcc
	s_waitcnt vmcnt(0)
	v_add_co_u32_e32 v12, vcc, v0, v26
	v_addc_co_u32_e32 v13, vcc, v1, v27, vcc
	v_cmp_lt_i64_e32 vcc, v[12:13], v[10:11]
	s_and_saveexec_b64 s[8:9], vcc
	s_cbranch_execz .LBB395_18
; %bb.20:                               ;   in Loop: Header=BB395_19 Depth=1
	v_lshlrev_b64 v[0:1], 4, v[8:9]
	v_mov_b32_e32 v2, s27
	v_add_co_u32_e32 v0, vcc, s26, v0
	v_addc_co_u32_e32 v1, vcc, v2, v1, vcc
	global_load_dwordx4 v[0:3], v[0:1], off
	s_mov_b64 s[10:11], 0
	s_waitcnt vmcnt(0)
	v_mul_f64 v[14:15], v[2:3], -v[6:7]
	v_mul_f64 v[16:17], v[4:5], v[2:3]
	v_fmac_f64_e32 v[14:15], v[4:5], v[0:1]
	v_fmac_f64_e32 v[16:17], v[6:7], v[0:1]
	s_branch .LBB395_22
.LBB395_21:                             ;   in Loop: Header=BB395_22 Depth=2
	s_or_b64 exec, exec, s[14:15]
	v_add_co_u32_e32 v12, vcc, 64, v12
	v_addc_co_u32_e32 v13, vcc, 0, v13, vcc
	v_cmp_ge_i64_e32 vcc, v[12:13], v[10:11]
	s_or_b64 s[10:11], vcc, s[10:11]
	s_andn2_b64 exec, exec, s[10:11]
	s_cbranch_execz .LBB395_18
.LBB395_22:                             ;   Parent Loop BB395_19 Depth=1
                                        ; =>  This Loop Header: Depth=2
                                        ;       Child Loop BB395_24 Depth 3
                                        ;       Child Loop BB395_26 Depth 3
	v_lshlrev_b64 v[0:1], 3, v[12:13]
	v_mov_b32_e32 v3, s23
	v_add_co_u32_e32 v2, vcc, s22, v0
	v_addc_co_u32_e32 v3, vcc, v3, v1, vcc
	global_load_dwordx2 v[2:3], v[2:3], off
	s_waitcnt vmcnt(0)
	v_subrev_co_u32_e32 v2, vcc, s2, v2
	v_subb_co_u32_e32 v3, vcc, v3, v30, vcc
	v_cmp_ne_u64_e32 vcc, v[2:3], v[8:9]
	s_and_saveexec_b64 s[14:15], vcc
	s_cbranch_execz .LBB395_21
; %bb.23:                               ;   in Loop: Header=BB395_22 Depth=2
	v_mov_b32_e32 v18, s25
	v_add_co_u32_e32 v0, vcc, s24, v0
	v_addc_co_u32_e32 v1, vcc, v18, v1, vcc
	global_load_dwordx2 v[0:1], v[0:1], off
	v_lshlrev_b64 v[2:3], 4, v[2:3]
	v_mov_b32_e32 v19, s5
	v_add_co_u32_e32 v18, vcc, s4, v2
	v_addc_co_u32_e32 v19, vcc, v19, v3, vcc
	global_load_dwordx2 v[2:3], v[18:19], off
	s_mov_b64 s[16:17], 0
	s_waitcnt vmcnt(1)
	v_cndmask_b32_e64 v1, v1, -v1, s[6:7]
	v_cvt_f64_f32_e32 v[22:23], v1
	v_cvt_f64_f32_e32 v[20:21], v0
	v_mul_f64 v[24:25], -v[16:17], v[22:23]
	v_fmac_f64_e32 v[24:25], v[14:15], v[20:21]
.LBB395_24:                             ;   Parent Loop BB395_19 Depth=1
                                        ;     Parent Loop BB395_22 Depth=2
                                        ; =>    This Inner Loop Header: Depth=3
	s_waitcnt vmcnt(0)
	v_add_f64 v[0:1], v[2:3], v[24:25]
	global_atomic_cmpswap_x2 v[0:1], v[18:19], v[0:3], off glc
	s_waitcnt vmcnt(0)
	v_cmp_eq_u64_e32 vcc, v[0:1], v[2:3]
	s_or_b64 s[16:17], vcc, s[16:17]
	v_pk_mov_b32 v[2:3], v[0:1], v[0:1] op_sel:[0,1]
	s_andn2_b64 exec, exec, s[16:17]
	s_cbranch_execnz .LBB395_24
; %bb.25:                               ;   in Loop: Header=BB395_22 Depth=2
	s_or_b64 exec, exec, s[16:17]
	global_load_dwordx2 v[2:3], v[18:19], off offset:8
	v_mul_f64 v[22:23], v[14:15], v[22:23]
	v_fmac_f64_e32 v[22:23], v[16:17], v[20:21]
	s_mov_b64 s[16:17], 0
.LBB395_26:                             ;   Parent Loop BB395_19 Depth=1
                                        ;     Parent Loop BB395_22 Depth=2
                                        ; =>    This Inner Loop Header: Depth=3
	s_waitcnt vmcnt(0)
	v_add_f64 v[0:1], v[2:3], v[22:23]
	global_atomic_cmpswap_x2 v[0:1], v[18:19], v[0:3], off offset:8 glc
	s_waitcnt vmcnt(0)
	v_cmp_eq_u64_e32 vcc, v[0:1], v[2:3]
	s_or_b64 s[16:17], vcc, s[16:17]
	v_pk_mov_b32 v[2:3], v[0:1], v[0:1] op_sel:[0,1]
	s_andn2_b64 exec, exec, s[16:17]
	s_cbranch_execnz .LBB395_26
	s_branch .LBB395_21
.LBB395_27:
	s_endpgm
	.section	.rodata,"a",@progbits
	.p2align	6, 0x0
	.amdhsa_kernel _ZN9rocsparseL21csrmvt_general_kernelILj256ELj64Ell21rocsparse_complex_numIfES1_IdES3_S3_EEvbbT2_NS_24const_host_device_scalarIT6_EEPKT1_SA_PKS4_PKT3_PKT4_PT5_21rocsparse_index_base_b
		.amdhsa_group_segment_fixed_size 2048
		.amdhsa_private_segment_fixed_size 0
		.amdhsa_kernarg_size 344
		.amdhsa_user_sgpr_count 8
		.amdhsa_user_sgpr_private_segment_buffer 1
		.amdhsa_user_sgpr_dispatch_ptr 1
		.amdhsa_user_sgpr_queue_ptr 0
		.amdhsa_user_sgpr_kernarg_segment_ptr 1
		.amdhsa_user_sgpr_dispatch_id 0
		.amdhsa_user_sgpr_flat_scratch_init 0
		.amdhsa_user_sgpr_kernarg_preload_length 0
		.amdhsa_user_sgpr_kernarg_preload_offset 0
		.amdhsa_user_sgpr_private_segment_size 0
		.amdhsa_uses_dynamic_stack 0
		.amdhsa_system_sgpr_private_segment_wavefront_offset 0
		.amdhsa_system_sgpr_workgroup_id_x 1
		.amdhsa_system_sgpr_workgroup_id_y 0
		.amdhsa_system_sgpr_workgroup_id_z 0
		.amdhsa_system_sgpr_workgroup_info 0
		.amdhsa_system_vgpr_workitem_id 2
		.amdhsa_next_free_vgpr 34
		.amdhsa_next_free_sgpr 30
		.amdhsa_accum_offset 36
		.amdhsa_reserve_vcc 1
		.amdhsa_reserve_flat_scratch 0
		.amdhsa_float_round_mode_32 0
		.amdhsa_float_round_mode_16_64 0
		.amdhsa_float_denorm_mode_32 3
		.amdhsa_float_denorm_mode_16_64 3
		.amdhsa_dx10_clamp 1
		.amdhsa_ieee_mode 1
		.amdhsa_fp16_overflow 0
		.amdhsa_tg_split 0
		.amdhsa_exception_fp_ieee_invalid_op 0
		.amdhsa_exception_fp_denorm_src 0
		.amdhsa_exception_fp_ieee_div_zero 0
		.amdhsa_exception_fp_ieee_overflow 0
		.amdhsa_exception_fp_ieee_underflow 0
		.amdhsa_exception_fp_ieee_inexact 0
		.amdhsa_exception_int_div_zero 0
	.end_amdhsa_kernel
	.section	.text._ZN9rocsparseL21csrmvt_general_kernelILj256ELj64Ell21rocsparse_complex_numIfES1_IdES3_S3_EEvbbT2_NS_24const_host_device_scalarIT6_EEPKT1_SA_PKS4_PKT3_PKT4_PT5_21rocsparse_index_base_b,"axG",@progbits,_ZN9rocsparseL21csrmvt_general_kernelILj256ELj64Ell21rocsparse_complex_numIfES1_IdES3_S3_EEvbbT2_NS_24const_host_device_scalarIT6_EEPKT1_SA_PKS4_PKT3_PKT4_PT5_21rocsparse_index_base_b,comdat
.Lfunc_end395:
	.size	_ZN9rocsparseL21csrmvt_general_kernelILj256ELj64Ell21rocsparse_complex_numIfES1_IdES3_S3_EEvbbT2_NS_24const_host_device_scalarIT6_EEPKT1_SA_PKS4_PKT3_PKT4_PT5_21rocsparse_index_base_b, .Lfunc_end395-_ZN9rocsparseL21csrmvt_general_kernelILj256ELj64Ell21rocsparse_complex_numIfES1_IdES3_S3_EEvbbT2_NS_24const_host_device_scalarIT6_EEPKT1_SA_PKS4_PKT3_PKT4_PT5_21rocsparse_index_base_b
                                        ; -- End function
	.section	.AMDGPU.csdata,"",@progbits
; Kernel info:
; codeLenInByte = 1308
; NumSgprs: 34
; NumVgprs: 34
; NumAgprs: 0
; TotalNumVgprs: 34
; ScratchSize: 0
; MemoryBound: 0
; FloatMode: 240
; IeeeMode: 1
; LDSByteSize: 2048 bytes/workgroup (compile time only)
; SGPRBlocks: 4
; VGPRBlocks: 4
; NumSGPRsForWavesPerEU: 34
; NumVGPRsForWavesPerEU: 34
; AccumOffset: 36
; Occupancy: 8
; WaveLimiterHint : 1
; COMPUTE_PGM_RSRC2:SCRATCH_EN: 0
; COMPUTE_PGM_RSRC2:USER_SGPR: 8
; COMPUTE_PGM_RSRC2:TRAP_HANDLER: 0
; COMPUTE_PGM_RSRC2:TGID_X_EN: 1
; COMPUTE_PGM_RSRC2:TGID_Y_EN: 0
; COMPUTE_PGM_RSRC2:TGID_Z_EN: 0
; COMPUTE_PGM_RSRC2:TIDIG_COMP_CNT: 2
; COMPUTE_PGM_RSRC3_GFX90A:ACCUM_OFFSET: 8
; COMPUTE_PGM_RSRC3_GFX90A:TG_SPLIT: 0
	.text
	.p2alignl 6, 3212836864
	.fill 256, 4, 3212836864
	.type	__hip_cuid_7c510dbf2317b9a7,@object ; @__hip_cuid_7c510dbf2317b9a7
	.section	.bss,"aw",@nobits
	.globl	__hip_cuid_7c510dbf2317b9a7
__hip_cuid_7c510dbf2317b9a7:
	.byte	0                               ; 0x0
	.size	__hip_cuid_7c510dbf2317b9a7, 1

	.ident	"AMD clang version 19.0.0git (https://github.com/RadeonOpenCompute/llvm-project roc-6.4.0 25133 c7fe45cf4b819c5991fe208aaa96edf142730f1d)"
	.section	".note.GNU-stack","",@progbits
	.addrsig
	.addrsig_sym __hip_cuid_7c510dbf2317b9a7
	.amdgpu_metadata
---
amdhsa.kernels:
  - .agpr_count:     0
    .args:
      - .offset:         0
        .size:           1
        .value_kind:     by_value
      - .offset:         4
        .size:           4
        .value_kind:     by_value
      - .offset:         8
        .size:           8
        .value_kind:     by_value
      - .address_space:  global
        .offset:         16
        .size:           8
        .value_kind:     global_buffer
      - .address_space:  global
        .offset:         24
        .size:           8
        .value_kind:     global_buffer
      - .actual_access:  read_only
        .address_space:  global
        .offset:         32
        .size:           8
        .value_kind:     global_buffer
      - .actual_access:  read_only
        .address_space:  global
        .offset:         40
        .size:           8
        .value_kind:     global_buffer
      - .actual_access:  read_only
        .address_space:  global
        .offset:         48
        .size:           8
        .value_kind:     global_buffer
      - .offset:         56
        .size:           8
        .value_kind:     by_value
      - .address_space:  global
        .offset:         64
        .size:           8
        .value_kind:     global_buffer
      - .offset:         72
        .size:           4
        .value_kind:     by_value
      - .offset:         76
        .size:           1
        .value_kind:     by_value
      - .offset:         80
        .size:           4
        .value_kind:     hidden_block_count_x
      - .offset:         84
        .size:           4
        .value_kind:     hidden_block_count_y
      - .offset:         88
        .size:           4
        .value_kind:     hidden_block_count_z
      - .offset:         92
        .size:           2
        .value_kind:     hidden_group_size_x
      - .offset:         94
        .size:           2
        .value_kind:     hidden_group_size_y
      - .offset:         96
        .size:           2
        .value_kind:     hidden_group_size_z
      - .offset:         98
        .size:           2
        .value_kind:     hidden_remainder_x
      - .offset:         100
        .size:           2
        .value_kind:     hidden_remainder_y
      - .offset:         102
        .size:           2
        .value_kind:     hidden_remainder_z
      - .offset:         120
        .size:           8
        .value_kind:     hidden_global_offset_x
      - .offset:         128
        .size:           8
        .value_kind:     hidden_global_offset_y
      - .offset:         136
        .size:           8
        .value_kind:     hidden_global_offset_z
      - .offset:         144
        .size:           2
        .value_kind:     hidden_grid_dims
    .group_segment_fixed_size: 0
    .kernarg_segment_align: 8
    .kernarg_segment_size: 336
    .language:       OpenCL C
    .language_version:
      - 2
      - 0
    .max_flat_workgroup_size: 256
    .name:           _ZN9rocsparseL21csrmvn_general_kernelILj256ELj2EiiffffEEvbT2_NS_24const_host_device_scalarIT6_EEPKT1_S7_PKS1_PKT3_PKT4_S4_PT5_21rocsparse_index_base_b
    .private_segment_fixed_size: 0
    .sgpr_count:     31
    .sgpr_spill_count: 0
    .symbol:         _ZN9rocsparseL21csrmvn_general_kernelILj256ELj2EiiffffEEvbT2_NS_24const_host_device_scalarIT6_EEPKT1_S7_PKS1_PKT3_PKT4_S4_PT5_21rocsparse_index_base_b.kd
    .uniform_work_group_size: 1
    .uses_dynamic_stack: false
    .vgpr_count:     15
    .vgpr_spill_count: 0
    .wavefront_size: 64
  - .agpr_count:     0
    .args:
      - .offset:         0
        .size:           1
        .value_kind:     by_value
      - .offset:         4
        .size:           4
        .value_kind:     by_value
      - .offset:         8
        .size:           8
        .value_kind:     by_value
      - .address_space:  global
        .offset:         16
        .size:           8
        .value_kind:     global_buffer
      - .address_space:  global
        .offset:         24
        .size:           8
        .value_kind:     global_buffer
      - .actual_access:  read_only
        .address_space:  global
        .offset:         32
        .size:           8
        .value_kind:     global_buffer
      - .actual_access:  read_only
        .address_space:  global
        .offset:         40
        .size:           8
        .value_kind:     global_buffer
      - .actual_access:  read_only
        .address_space:  global
        .offset:         48
        .size:           8
        .value_kind:     global_buffer
      - .offset:         56
        .size:           8
        .value_kind:     by_value
      - .address_space:  global
        .offset:         64
        .size:           8
        .value_kind:     global_buffer
      - .offset:         72
        .size:           4
        .value_kind:     by_value
      - .offset:         76
        .size:           1
        .value_kind:     by_value
      - .offset:         80
        .size:           4
        .value_kind:     hidden_block_count_x
      - .offset:         84
        .size:           4
        .value_kind:     hidden_block_count_y
      - .offset:         88
        .size:           4
        .value_kind:     hidden_block_count_z
      - .offset:         92
        .size:           2
        .value_kind:     hidden_group_size_x
      - .offset:         94
        .size:           2
        .value_kind:     hidden_group_size_y
      - .offset:         96
        .size:           2
        .value_kind:     hidden_group_size_z
      - .offset:         98
        .size:           2
        .value_kind:     hidden_remainder_x
      - .offset:         100
        .size:           2
        .value_kind:     hidden_remainder_y
      - .offset:         102
        .size:           2
        .value_kind:     hidden_remainder_z
      - .offset:         120
        .size:           8
        .value_kind:     hidden_global_offset_x
      - .offset:         128
        .size:           8
        .value_kind:     hidden_global_offset_y
      - .offset:         136
        .size:           8
        .value_kind:     hidden_global_offset_z
      - .offset:         144
        .size:           2
        .value_kind:     hidden_grid_dims
    .group_segment_fixed_size: 0
    .kernarg_segment_align: 8
    .kernarg_segment_size: 336
    .language:       OpenCL C
    .language_version:
      - 2
      - 0
    .max_flat_workgroup_size: 256
    .name:           _ZN9rocsparseL21csrmvn_general_kernelILj256ELj4EiiffffEEvbT2_NS_24const_host_device_scalarIT6_EEPKT1_S7_PKS1_PKT3_PKT4_S4_PT5_21rocsparse_index_base_b
    .private_segment_fixed_size: 0
    .sgpr_count:     31
    .sgpr_spill_count: 0
    .symbol:         _ZN9rocsparseL21csrmvn_general_kernelILj256ELj4EiiffffEEvbT2_NS_24const_host_device_scalarIT6_EEPKT1_S7_PKS1_PKT3_PKT4_S4_PT5_21rocsparse_index_base_b.kd
    .uniform_work_group_size: 1
    .uses_dynamic_stack: false
    .vgpr_count:     15
    .vgpr_spill_count: 0
    .wavefront_size: 64
  - .agpr_count:     0
    .args:
      - .offset:         0
        .size:           1
        .value_kind:     by_value
      - .offset:         4
        .size:           4
        .value_kind:     by_value
      - .offset:         8
        .size:           8
        .value_kind:     by_value
      - .address_space:  global
        .offset:         16
        .size:           8
        .value_kind:     global_buffer
      - .address_space:  global
        .offset:         24
        .size:           8
        .value_kind:     global_buffer
      - .actual_access:  read_only
        .address_space:  global
        .offset:         32
        .size:           8
        .value_kind:     global_buffer
      - .actual_access:  read_only
        .address_space:  global
        .offset:         40
        .size:           8
        .value_kind:     global_buffer
      - .actual_access:  read_only
        .address_space:  global
        .offset:         48
        .size:           8
        .value_kind:     global_buffer
      - .offset:         56
        .size:           8
        .value_kind:     by_value
      - .address_space:  global
        .offset:         64
        .size:           8
        .value_kind:     global_buffer
      - .offset:         72
        .size:           4
        .value_kind:     by_value
      - .offset:         76
        .size:           1
        .value_kind:     by_value
      - .offset:         80
        .size:           4
        .value_kind:     hidden_block_count_x
      - .offset:         84
        .size:           4
        .value_kind:     hidden_block_count_y
      - .offset:         88
        .size:           4
        .value_kind:     hidden_block_count_z
      - .offset:         92
        .size:           2
        .value_kind:     hidden_group_size_x
      - .offset:         94
        .size:           2
        .value_kind:     hidden_group_size_y
      - .offset:         96
        .size:           2
        .value_kind:     hidden_group_size_z
      - .offset:         98
        .size:           2
        .value_kind:     hidden_remainder_x
      - .offset:         100
        .size:           2
        .value_kind:     hidden_remainder_y
      - .offset:         102
        .size:           2
        .value_kind:     hidden_remainder_z
      - .offset:         120
        .size:           8
        .value_kind:     hidden_global_offset_x
      - .offset:         128
        .size:           8
        .value_kind:     hidden_global_offset_y
      - .offset:         136
        .size:           8
        .value_kind:     hidden_global_offset_z
      - .offset:         144
        .size:           2
        .value_kind:     hidden_grid_dims
    .group_segment_fixed_size: 0
    .kernarg_segment_align: 8
    .kernarg_segment_size: 336
    .language:       OpenCL C
    .language_version:
      - 2
      - 0
    .max_flat_workgroup_size: 256
    .name:           _ZN9rocsparseL21csrmvn_general_kernelILj256ELj8EiiffffEEvbT2_NS_24const_host_device_scalarIT6_EEPKT1_S7_PKS1_PKT3_PKT4_S4_PT5_21rocsparse_index_base_b
    .private_segment_fixed_size: 0
    .sgpr_count:     31
    .sgpr_spill_count: 0
    .symbol:         _ZN9rocsparseL21csrmvn_general_kernelILj256ELj8EiiffffEEvbT2_NS_24const_host_device_scalarIT6_EEPKT1_S7_PKS1_PKT3_PKT4_S4_PT5_21rocsparse_index_base_b.kd
    .uniform_work_group_size: 1
    .uses_dynamic_stack: false
    .vgpr_count:     15
    .vgpr_spill_count: 0
    .wavefront_size: 64
  - .agpr_count:     0
    .args:
      - .offset:         0
        .size:           1
        .value_kind:     by_value
      - .offset:         4
        .size:           4
        .value_kind:     by_value
      - .offset:         8
        .size:           8
        .value_kind:     by_value
      - .address_space:  global
        .offset:         16
        .size:           8
        .value_kind:     global_buffer
      - .address_space:  global
        .offset:         24
        .size:           8
        .value_kind:     global_buffer
      - .actual_access:  read_only
        .address_space:  global
        .offset:         32
        .size:           8
        .value_kind:     global_buffer
      - .actual_access:  read_only
        .address_space:  global
        .offset:         40
        .size:           8
        .value_kind:     global_buffer
      - .actual_access:  read_only
        .address_space:  global
        .offset:         48
        .size:           8
        .value_kind:     global_buffer
      - .offset:         56
        .size:           8
        .value_kind:     by_value
      - .address_space:  global
        .offset:         64
        .size:           8
        .value_kind:     global_buffer
      - .offset:         72
        .size:           4
        .value_kind:     by_value
      - .offset:         76
        .size:           1
        .value_kind:     by_value
      - .offset:         80
        .size:           4
        .value_kind:     hidden_block_count_x
      - .offset:         84
        .size:           4
        .value_kind:     hidden_block_count_y
      - .offset:         88
        .size:           4
        .value_kind:     hidden_block_count_z
      - .offset:         92
        .size:           2
        .value_kind:     hidden_group_size_x
      - .offset:         94
        .size:           2
        .value_kind:     hidden_group_size_y
      - .offset:         96
        .size:           2
        .value_kind:     hidden_group_size_z
      - .offset:         98
        .size:           2
        .value_kind:     hidden_remainder_x
      - .offset:         100
        .size:           2
        .value_kind:     hidden_remainder_y
      - .offset:         102
        .size:           2
        .value_kind:     hidden_remainder_z
      - .offset:         120
        .size:           8
        .value_kind:     hidden_global_offset_x
      - .offset:         128
        .size:           8
        .value_kind:     hidden_global_offset_y
      - .offset:         136
        .size:           8
        .value_kind:     hidden_global_offset_z
      - .offset:         144
        .size:           2
        .value_kind:     hidden_grid_dims
    .group_segment_fixed_size: 0
    .kernarg_segment_align: 8
    .kernarg_segment_size: 336
    .language:       OpenCL C
    .language_version:
      - 2
      - 0
    .max_flat_workgroup_size: 256
    .name:           _ZN9rocsparseL21csrmvn_general_kernelILj256ELj16EiiffffEEvbT2_NS_24const_host_device_scalarIT6_EEPKT1_S7_PKS1_PKT3_PKT4_S4_PT5_21rocsparse_index_base_b
    .private_segment_fixed_size: 0
    .sgpr_count:     31
    .sgpr_spill_count: 0
    .symbol:         _ZN9rocsparseL21csrmvn_general_kernelILj256ELj16EiiffffEEvbT2_NS_24const_host_device_scalarIT6_EEPKT1_S7_PKS1_PKT3_PKT4_S4_PT5_21rocsparse_index_base_b.kd
    .uniform_work_group_size: 1
    .uses_dynamic_stack: false
    .vgpr_count:     15
    .vgpr_spill_count: 0
    .wavefront_size: 64
  - .agpr_count:     0
    .args:
      - .offset:         0
        .size:           1
        .value_kind:     by_value
      - .offset:         4
        .size:           4
        .value_kind:     by_value
      - .offset:         8
        .size:           8
        .value_kind:     by_value
      - .address_space:  global
        .offset:         16
        .size:           8
        .value_kind:     global_buffer
      - .address_space:  global
        .offset:         24
        .size:           8
        .value_kind:     global_buffer
      - .actual_access:  read_only
        .address_space:  global
        .offset:         32
        .size:           8
        .value_kind:     global_buffer
      - .actual_access:  read_only
        .address_space:  global
        .offset:         40
        .size:           8
        .value_kind:     global_buffer
      - .actual_access:  read_only
        .address_space:  global
        .offset:         48
        .size:           8
        .value_kind:     global_buffer
      - .offset:         56
        .size:           8
        .value_kind:     by_value
      - .address_space:  global
        .offset:         64
        .size:           8
        .value_kind:     global_buffer
      - .offset:         72
        .size:           4
        .value_kind:     by_value
      - .offset:         76
        .size:           1
        .value_kind:     by_value
      - .offset:         80
        .size:           4
        .value_kind:     hidden_block_count_x
      - .offset:         84
        .size:           4
        .value_kind:     hidden_block_count_y
      - .offset:         88
        .size:           4
        .value_kind:     hidden_block_count_z
      - .offset:         92
        .size:           2
        .value_kind:     hidden_group_size_x
      - .offset:         94
        .size:           2
        .value_kind:     hidden_group_size_y
      - .offset:         96
        .size:           2
        .value_kind:     hidden_group_size_z
      - .offset:         98
        .size:           2
        .value_kind:     hidden_remainder_x
      - .offset:         100
        .size:           2
        .value_kind:     hidden_remainder_y
      - .offset:         102
        .size:           2
        .value_kind:     hidden_remainder_z
      - .offset:         120
        .size:           8
        .value_kind:     hidden_global_offset_x
      - .offset:         128
        .size:           8
        .value_kind:     hidden_global_offset_y
      - .offset:         136
        .size:           8
        .value_kind:     hidden_global_offset_z
      - .offset:         144
        .size:           2
        .value_kind:     hidden_grid_dims
    .group_segment_fixed_size: 0
    .kernarg_segment_align: 8
    .kernarg_segment_size: 336
    .language:       OpenCL C
    .language_version:
      - 2
      - 0
    .max_flat_workgroup_size: 256
    .name:           _ZN9rocsparseL21csrmvn_general_kernelILj256ELj32EiiffffEEvbT2_NS_24const_host_device_scalarIT6_EEPKT1_S7_PKS1_PKT3_PKT4_S4_PT5_21rocsparse_index_base_b
    .private_segment_fixed_size: 0
    .sgpr_count:     31
    .sgpr_spill_count: 0
    .symbol:         _ZN9rocsparseL21csrmvn_general_kernelILj256ELj32EiiffffEEvbT2_NS_24const_host_device_scalarIT6_EEPKT1_S7_PKS1_PKT3_PKT4_S4_PT5_21rocsparse_index_base_b.kd
    .uniform_work_group_size: 1
    .uses_dynamic_stack: false
    .vgpr_count:     15
    .vgpr_spill_count: 0
    .wavefront_size: 64
  - .agpr_count:     0
    .args:
      - .offset:         0
        .size:           1
        .value_kind:     by_value
      - .offset:         4
        .size:           4
        .value_kind:     by_value
      - .offset:         8
        .size:           8
        .value_kind:     by_value
      - .address_space:  global
        .offset:         16
        .size:           8
        .value_kind:     global_buffer
      - .address_space:  global
        .offset:         24
        .size:           8
        .value_kind:     global_buffer
      - .actual_access:  read_only
        .address_space:  global
        .offset:         32
        .size:           8
        .value_kind:     global_buffer
      - .actual_access:  read_only
        .address_space:  global
        .offset:         40
        .size:           8
        .value_kind:     global_buffer
      - .actual_access:  read_only
        .address_space:  global
        .offset:         48
        .size:           8
        .value_kind:     global_buffer
      - .offset:         56
        .size:           8
        .value_kind:     by_value
      - .address_space:  global
        .offset:         64
        .size:           8
        .value_kind:     global_buffer
      - .offset:         72
        .size:           4
        .value_kind:     by_value
      - .offset:         76
        .size:           1
        .value_kind:     by_value
      - .offset:         80
        .size:           4
        .value_kind:     hidden_block_count_x
      - .offset:         84
        .size:           4
        .value_kind:     hidden_block_count_y
      - .offset:         88
        .size:           4
        .value_kind:     hidden_block_count_z
      - .offset:         92
        .size:           2
        .value_kind:     hidden_group_size_x
      - .offset:         94
        .size:           2
        .value_kind:     hidden_group_size_y
      - .offset:         96
        .size:           2
        .value_kind:     hidden_group_size_z
      - .offset:         98
        .size:           2
        .value_kind:     hidden_remainder_x
      - .offset:         100
        .size:           2
        .value_kind:     hidden_remainder_y
      - .offset:         102
        .size:           2
        .value_kind:     hidden_remainder_z
      - .offset:         120
        .size:           8
        .value_kind:     hidden_global_offset_x
      - .offset:         128
        .size:           8
        .value_kind:     hidden_global_offset_y
      - .offset:         136
        .size:           8
        .value_kind:     hidden_global_offset_z
      - .offset:         144
        .size:           2
        .value_kind:     hidden_grid_dims
    .group_segment_fixed_size: 0
    .kernarg_segment_align: 8
    .kernarg_segment_size: 336
    .language:       OpenCL C
    .language_version:
      - 2
      - 0
    .max_flat_workgroup_size: 256
    .name:           _ZN9rocsparseL21csrmvn_general_kernelILj256ELj64EiiffffEEvbT2_NS_24const_host_device_scalarIT6_EEPKT1_S7_PKS1_PKT3_PKT4_S4_PT5_21rocsparse_index_base_b
    .private_segment_fixed_size: 0
    .sgpr_count:     31
    .sgpr_spill_count: 0
    .symbol:         _ZN9rocsparseL21csrmvn_general_kernelILj256ELj64EiiffffEEvbT2_NS_24const_host_device_scalarIT6_EEPKT1_S7_PKS1_PKT3_PKT4_S4_PT5_21rocsparse_index_base_b.kd
    .uniform_work_group_size: 1
    .uses_dynamic_stack: false
    .vgpr_count:     15
    .vgpr_spill_count: 0
    .wavefront_size: 64
  - .agpr_count:     0
    .args:
      - .offset:         0
        .size:           1
        .value_kind:     by_value
      - .offset:         1
        .size:           1
        .value_kind:     by_value
      - .offset:         4
        .size:           4
        .value_kind:     by_value
      - .offset:         8
        .size:           8
        .value_kind:     by_value
      - .address_space:  global
        .offset:         16
        .size:           8
        .value_kind:     global_buffer
      - .address_space:  global
        .offset:         24
        .size:           8
        .value_kind:     global_buffer
      - .actual_access:  read_only
        .address_space:  global
        .offset:         32
        .size:           8
        .value_kind:     global_buffer
      - .actual_access:  read_only
        .address_space:  global
        .offset:         40
        .size:           8
        .value_kind:     global_buffer
      - .actual_access:  read_only
        .address_space:  global
        .offset:         48
        .size:           8
        .value_kind:     global_buffer
      - .address_space:  global
        .offset:         56
        .size:           8
        .value_kind:     global_buffer
      - .offset:         64
        .size:           4
        .value_kind:     by_value
      - .offset:         68
        .size:           1
        .value_kind:     by_value
      - .offset:         72
        .size:           4
        .value_kind:     hidden_block_count_x
      - .offset:         76
        .size:           4
        .value_kind:     hidden_block_count_y
      - .offset:         80
        .size:           4
        .value_kind:     hidden_block_count_z
      - .offset:         84
        .size:           2
        .value_kind:     hidden_group_size_x
      - .offset:         86
        .size:           2
        .value_kind:     hidden_group_size_y
      - .offset:         88
        .size:           2
        .value_kind:     hidden_group_size_z
      - .offset:         90
        .size:           2
        .value_kind:     hidden_remainder_x
      - .offset:         92
        .size:           2
        .value_kind:     hidden_remainder_y
      - .offset:         94
        .size:           2
        .value_kind:     hidden_remainder_z
      - .offset:         112
        .size:           8
        .value_kind:     hidden_global_offset_x
      - .offset:         120
        .size:           8
        .value_kind:     hidden_global_offset_y
      - .offset:         128
        .size:           8
        .value_kind:     hidden_global_offset_z
      - .offset:         136
        .size:           2
        .value_kind:     hidden_grid_dims
    .group_segment_fixed_size: 0
    .kernarg_segment_align: 8
    .kernarg_segment_size: 328
    .language:       OpenCL C
    .language_version:
      - 2
      - 0
    .max_flat_workgroup_size: 256
    .name:           _ZN9rocsparseL21csrmvt_general_kernelILj256ELj4EiiffffEEvbbT2_NS_24const_host_device_scalarIT6_EEPKT1_S7_PKS1_PKT3_PKT4_PT5_21rocsparse_index_base_b
    .private_segment_fixed_size: 0
    .sgpr_count:     34
    .sgpr_spill_count: 0
    .symbol:         _ZN9rocsparseL21csrmvt_general_kernelILj256ELj4EiiffffEEvbbT2_NS_24const_host_device_scalarIT6_EEPKT1_S7_PKS1_PKT3_PKT4_PT5_21rocsparse_index_base_b.kd
    .uniform_work_group_size: 1
    .uses_dynamic_stack: false
    .vgpr_count:     14
    .vgpr_spill_count: 0
    .wavefront_size: 64
  - .agpr_count:     0
    .args:
      - .offset:         0
        .size:           1
        .value_kind:     by_value
      - .offset:         1
        .size:           1
        .value_kind:     by_value
      - .offset:         4
        .size:           4
        .value_kind:     by_value
      - .offset:         8
        .size:           8
        .value_kind:     by_value
      - .address_space:  global
        .offset:         16
        .size:           8
        .value_kind:     global_buffer
      - .address_space:  global
        .offset:         24
        .size:           8
        .value_kind:     global_buffer
      - .actual_access:  read_only
        .address_space:  global
        .offset:         32
        .size:           8
        .value_kind:     global_buffer
      - .actual_access:  read_only
        .address_space:  global
        .offset:         40
        .size:           8
        .value_kind:     global_buffer
      - .actual_access:  read_only
        .address_space:  global
        .offset:         48
        .size:           8
        .value_kind:     global_buffer
      - .address_space:  global
        .offset:         56
        .size:           8
        .value_kind:     global_buffer
      - .offset:         64
        .size:           4
        .value_kind:     by_value
      - .offset:         68
        .size:           1
        .value_kind:     by_value
      - .offset:         72
        .size:           4
        .value_kind:     hidden_block_count_x
      - .offset:         76
        .size:           4
        .value_kind:     hidden_block_count_y
      - .offset:         80
        .size:           4
        .value_kind:     hidden_block_count_z
      - .offset:         84
        .size:           2
        .value_kind:     hidden_group_size_x
      - .offset:         86
        .size:           2
        .value_kind:     hidden_group_size_y
      - .offset:         88
        .size:           2
        .value_kind:     hidden_group_size_z
      - .offset:         90
        .size:           2
        .value_kind:     hidden_remainder_x
      - .offset:         92
        .size:           2
        .value_kind:     hidden_remainder_y
      - .offset:         94
        .size:           2
        .value_kind:     hidden_remainder_z
      - .offset:         112
        .size:           8
        .value_kind:     hidden_global_offset_x
      - .offset:         120
        .size:           8
        .value_kind:     hidden_global_offset_y
      - .offset:         128
        .size:           8
        .value_kind:     hidden_global_offset_z
      - .offset:         136
        .size:           2
        .value_kind:     hidden_grid_dims
    .group_segment_fixed_size: 0
    .kernarg_segment_align: 8
    .kernarg_segment_size: 328
    .language:       OpenCL C
    .language_version:
      - 2
      - 0
    .max_flat_workgroup_size: 256
    .name:           _ZN9rocsparseL21csrmvt_general_kernelILj256ELj8EiiffffEEvbbT2_NS_24const_host_device_scalarIT6_EEPKT1_S7_PKS1_PKT3_PKT4_PT5_21rocsparse_index_base_b
    .private_segment_fixed_size: 0
    .sgpr_count:     34
    .sgpr_spill_count: 0
    .symbol:         _ZN9rocsparseL21csrmvt_general_kernelILj256ELj8EiiffffEEvbbT2_NS_24const_host_device_scalarIT6_EEPKT1_S7_PKS1_PKT3_PKT4_PT5_21rocsparse_index_base_b.kd
    .uniform_work_group_size: 1
    .uses_dynamic_stack: false
    .vgpr_count:     14
    .vgpr_spill_count: 0
    .wavefront_size: 64
  - .agpr_count:     0
    .args:
      - .offset:         0
        .size:           1
        .value_kind:     by_value
      - .offset:         1
        .size:           1
        .value_kind:     by_value
      - .offset:         4
        .size:           4
        .value_kind:     by_value
      - .offset:         8
        .size:           8
        .value_kind:     by_value
      - .address_space:  global
        .offset:         16
        .size:           8
        .value_kind:     global_buffer
      - .address_space:  global
        .offset:         24
        .size:           8
        .value_kind:     global_buffer
      - .actual_access:  read_only
        .address_space:  global
        .offset:         32
        .size:           8
        .value_kind:     global_buffer
      - .actual_access:  read_only
        .address_space:  global
        .offset:         40
        .size:           8
        .value_kind:     global_buffer
      - .actual_access:  read_only
        .address_space:  global
        .offset:         48
        .size:           8
        .value_kind:     global_buffer
      - .address_space:  global
        .offset:         56
        .size:           8
        .value_kind:     global_buffer
      - .offset:         64
        .size:           4
        .value_kind:     by_value
      - .offset:         68
        .size:           1
        .value_kind:     by_value
      - .offset:         72
        .size:           4
        .value_kind:     hidden_block_count_x
      - .offset:         76
        .size:           4
        .value_kind:     hidden_block_count_y
      - .offset:         80
        .size:           4
        .value_kind:     hidden_block_count_z
      - .offset:         84
        .size:           2
        .value_kind:     hidden_group_size_x
      - .offset:         86
        .size:           2
        .value_kind:     hidden_group_size_y
      - .offset:         88
        .size:           2
        .value_kind:     hidden_group_size_z
      - .offset:         90
        .size:           2
        .value_kind:     hidden_remainder_x
      - .offset:         92
        .size:           2
        .value_kind:     hidden_remainder_y
      - .offset:         94
        .size:           2
        .value_kind:     hidden_remainder_z
      - .offset:         112
        .size:           8
        .value_kind:     hidden_global_offset_x
      - .offset:         120
        .size:           8
        .value_kind:     hidden_global_offset_y
      - .offset:         128
        .size:           8
        .value_kind:     hidden_global_offset_z
      - .offset:         136
        .size:           2
        .value_kind:     hidden_grid_dims
    .group_segment_fixed_size: 0
    .kernarg_segment_align: 8
    .kernarg_segment_size: 328
    .language:       OpenCL C
    .language_version:
      - 2
      - 0
    .max_flat_workgroup_size: 256
    .name:           _ZN9rocsparseL21csrmvt_general_kernelILj256ELj16EiiffffEEvbbT2_NS_24const_host_device_scalarIT6_EEPKT1_S7_PKS1_PKT3_PKT4_PT5_21rocsparse_index_base_b
    .private_segment_fixed_size: 0
    .sgpr_count:     34
    .sgpr_spill_count: 0
    .symbol:         _ZN9rocsparseL21csrmvt_general_kernelILj256ELj16EiiffffEEvbbT2_NS_24const_host_device_scalarIT6_EEPKT1_S7_PKS1_PKT3_PKT4_PT5_21rocsparse_index_base_b.kd
    .uniform_work_group_size: 1
    .uses_dynamic_stack: false
    .vgpr_count:     14
    .vgpr_spill_count: 0
    .wavefront_size: 64
  - .agpr_count:     0
    .args:
      - .offset:         0
        .size:           1
        .value_kind:     by_value
      - .offset:         1
        .size:           1
        .value_kind:     by_value
      - .offset:         4
        .size:           4
        .value_kind:     by_value
      - .offset:         8
        .size:           8
        .value_kind:     by_value
      - .address_space:  global
        .offset:         16
        .size:           8
        .value_kind:     global_buffer
      - .address_space:  global
        .offset:         24
        .size:           8
        .value_kind:     global_buffer
      - .actual_access:  read_only
        .address_space:  global
        .offset:         32
        .size:           8
        .value_kind:     global_buffer
      - .actual_access:  read_only
        .address_space:  global
        .offset:         40
        .size:           8
        .value_kind:     global_buffer
      - .actual_access:  read_only
        .address_space:  global
        .offset:         48
        .size:           8
        .value_kind:     global_buffer
      - .address_space:  global
        .offset:         56
        .size:           8
        .value_kind:     global_buffer
      - .offset:         64
        .size:           4
        .value_kind:     by_value
      - .offset:         68
        .size:           1
        .value_kind:     by_value
      - .offset:         72
        .size:           4
        .value_kind:     hidden_block_count_x
      - .offset:         76
        .size:           4
        .value_kind:     hidden_block_count_y
      - .offset:         80
        .size:           4
        .value_kind:     hidden_block_count_z
      - .offset:         84
        .size:           2
        .value_kind:     hidden_group_size_x
      - .offset:         86
        .size:           2
        .value_kind:     hidden_group_size_y
      - .offset:         88
        .size:           2
        .value_kind:     hidden_group_size_z
      - .offset:         90
        .size:           2
        .value_kind:     hidden_remainder_x
      - .offset:         92
        .size:           2
        .value_kind:     hidden_remainder_y
      - .offset:         94
        .size:           2
        .value_kind:     hidden_remainder_z
      - .offset:         112
        .size:           8
        .value_kind:     hidden_global_offset_x
      - .offset:         120
        .size:           8
        .value_kind:     hidden_global_offset_y
      - .offset:         128
        .size:           8
        .value_kind:     hidden_global_offset_z
      - .offset:         136
        .size:           2
        .value_kind:     hidden_grid_dims
    .group_segment_fixed_size: 0
    .kernarg_segment_align: 8
    .kernarg_segment_size: 328
    .language:       OpenCL C
    .language_version:
      - 2
      - 0
    .max_flat_workgroup_size: 256
    .name:           _ZN9rocsparseL21csrmvt_general_kernelILj256ELj32EiiffffEEvbbT2_NS_24const_host_device_scalarIT6_EEPKT1_S7_PKS1_PKT3_PKT4_PT5_21rocsparse_index_base_b
    .private_segment_fixed_size: 0
    .sgpr_count:     34
    .sgpr_spill_count: 0
    .symbol:         _ZN9rocsparseL21csrmvt_general_kernelILj256ELj32EiiffffEEvbbT2_NS_24const_host_device_scalarIT6_EEPKT1_S7_PKS1_PKT3_PKT4_PT5_21rocsparse_index_base_b.kd
    .uniform_work_group_size: 1
    .uses_dynamic_stack: false
    .vgpr_count:     14
    .vgpr_spill_count: 0
    .wavefront_size: 64
  - .agpr_count:     0
    .args:
      - .offset:         0
        .size:           1
        .value_kind:     by_value
      - .offset:         1
        .size:           1
        .value_kind:     by_value
      - .offset:         4
        .size:           4
        .value_kind:     by_value
      - .offset:         8
        .size:           8
        .value_kind:     by_value
      - .address_space:  global
        .offset:         16
        .size:           8
        .value_kind:     global_buffer
      - .address_space:  global
        .offset:         24
        .size:           8
        .value_kind:     global_buffer
      - .actual_access:  read_only
        .address_space:  global
        .offset:         32
        .size:           8
        .value_kind:     global_buffer
      - .actual_access:  read_only
        .address_space:  global
        .offset:         40
        .size:           8
        .value_kind:     global_buffer
      - .actual_access:  read_only
        .address_space:  global
        .offset:         48
        .size:           8
        .value_kind:     global_buffer
      - .address_space:  global
        .offset:         56
        .size:           8
        .value_kind:     global_buffer
      - .offset:         64
        .size:           4
        .value_kind:     by_value
      - .offset:         68
        .size:           1
        .value_kind:     by_value
      - .offset:         72
        .size:           4
        .value_kind:     hidden_block_count_x
      - .offset:         76
        .size:           4
        .value_kind:     hidden_block_count_y
      - .offset:         80
        .size:           4
        .value_kind:     hidden_block_count_z
      - .offset:         84
        .size:           2
        .value_kind:     hidden_group_size_x
      - .offset:         86
        .size:           2
        .value_kind:     hidden_group_size_y
      - .offset:         88
        .size:           2
        .value_kind:     hidden_group_size_z
      - .offset:         90
        .size:           2
        .value_kind:     hidden_remainder_x
      - .offset:         92
        .size:           2
        .value_kind:     hidden_remainder_y
      - .offset:         94
        .size:           2
        .value_kind:     hidden_remainder_z
      - .offset:         112
        .size:           8
        .value_kind:     hidden_global_offset_x
      - .offset:         120
        .size:           8
        .value_kind:     hidden_global_offset_y
      - .offset:         128
        .size:           8
        .value_kind:     hidden_global_offset_z
      - .offset:         136
        .size:           2
        .value_kind:     hidden_grid_dims
    .group_segment_fixed_size: 0
    .kernarg_segment_align: 8
    .kernarg_segment_size: 328
    .language:       OpenCL C
    .language_version:
      - 2
      - 0
    .max_flat_workgroup_size: 256
    .name:           _ZN9rocsparseL21csrmvt_general_kernelILj256ELj64EiiffffEEvbbT2_NS_24const_host_device_scalarIT6_EEPKT1_S7_PKS1_PKT3_PKT4_PT5_21rocsparse_index_base_b
    .private_segment_fixed_size: 0
    .sgpr_count:     34
    .sgpr_spill_count: 0
    .symbol:         _ZN9rocsparseL21csrmvt_general_kernelILj256ELj64EiiffffEEvbbT2_NS_24const_host_device_scalarIT6_EEPKT1_S7_PKS1_PKT3_PKT4_PT5_21rocsparse_index_base_b.kd
    .uniform_work_group_size: 1
    .uses_dynamic_stack: false
    .vgpr_count:     14
    .vgpr_spill_count: 0
    .wavefront_size: 64
  - .agpr_count:     0
    .args:
      - .offset:         0
        .size:           1
        .value_kind:     by_value
      - .offset:         4
        .size:           4
        .value_kind:     by_value
      - .offset:         8
        .size:           8
        .value_kind:     by_value
      - .address_space:  global
        .offset:         16
        .size:           8
        .value_kind:     global_buffer
      - .address_space:  global
        .offset:         24
        .size:           8
        .value_kind:     global_buffer
      - .actual_access:  read_only
        .address_space:  global
        .offset:         32
        .size:           8
        .value_kind:     global_buffer
      - .actual_access:  read_only
        .address_space:  global
        .offset:         40
        .size:           8
        .value_kind:     global_buffer
      - .actual_access:  read_only
        .address_space:  global
        .offset:         48
        .size:           8
        .value_kind:     global_buffer
      - .offset:         56
        .size:           8
        .value_kind:     by_value
      - .address_space:  global
        .offset:         64
        .size:           8
        .value_kind:     global_buffer
      - .offset:         72
        .size:           4
        .value_kind:     by_value
      - .offset:         76
        .size:           1
        .value_kind:     by_value
      - .offset:         80
        .size:           4
        .value_kind:     hidden_block_count_x
      - .offset:         84
        .size:           4
        .value_kind:     hidden_block_count_y
      - .offset:         88
        .size:           4
        .value_kind:     hidden_block_count_z
      - .offset:         92
        .size:           2
        .value_kind:     hidden_group_size_x
      - .offset:         94
        .size:           2
        .value_kind:     hidden_group_size_y
      - .offset:         96
        .size:           2
        .value_kind:     hidden_group_size_z
      - .offset:         98
        .size:           2
        .value_kind:     hidden_remainder_x
      - .offset:         100
        .size:           2
        .value_kind:     hidden_remainder_y
      - .offset:         102
        .size:           2
        .value_kind:     hidden_remainder_z
      - .offset:         120
        .size:           8
        .value_kind:     hidden_global_offset_x
      - .offset:         128
        .size:           8
        .value_kind:     hidden_global_offset_y
      - .offset:         136
        .size:           8
        .value_kind:     hidden_global_offset_z
      - .offset:         144
        .size:           2
        .value_kind:     hidden_grid_dims
    .group_segment_fixed_size: 0
    .kernarg_segment_align: 8
    .kernarg_segment_size: 336
    .language:       OpenCL C
    .language_version:
      - 2
      - 0
    .max_flat_workgroup_size: 256
    .name:           _ZN9rocsparseL21csrmvn_general_kernelILj256ELj2EliffffEEvbT2_NS_24const_host_device_scalarIT6_EEPKT1_S7_PKS1_PKT3_PKT4_S4_PT5_21rocsparse_index_base_b
    .private_segment_fixed_size: 0
    .sgpr_count:     30
    .sgpr_spill_count: 0
    .symbol:         _ZN9rocsparseL21csrmvn_general_kernelILj256ELj2EliffffEEvbT2_NS_24const_host_device_scalarIT6_EEPKT1_S7_PKS1_PKT3_PKT4_S4_PT5_21rocsparse_index_base_b.kd
    .uniform_work_group_size: 1
    .uses_dynamic_stack: false
    .vgpr_count:     20
    .vgpr_spill_count: 0
    .wavefront_size: 64
  - .agpr_count:     0
    .args:
      - .offset:         0
        .size:           1
        .value_kind:     by_value
      - .offset:         4
        .size:           4
        .value_kind:     by_value
      - .offset:         8
        .size:           8
        .value_kind:     by_value
      - .address_space:  global
        .offset:         16
        .size:           8
        .value_kind:     global_buffer
      - .address_space:  global
        .offset:         24
        .size:           8
        .value_kind:     global_buffer
      - .actual_access:  read_only
        .address_space:  global
        .offset:         32
        .size:           8
        .value_kind:     global_buffer
      - .actual_access:  read_only
        .address_space:  global
        .offset:         40
        .size:           8
        .value_kind:     global_buffer
      - .actual_access:  read_only
        .address_space:  global
        .offset:         48
        .size:           8
        .value_kind:     global_buffer
      - .offset:         56
        .size:           8
        .value_kind:     by_value
      - .address_space:  global
        .offset:         64
        .size:           8
        .value_kind:     global_buffer
      - .offset:         72
        .size:           4
        .value_kind:     by_value
      - .offset:         76
        .size:           1
        .value_kind:     by_value
      - .offset:         80
        .size:           4
        .value_kind:     hidden_block_count_x
      - .offset:         84
        .size:           4
        .value_kind:     hidden_block_count_y
      - .offset:         88
        .size:           4
        .value_kind:     hidden_block_count_z
      - .offset:         92
        .size:           2
        .value_kind:     hidden_group_size_x
      - .offset:         94
        .size:           2
        .value_kind:     hidden_group_size_y
      - .offset:         96
        .size:           2
        .value_kind:     hidden_group_size_z
      - .offset:         98
        .size:           2
        .value_kind:     hidden_remainder_x
      - .offset:         100
        .size:           2
        .value_kind:     hidden_remainder_y
      - .offset:         102
        .size:           2
        .value_kind:     hidden_remainder_z
      - .offset:         120
        .size:           8
        .value_kind:     hidden_global_offset_x
      - .offset:         128
        .size:           8
        .value_kind:     hidden_global_offset_y
      - .offset:         136
        .size:           8
        .value_kind:     hidden_global_offset_z
      - .offset:         144
        .size:           2
        .value_kind:     hidden_grid_dims
    .group_segment_fixed_size: 0
    .kernarg_segment_align: 8
    .kernarg_segment_size: 336
    .language:       OpenCL C
    .language_version:
      - 2
      - 0
    .max_flat_workgroup_size: 256
    .name:           _ZN9rocsparseL21csrmvn_general_kernelILj256ELj4EliffffEEvbT2_NS_24const_host_device_scalarIT6_EEPKT1_S7_PKS1_PKT3_PKT4_S4_PT5_21rocsparse_index_base_b
    .private_segment_fixed_size: 0
    .sgpr_count:     30
    .sgpr_spill_count: 0
    .symbol:         _ZN9rocsparseL21csrmvn_general_kernelILj256ELj4EliffffEEvbT2_NS_24const_host_device_scalarIT6_EEPKT1_S7_PKS1_PKT3_PKT4_S4_PT5_21rocsparse_index_base_b.kd
    .uniform_work_group_size: 1
    .uses_dynamic_stack: false
    .vgpr_count:     20
    .vgpr_spill_count: 0
    .wavefront_size: 64
  - .agpr_count:     0
    .args:
      - .offset:         0
        .size:           1
        .value_kind:     by_value
      - .offset:         4
        .size:           4
        .value_kind:     by_value
      - .offset:         8
        .size:           8
        .value_kind:     by_value
      - .address_space:  global
        .offset:         16
        .size:           8
        .value_kind:     global_buffer
      - .address_space:  global
        .offset:         24
        .size:           8
        .value_kind:     global_buffer
      - .actual_access:  read_only
        .address_space:  global
        .offset:         32
        .size:           8
        .value_kind:     global_buffer
      - .actual_access:  read_only
        .address_space:  global
        .offset:         40
        .size:           8
        .value_kind:     global_buffer
      - .actual_access:  read_only
        .address_space:  global
        .offset:         48
        .size:           8
        .value_kind:     global_buffer
      - .offset:         56
        .size:           8
        .value_kind:     by_value
      - .address_space:  global
        .offset:         64
        .size:           8
        .value_kind:     global_buffer
      - .offset:         72
        .size:           4
        .value_kind:     by_value
      - .offset:         76
        .size:           1
        .value_kind:     by_value
      - .offset:         80
        .size:           4
        .value_kind:     hidden_block_count_x
      - .offset:         84
        .size:           4
        .value_kind:     hidden_block_count_y
      - .offset:         88
        .size:           4
        .value_kind:     hidden_block_count_z
      - .offset:         92
        .size:           2
        .value_kind:     hidden_group_size_x
      - .offset:         94
        .size:           2
        .value_kind:     hidden_group_size_y
      - .offset:         96
        .size:           2
        .value_kind:     hidden_group_size_z
      - .offset:         98
        .size:           2
        .value_kind:     hidden_remainder_x
      - .offset:         100
        .size:           2
        .value_kind:     hidden_remainder_y
      - .offset:         102
        .size:           2
        .value_kind:     hidden_remainder_z
      - .offset:         120
        .size:           8
        .value_kind:     hidden_global_offset_x
      - .offset:         128
        .size:           8
        .value_kind:     hidden_global_offset_y
      - .offset:         136
        .size:           8
        .value_kind:     hidden_global_offset_z
      - .offset:         144
        .size:           2
        .value_kind:     hidden_grid_dims
    .group_segment_fixed_size: 0
    .kernarg_segment_align: 8
    .kernarg_segment_size: 336
    .language:       OpenCL C
    .language_version:
      - 2
      - 0
    .max_flat_workgroup_size: 256
    .name:           _ZN9rocsparseL21csrmvn_general_kernelILj256ELj8EliffffEEvbT2_NS_24const_host_device_scalarIT6_EEPKT1_S7_PKS1_PKT3_PKT4_S4_PT5_21rocsparse_index_base_b
    .private_segment_fixed_size: 0
    .sgpr_count:     30
    .sgpr_spill_count: 0
    .symbol:         _ZN9rocsparseL21csrmvn_general_kernelILj256ELj8EliffffEEvbT2_NS_24const_host_device_scalarIT6_EEPKT1_S7_PKS1_PKT3_PKT4_S4_PT5_21rocsparse_index_base_b.kd
    .uniform_work_group_size: 1
    .uses_dynamic_stack: false
    .vgpr_count:     20
    .vgpr_spill_count: 0
    .wavefront_size: 64
  - .agpr_count:     0
    .args:
      - .offset:         0
        .size:           1
        .value_kind:     by_value
      - .offset:         4
        .size:           4
        .value_kind:     by_value
      - .offset:         8
        .size:           8
        .value_kind:     by_value
      - .address_space:  global
        .offset:         16
        .size:           8
        .value_kind:     global_buffer
      - .address_space:  global
        .offset:         24
        .size:           8
        .value_kind:     global_buffer
      - .actual_access:  read_only
        .address_space:  global
        .offset:         32
        .size:           8
        .value_kind:     global_buffer
      - .actual_access:  read_only
        .address_space:  global
        .offset:         40
        .size:           8
        .value_kind:     global_buffer
      - .actual_access:  read_only
        .address_space:  global
        .offset:         48
        .size:           8
        .value_kind:     global_buffer
      - .offset:         56
        .size:           8
        .value_kind:     by_value
      - .address_space:  global
        .offset:         64
        .size:           8
        .value_kind:     global_buffer
      - .offset:         72
        .size:           4
        .value_kind:     by_value
      - .offset:         76
        .size:           1
        .value_kind:     by_value
      - .offset:         80
        .size:           4
        .value_kind:     hidden_block_count_x
      - .offset:         84
        .size:           4
        .value_kind:     hidden_block_count_y
      - .offset:         88
        .size:           4
        .value_kind:     hidden_block_count_z
      - .offset:         92
        .size:           2
        .value_kind:     hidden_group_size_x
      - .offset:         94
        .size:           2
        .value_kind:     hidden_group_size_y
      - .offset:         96
        .size:           2
        .value_kind:     hidden_group_size_z
      - .offset:         98
        .size:           2
        .value_kind:     hidden_remainder_x
      - .offset:         100
        .size:           2
        .value_kind:     hidden_remainder_y
      - .offset:         102
        .size:           2
        .value_kind:     hidden_remainder_z
      - .offset:         120
        .size:           8
        .value_kind:     hidden_global_offset_x
      - .offset:         128
        .size:           8
        .value_kind:     hidden_global_offset_y
      - .offset:         136
        .size:           8
        .value_kind:     hidden_global_offset_z
      - .offset:         144
        .size:           2
        .value_kind:     hidden_grid_dims
    .group_segment_fixed_size: 0
    .kernarg_segment_align: 8
    .kernarg_segment_size: 336
    .language:       OpenCL C
    .language_version:
      - 2
      - 0
    .max_flat_workgroup_size: 256
    .name:           _ZN9rocsparseL21csrmvn_general_kernelILj256ELj16EliffffEEvbT2_NS_24const_host_device_scalarIT6_EEPKT1_S7_PKS1_PKT3_PKT4_S4_PT5_21rocsparse_index_base_b
    .private_segment_fixed_size: 0
    .sgpr_count:     30
    .sgpr_spill_count: 0
    .symbol:         _ZN9rocsparseL21csrmvn_general_kernelILj256ELj16EliffffEEvbT2_NS_24const_host_device_scalarIT6_EEPKT1_S7_PKS1_PKT3_PKT4_S4_PT5_21rocsparse_index_base_b.kd
    .uniform_work_group_size: 1
    .uses_dynamic_stack: false
    .vgpr_count:     20
    .vgpr_spill_count: 0
    .wavefront_size: 64
  - .agpr_count:     0
    .args:
      - .offset:         0
        .size:           1
        .value_kind:     by_value
      - .offset:         4
        .size:           4
        .value_kind:     by_value
      - .offset:         8
        .size:           8
        .value_kind:     by_value
      - .address_space:  global
        .offset:         16
        .size:           8
        .value_kind:     global_buffer
      - .address_space:  global
        .offset:         24
        .size:           8
        .value_kind:     global_buffer
      - .actual_access:  read_only
        .address_space:  global
        .offset:         32
        .size:           8
        .value_kind:     global_buffer
      - .actual_access:  read_only
        .address_space:  global
        .offset:         40
        .size:           8
        .value_kind:     global_buffer
      - .actual_access:  read_only
        .address_space:  global
        .offset:         48
        .size:           8
        .value_kind:     global_buffer
      - .offset:         56
        .size:           8
        .value_kind:     by_value
      - .address_space:  global
        .offset:         64
        .size:           8
        .value_kind:     global_buffer
      - .offset:         72
        .size:           4
        .value_kind:     by_value
      - .offset:         76
        .size:           1
        .value_kind:     by_value
      - .offset:         80
        .size:           4
        .value_kind:     hidden_block_count_x
      - .offset:         84
        .size:           4
        .value_kind:     hidden_block_count_y
      - .offset:         88
        .size:           4
        .value_kind:     hidden_block_count_z
      - .offset:         92
        .size:           2
        .value_kind:     hidden_group_size_x
      - .offset:         94
        .size:           2
        .value_kind:     hidden_group_size_y
      - .offset:         96
        .size:           2
        .value_kind:     hidden_group_size_z
      - .offset:         98
        .size:           2
        .value_kind:     hidden_remainder_x
      - .offset:         100
        .size:           2
        .value_kind:     hidden_remainder_y
      - .offset:         102
        .size:           2
        .value_kind:     hidden_remainder_z
      - .offset:         120
        .size:           8
        .value_kind:     hidden_global_offset_x
      - .offset:         128
        .size:           8
        .value_kind:     hidden_global_offset_y
      - .offset:         136
        .size:           8
        .value_kind:     hidden_global_offset_z
      - .offset:         144
        .size:           2
        .value_kind:     hidden_grid_dims
    .group_segment_fixed_size: 0
    .kernarg_segment_align: 8
    .kernarg_segment_size: 336
    .language:       OpenCL C
    .language_version:
      - 2
      - 0
    .max_flat_workgroup_size: 256
    .name:           _ZN9rocsparseL21csrmvn_general_kernelILj256ELj32EliffffEEvbT2_NS_24const_host_device_scalarIT6_EEPKT1_S7_PKS1_PKT3_PKT4_S4_PT5_21rocsparse_index_base_b
    .private_segment_fixed_size: 0
    .sgpr_count:     32
    .sgpr_spill_count: 0
    .symbol:         _ZN9rocsparseL21csrmvn_general_kernelILj256ELj32EliffffEEvbT2_NS_24const_host_device_scalarIT6_EEPKT1_S7_PKS1_PKT3_PKT4_S4_PT5_21rocsparse_index_base_b.kd
    .uniform_work_group_size: 1
    .uses_dynamic_stack: false
    .vgpr_count:     20
    .vgpr_spill_count: 0
    .wavefront_size: 64
  - .agpr_count:     0
    .args:
      - .offset:         0
        .size:           1
        .value_kind:     by_value
      - .offset:         4
        .size:           4
        .value_kind:     by_value
      - .offset:         8
        .size:           8
        .value_kind:     by_value
      - .address_space:  global
        .offset:         16
        .size:           8
        .value_kind:     global_buffer
      - .address_space:  global
        .offset:         24
        .size:           8
        .value_kind:     global_buffer
      - .actual_access:  read_only
        .address_space:  global
        .offset:         32
        .size:           8
        .value_kind:     global_buffer
      - .actual_access:  read_only
        .address_space:  global
        .offset:         40
        .size:           8
        .value_kind:     global_buffer
      - .actual_access:  read_only
        .address_space:  global
        .offset:         48
        .size:           8
        .value_kind:     global_buffer
      - .offset:         56
        .size:           8
        .value_kind:     by_value
      - .address_space:  global
        .offset:         64
        .size:           8
        .value_kind:     global_buffer
      - .offset:         72
        .size:           4
        .value_kind:     by_value
      - .offset:         76
        .size:           1
        .value_kind:     by_value
      - .offset:         80
        .size:           4
        .value_kind:     hidden_block_count_x
      - .offset:         84
        .size:           4
        .value_kind:     hidden_block_count_y
      - .offset:         88
        .size:           4
        .value_kind:     hidden_block_count_z
      - .offset:         92
        .size:           2
        .value_kind:     hidden_group_size_x
      - .offset:         94
        .size:           2
        .value_kind:     hidden_group_size_y
      - .offset:         96
        .size:           2
        .value_kind:     hidden_group_size_z
      - .offset:         98
        .size:           2
        .value_kind:     hidden_remainder_x
      - .offset:         100
        .size:           2
        .value_kind:     hidden_remainder_y
      - .offset:         102
        .size:           2
        .value_kind:     hidden_remainder_z
      - .offset:         120
        .size:           8
        .value_kind:     hidden_global_offset_x
      - .offset:         128
        .size:           8
        .value_kind:     hidden_global_offset_y
      - .offset:         136
        .size:           8
        .value_kind:     hidden_global_offset_z
      - .offset:         144
        .size:           2
        .value_kind:     hidden_grid_dims
    .group_segment_fixed_size: 0
    .kernarg_segment_align: 8
    .kernarg_segment_size: 336
    .language:       OpenCL C
    .language_version:
      - 2
      - 0
    .max_flat_workgroup_size: 256
    .name:           _ZN9rocsparseL21csrmvn_general_kernelILj256ELj64EliffffEEvbT2_NS_24const_host_device_scalarIT6_EEPKT1_S7_PKS1_PKT3_PKT4_S4_PT5_21rocsparse_index_base_b
    .private_segment_fixed_size: 0
    .sgpr_count:     32
    .sgpr_spill_count: 0
    .symbol:         _ZN9rocsparseL21csrmvn_general_kernelILj256ELj64EliffffEEvbT2_NS_24const_host_device_scalarIT6_EEPKT1_S7_PKS1_PKT3_PKT4_S4_PT5_21rocsparse_index_base_b.kd
    .uniform_work_group_size: 1
    .uses_dynamic_stack: false
    .vgpr_count:     20
    .vgpr_spill_count: 0
    .wavefront_size: 64
  - .agpr_count:     0
    .args:
      - .offset:         0
        .size:           1
        .value_kind:     by_value
      - .offset:         1
        .size:           1
        .value_kind:     by_value
      - .offset:         4
        .size:           4
        .value_kind:     by_value
      - .offset:         8
        .size:           8
        .value_kind:     by_value
      - .address_space:  global
        .offset:         16
        .size:           8
        .value_kind:     global_buffer
      - .address_space:  global
        .offset:         24
        .size:           8
        .value_kind:     global_buffer
      - .actual_access:  read_only
        .address_space:  global
        .offset:         32
        .size:           8
        .value_kind:     global_buffer
      - .actual_access:  read_only
        .address_space:  global
        .offset:         40
        .size:           8
        .value_kind:     global_buffer
      - .actual_access:  read_only
        .address_space:  global
        .offset:         48
        .size:           8
        .value_kind:     global_buffer
      - .address_space:  global
        .offset:         56
        .size:           8
        .value_kind:     global_buffer
      - .offset:         64
        .size:           4
        .value_kind:     by_value
      - .offset:         68
        .size:           1
        .value_kind:     by_value
      - .offset:         72
        .size:           4
        .value_kind:     hidden_block_count_x
      - .offset:         76
        .size:           4
        .value_kind:     hidden_block_count_y
      - .offset:         80
        .size:           4
        .value_kind:     hidden_block_count_z
      - .offset:         84
        .size:           2
        .value_kind:     hidden_group_size_x
      - .offset:         86
        .size:           2
        .value_kind:     hidden_group_size_y
      - .offset:         88
        .size:           2
        .value_kind:     hidden_group_size_z
      - .offset:         90
        .size:           2
        .value_kind:     hidden_remainder_x
      - .offset:         92
        .size:           2
        .value_kind:     hidden_remainder_y
      - .offset:         94
        .size:           2
        .value_kind:     hidden_remainder_z
      - .offset:         112
        .size:           8
        .value_kind:     hidden_global_offset_x
      - .offset:         120
        .size:           8
        .value_kind:     hidden_global_offset_y
      - .offset:         128
        .size:           8
        .value_kind:     hidden_global_offset_z
      - .offset:         136
        .size:           2
        .value_kind:     hidden_grid_dims
    .group_segment_fixed_size: 0
    .kernarg_segment_align: 8
    .kernarg_segment_size: 328
    .language:       OpenCL C
    .language_version:
      - 2
      - 0
    .max_flat_workgroup_size: 256
    .name:           _ZN9rocsparseL21csrmvt_general_kernelILj256ELj4EliffffEEvbbT2_NS_24const_host_device_scalarIT6_EEPKT1_S7_PKS1_PKT3_PKT4_PT5_21rocsparse_index_base_b
    .private_segment_fixed_size: 0
    .sgpr_count:     34
    .sgpr_spill_count: 0
    .symbol:         _ZN9rocsparseL21csrmvt_general_kernelILj256ELj4EliffffEEvbbT2_NS_24const_host_device_scalarIT6_EEPKT1_S7_PKS1_PKT3_PKT4_PT5_21rocsparse_index_base_b.kd
    .uniform_work_group_size: 1
    .uses_dynamic_stack: false
    .vgpr_count:     19
    .vgpr_spill_count: 0
    .wavefront_size: 64
  - .agpr_count:     0
    .args:
      - .offset:         0
        .size:           1
        .value_kind:     by_value
      - .offset:         1
        .size:           1
        .value_kind:     by_value
      - .offset:         4
        .size:           4
        .value_kind:     by_value
      - .offset:         8
        .size:           8
        .value_kind:     by_value
      - .address_space:  global
        .offset:         16
        .size:           8
        .value_kind:     global_buffer
      - .address_space:  global
        .offset:         24
        .size:           8
        .value_kind:     global_buffer
      - .actual_access:  read_only
        .address_space:  global
        .offset:         32
        .size:           8
        .value_kind:     global_buffer
      - .actual_access:  read_only
        .address_space:  global
        .offset:         40
        .size:           8
        .value_kind:     global_buffer
      - .actual_access:  read_only
        .address_space:  global
        .offset:         48
        .size:           8
        .value_kind:     global_buffer
      - .address_space:  global
        .offset:         56
        .size:           8
        .value_kind:     global_buffer
      - .offset:         64
        .size:           4
        .value_kind:     by_value
      - .offset:         68
        .size:           1
        .value_kind:     by_value
      - .offset:         72
        .size:           4
        .value_kind:     hidden_block_count_x
      - .offset:         76
        .size:           4
        .value_kind:     hidden_block_count_y
      - .offset:         80
        .size:           4
        .value_kind:     hidden_block_count_z
      - .offset:         84
        .size:           2
        .value_kind:     hidden_group_size_x
      - .offset:         86
        .size:           2
        .value_kind:     hidden_group_size_y
      - .offset:         88
        .size:           2
        .value_kind:     hidden_group_size_z
      - .offset:         90
        .size:           2
        .value_kind:     hidden_remainder_x
      - .offset:         92
        .size:           2
        .value_kind:     hidden_remainder_y
      - .offset:         94
        .size:           2
        .value_kind:     hidden_remainder_z
      - .offset:         112
        .size:           8
        .value_kind:     hidden_global_offset_x
      - .offset:         120
        .size:           8
        .value_kind:     hidden_global_offset_y
      - .offset:         128
        .size:           8
        .value_kind:     hidden_global_offset_z
      - .offset:         136
        .size:           2
        .value_kind:     hidden_grid_dims
    .group_segment_fixed_size: 0
    .kernarg_segment_align: 8
    .kernarg_segment_size: 328
    .language:       OpenCL C
    .language_version:
      - 2
      - 0
    .max_flat_workgroup_size: 256
    .name:           _ZN9rocsparseL21csrmvt_general_kernelILj256ELj8EliffffEEvbbT2_NS_24const_host_device_scalarIT6_EEPKT1_S7_PKS1_PKT3_PKT4_PT5_21rocsparse_index_base_b
    .private_segment_fixed_size: 0
    .sgpr_count:     34
    .sgpr_spill_count: 0
    .symbol:         _ZN9rocsparseL21csrmvt_general_kernelILj256ELj8EliffffEEvbbT2_NS_24const_host_device_scalarIT6_EEPKT1_S7_PKS1_PKT3_PKT4_PT5_21rocsparse_index_base_b.kd
    .uniform_work_group_size: 1
    .uses_dynamic_stack: false
    .vgpr_count:     19
    .vgpr_spill_count: 0
    .wavefront_size: 64
  - .agpr_count:     0
    .args:
      - .offset:         0
        .size:           1
        .value_kind:     by_value
      - .offset:         1
        .size:           1
        .value_kind:     by_value
      - .offset:         4
        .size:           4
        .value_kind:     by_value
      - .offset:         8
        .size:           8
        .value_kind:     by_value
      - .address_space:  global
        .offset:         16
        .size:           8
        .value_kind:     global_buffer
      - .address_space:  global
        .offset:         24
        .size:           8
        .value_kind:     global_buffer
      - .actual_access:  read_only
        .address_space:  global
        .offset:         32
        .size:           8
        .value_kind:     global_buffer
      - .actual_access:  read_only
        .address_space:  global
        .offset:         40
        .size:           8
        .value_kind:     global_buffer
      - .actual_access:  read_only
        .address_space:  global
        .offset:         48
        .size:           8
        .value_kind:     global_buffer
      - .address_space:  global
        .offset:         56
        .size:           8
        .value_kind:     global_buffer
      - .offset:         64
        .size:           4
        .value_kind:     by_value
      - .offset:         68
        .size:           1
        .value_kind:     by_value
      - .offset:         72
        .size:           4
        .value_kind:     hidden_block_count_x
      - .offset:         76
        .size:           4
        .value_kind:     hidden_block_count_y
      - .offset:         80
        .size:           4
        .value_kind:     hidden_block_count_z
      - .offset:         84
        .size:           2
        .value_kind:     hidden_group_size_x
      - .offset:         86
        .size:           2
        .value_kind:     hidden_group_size_y
      - .offset:         88
        .size:           2
        .value_kind:     hidden_group_size_z
      - .offset:         90
        .size:           2
        .value_kind:     hidden_remainder_x
      - .offset:         92
        .size:           2
        .value_kind:     hidden_remainder_y
      - .offset:         94
        .size:           2
        .value_kind:     hidden_remainder_z
      - .offset:         112
        .size:           8
        .value_kind:     hidden_global_offset_x
      - .offset:         120
        .size:           8
        .value_kind:     hidden_global_offset_y
      - .offset:         128
        .size:           8
        .value_kind:     hidden_global_offset_z
      - .offset:         136
        .size:           2
        .value_kind:     hidden_grid_dims
    .group_segment_fixed_size: 0
    .kernarg_segment_align: 8
    .kernarg_segment_size: 328
    .language:       OpenCL C
    .language_version:
      - 2
      - 0
    .max_flat_workgroup_size: 256
    .name:           _ZN9rocsparseL21csrmvt_general_kernelILj256ELj16EliffffEEvbbT2_NS_24const_host_device_scalarIT6_EEPKT1_S7_PKS1_PKT3_PKT4_PT5_21rocsparse_index_base_b
    .private_segment_fixed_size: 0
    .sgpr_count:     34
    .sgpr_spill_count: 0
    .symbol:         _ZN9rocsparseL21csrmvt_general_kernelILj256ELj16EliffffEEvbbT2_NS_24const_host_device_scalarIT6_EEPKT1_S7_PKS1_PKT3_PKT4_PT5_21rocsparse_index_base_b.kd
    .uniform_work_group_size: 1
    .uses_dynamic_stack: false
    .vgpr_count:     19
    .vgpr_spill_count: 0
    .wavefront_size: 64
  - .agpr_count:     0
    .args:
      - .offset:         0
        .size:           1
        .value_kind:     by_value
      - .offset:         1
        .size:           1
        .value_kind:     by_value
      - .offset:         4
        .size:           4
        .value_kind:     by_value
      - .offset:         8
        .size:           8
        .value_kind:     by_value
      - .address_space:  global
        .offset:         16
        .size:           8
        .value_kind:     global_buffer
      - .address_space:  global
        .offset:         24
        .size:           8
        .value_kind:     global_buffer
      - .actual_access:  read_only
        .address_space:  global
        .offset:         32
        .size:           8
        .value_kind:     global_buffer
      - .actual_access:  read_only
        .address_space:  global
        .offset:         40
        .size:           8
        .value_kind:     global_buffer
      - .actual_access:  read_only
        .address_space:  global
        .offset:         48
        .size:           8
        .value_kind:     global_buffer
      - .address_space:  global
        .offset:         56
        .size:           8
        .value_kind:     global_buffer
      - .offset:         64
        .size:           4
        .value_kind:     by_value
      - .offset:         68
        .size:           1
        .value_kind:     by_value
      - .offset:         72
        .size:           4
        .value_kind:     hidden_block_count_x
      - .offset:         76
        .size:           4
        .value_kind:     hidden_block_count_y
      - .offset:         80
        .size:           4
        .value_kind:     hidden_block_count_z
      - .offset:         84
        .size:           2
        .value_kind:     hidden_group_size_x
      - .offset:         86
        .size:           2
        .value_kind:     hidden_group_size_y
      - .offset:         88
        .size:           2
        .value_kind:     hidden_group_size_z
      - .offset:         90
        .size:           2
        .value_kind:     hidden_remainder_x
      - .offset:         92
        .size:           2
        .value_kind:     hidden_remainder_y
      - .offset:         94
        .size:           2
        .value_kind:     hidden_remainder_z
      - .offset:         112
        .size:           8
        .value_kind:     hidden_global_offset_x
      - .offset:         120
        .size:           8
        .value_kind:     hidden_global_offset_y
      - .offset:         128
        .size:           8
        .value_kind:     hidden_global_offset_z
      - .offset:         136
        .size:           2
        .value_kind:     hidden_grid_dims
    .group_segment_fixed_size: 0
    .kernarg_segment_align: 8
    .kernarg_segment_size: 328
    .language:       OpenCL C
    .language_version:
      - 2
      - 0
    .max_flat_workgroup_size: 256
    .name:           _ZN9rocsparseL21csrmvt_general_kernelILj256ELj32EliffffEEvbbT2_NS_24const_host_device_scalarIT6_EEPKT1_S7_PKS1_PKT3_PKT4_PT5_21rocsparse_index_base_b
    .private_segment_fixed_size: 0
    .sgpr_count:     34
    .sgpr_spill_count: 0
    .symbol:         _ZN9rocsparseL21csrmvt_general_kernelILj256ELj32EliffffEEvbbT2_NS_24const_host_device_scalarIT6_EEPKT1_S7_PKS1_PKT3_PKT4_PT5_21rocsparse_index_base_b.kd
    .uniform_work_group_size: 1
    .uses_dynamic_stack: false
    .vgpr_count:     19
    .vgpr_spill_count: 0
    .wavefront_size: 64
  - .agpr_count:     0
    .args:
      - .offset:         0
        .size:           1
        .value_kind:     by_value
      - .offset:         1
        .size:           1
        .value_kind:     by_value
      - .offset:         4
        .size:           4
        .value_kind:     by_value
      - .offset:         8
        .size:           8
        .value_kind:     by_value
      - .address_space:  global
        .offset:         16
        .size:           8
        .value_kind:     global_buffer
      - .address_space:  global
        .offset:         24
        .size:           8
        .value_kind:     global_buffer
      - .actual_access:  read_only
        .address_space:  global
        .offset:         32
        .size:           8
        .value_kind:     global_buffer
      - .actual_access:  read_only
        .address_space:  global
        .offset:         40
        .size:           8
        .value_kind:     global_buffer
      - .actual_access:  read_only
        .address_space:  global
        .offset:         48
        .size:           8
        .value_kind:     global_buffer
      - .address_space:  global
        .offset:         56
        .size:           8
        .value_kind:     global_buffer
      - .offset:         64
        .size:           4
        .value_kind:     by_value
      - .offset:         68
        .size:           1
        .value_kind:     by_value
      - .offset:         72
        .size:           4
        .value_kind:     hidden_block_count_x
      - .offset:         76
        .size:           4
        .value_kind:     hidden_block_count_y
      - .offset:         80
        .size:           4
        .value_kind:     hidden_block_count_z
      - .offset:         84
        .size:           2
        .value_kind:     hidden_group_size_x
      - .offset:         86
        .size:           2
        .value_kind:     hidden_group_size_y
      - .offset:         88
        .size:           2
        .value_kind:     hidden_group_size_z
      - .offset:         90
        .size:           2
        .value_kind:     hidden_remainder_x
      - .offset:         92
        .size:           2
        .value_kind:     hidden_remainder_y
      - .offset:         94
        .size:           2
        .value_kind:     hidden_remainder_z
      - .offset:         112
        .size:           8
        .value_kind:     hidden_global_offset_x
      - .offset:         120
        .size:           8
        .value_kind:     hidden_global_offset_y
      - .offset:         128
        .size:           8
        .value_kind:     hidden_global_offset_z
      - .offset:         136
        .size:           2
        .value_kind:     hidden_grid_dims
    .group_segment_fixed_size: 0
    .kernarg_segment_align: 8
    .kernarg_segment_size: 328
    .language:       OpenCL C
    .language_version:
      - 2
      - 0
    .max_flat_workgroup_size: 256
    .name:           _ZN9rocsparseL21csrmvt_general_kernelILj256ELj64EliffffEEvbbT2_NS_24const_host_device_scalarIT6_EEPKT1_S7_PKS1_PKT3_PKT4_PT5_21rocsparse_index_base_b
    .private_segment_fixed_size: 0
    .sgpr_count:     34
    .sgpr_spill_count: 0
    .symbol:         _ZN9rocsparseL21csrmvt_general_kernelILj256ELj64EliffffEEvbbT2_NS_24const_host_device_scalarIT6_EEPKT1_S7_PKS1_PKT3_PKT4_PT5_21rocsparse_index_base_b.kd
    .uniform_work_group_size: 1
    .uses_dynamic_stack: false
    .vgpr_count:     19
    .vgpr_spill_count: 0
    .wavefront_size: 64
  - .agpr_count:     0
    .args:
      - .offset:         0
        .size:           1
        .value_kind:     by_value
      - .offset:         8
        .size:           8
        .value_kind:     by_value
      - .offset:         16
        .size:           8
        .value_kind:     by_value
      - .address_space:  global
        .offset:         24
        .size:           8
        .value_kind:     global_buffer
      - .address_space:  global
        .offset:         32
        .size:           8
        .value_kind:     global_buffer
      - .actual_access:  read_only
        .address_space:  global
        .offset:         40
        .size:           8
        .value_kind:     global_buffer
      - .actual_access:  read_only
        .address_space:  global
        .offset:         48
        .size:           8
        .value_kind:     global_buffer
      - .actual_access:  read_only
        .address_space:  global
        .offset:         56
        .size:           8
        .value_kind:     global_buffer
      - .offset:         64
        .size:           8
        .value_kind:     by_value
      - .address_space:  global
        .offset:         72
        .size:           8
        .value_kind:     global_buffer
      - .offset:         80
        .size:           4
        .value_kind:     by_value
      - .offset:         84
        .size:           1
        .value_kind:     by_value
      - .offset:         88
        .size:           4
        .value_kind:     hidden_block_count_x
      - .offset:         92
        .size:           4
        .value_kind:     hidden_block_count_y
      - .offset:         96
        .size:           4
        .value_kind:     hidden_block_count_z
      - .offset:         100
        .size:           2
        .value_kind:     hidden_group_size_x
      - .offset:         102
        .size:           2
        .value_kind:     hidden_group_size_y
      - .offset:         104
        .size:           2
        .value_kind:     hidden_group_size_z
      - .offset:         106
        .size:           2
        .value_kind:     hidden_remainder_x
      - .offset:         108
        .size:           2
        .value_kind:     hidden_remainder_y
      - .offset:         110
        .size:           2
        .value_kind:     hidden_remainder_z
      - .offset:         128
        .size:           8
        .value_kind:     hidden_global_offset_x
      - .offset:         136
        .size:           8
        .value_kind:     hidden_global_offset_y
      - .offset:         144
        .size:           8
        .value_kind:     hidden_global_offset_z
      - .offset:         152
        .size:           2
        .value_kind:     hidden_grid_dims
    .group_segment_fixed_size: 0
    .kernarg_segment_align: 8
    .kernarg_segment_size: 344
    .language:       OpenCL C
    .language_version:
      - 2
      - 0
    .max_flat_workgroup_size: 256
    .name:           _ZN9rocsparseL21csrmvn_general_kernelILj256ELj2EllffffEEvbT2_NS_24const_host_device_scalarIT6_EEPKT1_S7_PKS1_PKT3_PKT4_S4_PT5_21rocsparse_index_base_b
    .private_segment_fixed_size: 0
    .sgpr_count:     32
    .sgpr_spill_count: 0
    .symbol:         _ZN9rocsparseL21csrmvn_general_kernelILj256ELj2EllffffEEvbT2_NS_24const_host_device_scalarIT6_EEPKT1_S7_PKS1_PKT3_PKT4_S4_PT5_21rocsparse_index_base_b.kd
    .uniform_work_group_size: 1
    .uses_dynamic_stack: false
    .vgpr_count:     21
    .vgpr_spill_count: 0
    .wavefront_size: 64
  - .agpr_count:     0
    .args:
      - .offset:         0
        .size:           1
        .value_kind:     by_value
      - .offset:         8
        .size:           8
        .value_kind:     by_value
      - .offset:         16
        .size:           8
        .value_kind:     by_value
      - .address_space:  global
        .offset:         24
        .size:           8
        .value_kind:     global_buffer
      - .address_space:  global
        .offset:         32
        .size:           8
        .value_kind:     global_buffer
      - .actual_access:  read_only
        .address_space:  global
        .offset:         40
        .size:           8
        .value_kind:     global_buffer
      - .actual_access:  read_only
        .address_space:  global
        .offset:         48
        .size:           8
        .value_kind:     global_buffer
      - .actual_access:  read_only
        .address_space:  global
        .offset:         56
        .size:           8
        .value_kind:     global_buffer
      - .offset:         64
        .size:           8
        .value_kind:     by_value
      - .address_space:  global
        .offset:         72
        .size:           8
        .value_kind:     global_buffer
      - .offset:         80
        .size:           4
        .value_kind:     by_value
      - .offset:         84
        .size:           1
        .value_kind:     by_value
      - .offset:         88
        .size:           4
        .value_kind:     hidden_block_count_x
      - .offset:         92
        .size:           4
        .value_kind:     hidden_block_count_y
      - .offset:         96
        .size:           4
        .value_kind:     hidden_block_count_z
      - .offset:         100
        .size:           2
        .value_kind:     hidden_group_size_x
      - .offset:         102
        .size:           2
        .value_kind:     hidden_group_size_y
      - .offset:         104
        .size:           2
        .value_kind:     hidden_group_size_z
      - .offset:         106
        .size:           2
        .value_kind:     hidden_remainder_x
      - .offset:         108
        .size:           2
        .value_kind:     hidden_remainder_y
      - .offset:         110
        .size:           2
        .value_kind:     hidden_remainder_z
      - .offset:         128
        .size:           8
        .value_kind:     hidden_global_offset_x
      - .offset:         136
        .size:           8
        .value_kind:     hidden_global_offset_y
      - .offset:         144
        .size:           8
        .value_kind:     hidden_global_offset_z
      - .offset:         152
        .size:           2
        .value_kind:     hidden_grid_dims
    .group_segment_fixed_size: 0
    .kernarg_segment_align: 8
    .kernarg_segment_size: 344
    .language:       OpenCL C
    .language_version:
      - 2
      - 0
    .max_flat_workgroup_size: 256
    .name:           _ZN9rocsparseL21csrmvn_general_kernelILj256ELj4EllffffEEvbT2_NS_24const_host_device_scalarIT6_EEPKT1_S7_PKS1_PKT3_PKT4_S4_PT5_21rocsparse_index_base_b
    .private_segment_fixed_size: 0
    .sgpr_count:     32
    .sgpr_spill_count: 0
    .symbol:         _ZN9rocsparseL21csrmvn_general_kernelILj256ELj4EllffffEEvbT2_NS_24const_host_device_scalarIT6_EEPKT1_S7_PKS1_PKT3_PKT4_S4_PT5_21rocsparse_index_base_b.kd
    .uniform_work_group_size: 1
    .uses_dynamic_stack: false
    .vgpr_count:     20
    .vgpr_spill_count: 0
    .wavefront_size: 64
  - .agpr_count:     0
    .args:
      - .offset:         0
        .size:           1
        .value_kind:     by_value
      - .offset:         8
        .size:           8
        .value_kind:     by_value
      - .offset:         16
        .size:           8
        .value_kind:     by_value
      - .address_space:  global
        .offset:         24
        .size:           8
        .value_kind:     global_buffer
      - .address_space:  global
        .offset:         32
        .size:           8
        .value_kind:     global_buffer
      - .actual_access:  read_only
        .address_space:  global
        .offset:         40
        .size:           8
        .value_kind:     global_buffer
      - .actual_access:  read_only
        .address_space:  global
        .offset:         48
        .size:           8
        .value_kind:     global_buffer
      - .actual_access:  read_only
        .address_space:  global
        .offset:         56
        .size:           8
        .value_kind:     global_buffer
      - .offset:         64
        .size:           8
        .value_kind:     by_value
      - .address_space:  global
        .offset:         72
        .size:           8
        .value_kind:     global_buffer
      - .offset:         80
        .size:           4
        .value_kind:     by_value
      - .offset:         84
        .size:           1
        .value_kind:     by_value
      - .offset:         88
        .size:           4
        .value_kind:     hidden_block_count_x
      - .offset:         92
        .size:           4
        .value_kind:     hidden_block_count_y
      - .offset:         96
        .size:           4
        .value_kind:     hidden_block_count_z
      - .offset:         100
        .size:           2
        .value_kind:     hidden_group_size_x
      - .offset:         102
        .size:           2
        .value_kind:     hidden_group_size_y
      - .offset:         104
        .size:           2
        .value_kind:     hidden_group_size_z
      - .offset:         106
        .size:           2
        .value_kind:     hidden_remainder_x
      - .offset:         108
        .size:           2
        .value_kind:     hidden_remainder_y
      - .offset:         110
        .size:           2
        .value_kind:     hidden_remainder_z
      - .offset:         128
        .size:           8
        .value_kind:     hidden_global_offset_x
      - .offset:         136
        .size:           8
        .value_kind:     hidden_global_offset_y
      - .offset:         144
        .size:           8
        .value_kind:     hidden_global_offset_z
      - .offset:         152
        .size:           2
        .value_kind:     hidden_grid_dims
    .group_segment_fixed_size: 0
    .kernarg_segment_align: 8
    .kernarg_segment_size: 344
    .language:       OpenCL C
    .language_version:
      - 2
      - 0
    .max_flat_workgroup_size: 256
    .name:           _ZN9rocsparseL21csrmvn_general_kernelILj256ELj8EllffffEEvbT2_NS_24const_host_device_scalarIT6_EEPKT1_S7_PKS1_PKT3_PKT4_S4_PT5_21rocsparse_index_base_b
    .private_segment_fixed_size: 0
    .sgpr_count:     32
    .sgpr_spill_count: 0
    .symbol:         _ZN9rocsparseL21csrmvn_general_kernelILj256ELj8EllffffEEvbT2_NS_24const_host_device_scalarIT6_EEPKT1_S7_PKS1_PKT3_PKT4_S4_PT5_21rocsparse_index_base_b.kd
    .uniform_work_group_size: 1
    .uses_dynamic_stack: false
    .vgpr_count:     20
    .vgpr_spill_count: 0
    .wavefront_size: 64
  - .agpr_count:     0
    .args:
      - .offset:         0
        .size:           1
        .value_kind:     by_value
      - .offset:         8
        .size:           8
        .value_kind:     by_value
      - .offset:         16
        .size:           8
        .value_kind:     by_value
      - .address_space:  global
        .offset:         24
        .size:           8
        .value_kind:     global_buffer
      - .address_space:  global
        .offset:         32
        .size:           8
        .value_kind:     global_buffer
      - .actual_access:  read_only
        .address_space:  global
        .offset:         40
        .size:           8
        .value_kind:     global_buffer
      - .actual_access:  read_only
        .address_space:  global
        .offset:         48
        .size:           8
        .value_kind:     global_buffer
      - .actual_access:  read_only
        .address_space:  global
        .offset:         56
        .size:           8
        .value_kind:     global_buffer
      - .offset:         64
        .size:           8
        .value_kind:     by_value
      - .address_space:  global
        .offset:         72
        .size:           8
        .value_kind:     global_buffer
      - .offset:         80
        .size:           4
        .value_kind:     by_value
      - .offset:         84
        .size:           1
        .value_kind:     by_value
      - .offset:         88
        .size:           4
        .value_kind:     hidden_block_count_x
      - .offset:         92
        .size:           4
        .value_kind:     hidden_block_count_y
      - .offset:         96
        .size:           4
        .value_kind:     hidden_block_count_z
      - .offset:         100
        .size:           2
        .value_kind:     hidden_group_size_x
      - .offset:         102
        .size:           2
        .value_kind:     hidden_group_size_y
      - .offset:         104
        .size:           2
        .value_kind:     hidden_group_size_z
      - .offset:         106
        .size:           2
        .value_kind:     hidden_remainder_x
      - .offset:         108
        .size:           2
        .value_kind:     hidden_remainder_y
      - .offset:         110
        .size:           2
        .value_kind:     hidden_remainder_z
      - .offset:         128
        .size:           8
        .value_kind:     hidden_global_offset_x
      - .offset:         136
        .size:           8
        .value_kind:     hidden_global_offset_y
      - .offset:         144
        .size:           8
        .value_kind:     hidden_global_offset_z
      - .offset:         152
        .size:           2
        .value_kind:     hidden_grid_dims
    .group_segment_fixed_size: 0
    .kernarg_segment_align: 8
    .kernarg_segment_size: 344
    .language:       OpenCL C
    .language_version:
      - 2
      - 0
    .max_flat_workgroup_size: 256
    .name:           _ZN9rocsparseL21csrmvn_general_kernelILj256ELj16EllffffEEvbT2_NS_24const_host_device_scalarIT6_EEPKT1_S7_PKS1_PKT3_PKT4_S4_PT5_21rocsparse_index_base_b
    .private_segment_fixed_size: 0
    .sgpr_count:     32
    .sgpr_spill_count: 0
    .symbol:         _ZN9rocsparseL21csrmvn_general_kernelILj256ELj16EllffffEEvbT2_NS_24const_host_device_scalarIT6_EEPKT1_S7_PKS1_PKT3_PKT4_S4_PT5_21rocsparse_index_base_b.kd
    .uniform_work_group_size: 1
    .uses_dynamic_stack: false
    .vgpr_count:     20
    .vgpr_spill_count: 0
    .wavefront_size: 64
  - .agpr_count:     0
    .args:
      - .offset:         0
        .size:           1
        .value_kind:     by_value
      - .offset:         8
        .size:           8
        .value_kind:     by_value
      - .offset:         16
        .size:           8
        .value_kind:     by_value
      - .address_space:  global
        .offset:         24
        .size:           8
        .value_kind:     global_buffer
      - .address_space:  global
        .offset:         32
        .size:           8
        .value_kind:     global_buffer
      - .actual_access:  read_only
        .address_space:  global
        .offset:         40
        .size:           8
        .value_kind:     global_buffer
      - .actual_access:  read_only
        .address_space:  global
        .offset:         48
        .size:           8
        .value_kind:     global_buffer
      - .actual_access:  read_only
        .address_space:  global
        .offset:         56
        .size:           8
        .value_kind:     global_buffer
      - .offset:         64
        .size:           8
        .value_kind:     by_value
      - .address_space:  global
        .offset:         72
        .size:           8
        .value_kind:     global_buffer
      - .offset:         80
        .size:           4
        .value_kind:     by_value
      - .offset:         84
        .size:           1
        .value_kind:     by_value
      - .offset:         88
        .size:           4
        .value_kind:     hidden_block_count_x
      - .offset:         92
        .size:           4
        .value_kind:     hidden_block_count_y
      - .offset:         96
        .size:           4
        .value_kind:     hidden_block_count_z
      - .offset:         100
        .size:           2
        .value_kind:     hidden_group_size_x
      - .offset:         102
        .size:           2
        .value_kind:     hidden_group_size_y
      - .offset:         104
        .size:           2
        .value_kind:     hidden_group_size_z
      - .offset:         106
        .size:           2
        .value_kind:     hidden_remainder_x
      - .offset:         108
        .size:           2
        .value_kind:     hidden_remainder_y
      - .offset:         110
        .size:           2
        .value_kind:     hidden_remainder_z
      - .offset:         128
        .size:           8
        .value_kind:     hidden_global_offset_x
      - .offset:         136
        .size:           8
        .value_kind:     hidden_global_offset_y
      - .offset:         144
        .size:           8
        .value_kind:     hidden_global_offset_z
      - .offset:         152
        .size:           2
        .value_kind:     hidden_grid_dims
    .group_segment_fixed_size: 0
    .kernarg_segment_align: 8
    .kernarg_segment_size: 344
    .language:       OpenCL C
    .language_version:
      - 2
      - 0
    .max_flat_workgroup_size: 256
    .name:           _ZN9rocsparseL21csrmvn_general_kernelILj256ELj32EllffffEEvbT2_NS_24const_host_device_scalarIT6_EEPKT1_S7_PKS1_PKT3_PKT4_S4_PT5_21rocsparse_index_base_b
    .private_segment_fixed_size: 0
    .sgpr_count:     34
    .sgpr_spill_count: 0
    .symbol:         _ZN9rocsparseL21csrmvn_general_kernelILj256ELj32EllffffEEvbT2_NS_24const_host_device_scalarIT6_EEPKT1_S7_PKS1_PKT3_PKT4_S4_PT5_21rocsparse_index_base_b.kd
    .uniform_work_group_size: 1
    .uses_dynamic_stack: false
    .vgpr_count:     20
    .vgpr_spill_count: 0
    .wavefront_size: 64
  - .agpr_count:     0
    .args:
      - .offset:         0
        .size:           1
        .value_kind:     by_value
      - .offset:         8
        .size:           8
        .value_kind:     by_value
      - .offset:         16
        .size:           8
        .value_kind:     by_value
      - .address_space:  global
        .offset:         24
        .size:           8
        .value_kind:     global_buffer
      - .address_space:  global
        .offset:         32
        .size:           8
        .value_kind:     global_buffer
      - .actual_access:  read_only
        .address_space:  global
        .offset:         40
        .size:           8
        .value_kind:     global_buffer
      - .actual_access:  read_only
        .address_space:  global
        .offset:         48
        .size:           8
        .value_kind:     global_buffer
      - .actual_access:  read_only
        .address_space:  global
        .offset:         56
        .size:           8
        .value_kind:     global_buffer
      - .offset:         64
        .size:           8
        .value_kind:     by_value
      - .address_space:  global
        .offset:         72
        .size:           8
        .value_kind:     global_buffer
      - .offset:         80
        .size:           4
        .value_kind:     by_value
      - .offset:         84
        .size:           1
        .value_kind:     by_value
      - .offset:         88
        .size:           4
        .value_kind:     hidden_block_count_x
      - .offset:         92
        .size:           4
        .value_kind:     hidden_block_count_y
      - .offset:         96
        .size:           4
        .value_kind:     hidden_block_count_z
      - .offset:         100
        .size:           2
        .value_kind:     hidden_group_size_x
      - .offset:         102
        .size:           2
        .value_kind:     hidden_group_size_y
      - .offset:         104
        .size:           2
        .value_kind:     hidden_group_size_z
      - .offset:         106
        .size:           2
        .value_kind:     hidden_remainder_x
      - .offset:         108
        .size:           2
        .value_kind:     hidden_remainder_y
      - .offset:         110
        .size:           2
        .value_kind:     hidden_remainder_z
      - .offset:         128
        .size:           8
        .value_kind:     hidden_global_offset_x
      - .offset:         136
        .size:           8
        .value_kind:     hidden_global_offset_y
      - .offset:         144
        .size:           8
        .value_kind:     hidden_global_offset_z
      - .offset:         152
        .size:           2
        .value_kind:     hidden_grid_dims
    .group_segment_fixed_size: 0
    .kernarg_segment_align: 8
    .kernarg_segment_size: 344
    .language:       OpenCL C
    .language_version:
      - 2
      - 0
    .max_flat_workgroup_size: 256
    .name:           _ZN9rocsparseL21csrmvn_general_kernelILj256ELj64EllffffEEvbT2_NS_24const_host_device_scalarIT6_EEPKT1_S7_PKS1_PKT3_PKT4_S4_PT5_21rocsparse_index_base_b
    .private_segment_fixed_size: 0
    .sgpr_count:     34
    .sgpr_spill_count: 0
    .symbol:         _ZN9rocsparseL21csrmvn_general_kernelILj256ELj64EllffffEEvbT2_NS_24const_host_device_scalarIT6_EEPKT1_S7_PKS1_PKT3_PKT4_S4_PT5_21rocsparse_index_base_b.kd
    .uniform_work_group_size: 1
    .uses_dynamic_stack: false
    .vgpr_count:     20
    .vgpr_spill_count: 0
    .wavefront_size: 64
  - .agpr_count:     0
    .args:
      - .offset:         0
        .size:           1
        .value_kind:     by_value
      - .offset:         1
        .size:           1
        .value_kind:     by_value
      - .offset:         8
        .size:           8
        .value_kind:     by_value
      - .offset:         16
        .size:           8
        .value_kind:     by_value
      - .address_space:  global
        .offset:         24
        .size:           8
        .value_kind:     global_buffer
      - .address_space:  global
        .offset:         32
        .size:           8
        .value_kind:     global_buffer
      - .actual_access:  read_only
        .address_space:  global
        .offset:         40
        .size:           8
        .value_kind:     global_buffer
      - .actual_access:  read_only
        .address_space:  global
        .offset:         48
        .size:           8
        .value_kind:     global_buffer
      - .actual_access:  read_only
        .address_space:  global
        .offset:         56
        .size:           8
        .value_kind:     global_buffer
      - .address_space:  global
        .offset:         64
        .size:           8
        .value_kind:     global_buffer
      - .offset:         72
        .size:           4
        .value_kind:     by_value
      - .offset:         76
        .size:           1
        .value_kind:     by_value
      - .offset:         80
        .size:           4
        .value_kind:     hidden_block_count_x
      - .offset:         84
        .size:           4
        .value_kind:     hidden_block_count_y
      - .offset:         88
        .size:           4
        .value_kind:     hidden_block_count_z
      - .offset:         92
        .size:           2
        .value_kind:     hidden_group_size_x
      - .offset:         94
        .size:           2
        .value_kind:     hidden_group_size_y
      - .offset:         96
        .size:           2
        .value_kind:     hidden_group_size_z
      - .offset:         98
        .size:           2
        .value_kind:     hidden_remainder_x
      - .offset:         100
        .size:           2
        .value_kind:     hidden_remainder_y
      - .offset:         102
        .size:           2
        .value_kind:     hidden_remainder_z
      - .offset:         120
        .size:           8
        .value_kind:     hidden_global_offset_x
      - .offset:         128
        .size:           8
        .value_kind:     hidden_global_offset_y
      - .offset:         136
        .size:           8
        .value_kind:     hidden_global_offset_z
      - .offset:         144
        .size:           2
        .value_kind:     hidden_grid_dims
    .group_segment_fixed_size: 0
    .kernarg_segment_align: 8
    .kernarg_segment_size: 336
    .language:       OpenCL C
    .language_version:
      - 2
      - 0
    .max_flat_workgroup_size: 256
    .name:           _ZN9rocsparseL21csrmvt_general_kernelILj256ELj4EllffffEEvbbT2_NS_24const_host_device_scalarIT6_EEPKT1_S7_PKS1_PKT3_PKT4_PT5_21rocsparse_index_base_b
    .private_segment_fixed_size: 0
    .sgpr_count:     34
    .sgpr_spill_count: 0
    .symbol:         _ZN9rocsparseL21csrmvt_general_kernelILj256ELj4EllffffEEvbbT2_NS_24const_host_device_scalarIT6_EEPKT1_S7_PKS1_PKT3_PKT4_PT5_21rocsparse_index_base_b.kd
    .uniform_work_group_size: 1
    .uses_dynamic_stack: false
    .vgpr_count:     21
    .vgpr_spill_count: 0
    .wavefront_size: 64
  - .agpr_count:     0
    .args:
      - .offset:         0
        .size:           1
        .value_kind:     by_value
      - .offset:         1
        .size:           1
        .value_kind:     by_value
      - .offset:         8
        .size:           8
        .value_kind:     by_value
      - .offset:         16
        .size:           8
        .value_kind:     by_value
      - .address_space:  global
        .offset:         24
        .size:           8
        .value_kind:     global_buffer
      - .address_space:  global
        .offset:         32
        .size:           8
        .value_kind:     global_buffer
      - .actual_access:  read_only
        .address_space:  global
        .offset:         40
        .size:           8
        .value_kind:     global_buffer
      - .actual_access:  read_only
        .address_space:  global
        .offset:         48
        .size:           8
        .value_kind:     global_buffer
      - .actual_access:  read_only
        .address_space:  global
        .offset:         56
        .size:           8
        .value_kind:     global_buffer
      - .address_space:  global
        .offset:         64
        .size:           8
        .value_kind:     global_buffer
      - .offset:         72
        .size:           4
        .value_kind:     by_value
      - .offset:         76
        .size:           1
        .value_kind:     by_value
      - .offset:         80
        .size:           4
        .value_kind:     hidden_block_count_x
      - .offset:         84
        .size:           4
        .value_kind:     hidden_block_count_y
      - .offset:         88
        .size:           4
        .value_kind:     hidden_block_count_z
      - .offset:         92
        .size:           2
        .value_kind:     hidden_group_size_x
      - .offset:         94
        .size:           2
        .value_kind:     hidden_group_size_y
      - .offset:         96
        .size:           2
        .value_kind:     hidden_group_size_z
      - .offset:         98
        .size:           2
        .value_kind:     hidden_remainder_x
      - .offset:         100
        .size:           2
        .value_kind:     hidden_remainder_y
      - .offset:         102
        .size:           2
        .value_kind:     hidden_remainder_z
      - .offset:         120
        .size:           8
        .value_kind:     hidden_global_offset_x
      - .offset:         128
        .size:           8
        .value_kind:     hidden_global_offset_y
      - .offset:         136
        .size:           8
        .value_kind:     hidden_global_offset_z
      - .offset:         144
        .size:           2
        .value_kind:     hidden_grid_dims
    .group_segment_fixed_size: 0
    .kernarg_segment_align: 8
    .kernarg_segment_size: 336
    .language:       OpenCL C
    .language_version:
      - 2
      - 0
    .max_flat_workgroup_size: 256
    .name:           _ZN9rocsparseL21csrmvt_general_kernelILj256ELj8EllffffEEvbbT2_NS_24const_host_device_scalarIT6_EEPKT1_S7_PKS1_PKT3_PKT4_PT5_21rocsparse_index_base_b
    .private_segment_fixed_size: 0
    .sgpr_count:     34
    .sgpr_spill_count: 0
    .symbol:         _ZN9rocsparseL21csrmvt_general_kernelILj256ELj8EllffffEEvbbT2_NS_24const_host_device_scalarIT6_EEPKT1_S7_PKS1_PKT3_PKT4_PT5_21rocsparse_index_base_b.kd
    .uniform_work_group_size: 1
    .uses_dynamic_stack: false
    .vgpr_count:     21
    .vgpr_spill_count: 0
    .wavefront_size: 64
  - .agpr_count:     0
    .args:
      - .offset:         0
        .size:           1
        .value_kind:     by_value
      - .offset:         1
        .size:           1
        .value_kind:     by_value
      - .offset:         8
        .size:           8
        .value_kind:     by_value
      - .offset:         16
        .size:           8
        .value_kind:     by_value
      - .address_space:  global
        .offset:         24
        .size:           8
        .value_kind:     global_buffer
      - .address_space:  global
        .offset:         32
        .size:           8
        .value_kind:     global_buffer
      - .actual_access:  read_only
        .address_space:  global
        .offset:         40
        .size:           8
        .value_kind:     global_buffer
      - .actual_access:  read_only
        .address_space:  global
        .offset:         48
        .size:           8
        .value_kind:     global_buffer
      - .actual_access:  read_only
        .address_space:  global
        .offset:         56
        .size:           8
        .value_kind:     global_buffer
      - .address_space:  global
        .offset:         64
        .size:           8
        .value_kind:     global_buffer
      - .offset:         72
        .size:           4
        .value_kind:     by_value
      - .offset:         76
        .size:           1
        .value_kind:     by_value
      - .offset:         80
        .size:           4
        .value_kind:     hidden_block_count_x
      - .offset:         84
        .size:           4
        .value_kind:     hidden_block_count_y
      - .offset:         88
        .size:           4
        .value_kind:     hidden_block_count_z
      - .offset:         92
        .size:           2
        .value_kind:     hidden_group_size_x
      - .offset:         94
        .size:           2
        .value_kind:     hidden_group_size_y
      - .offset:         96
        .size:           2
        .value_kind:     hidden_group_size_z
      - .offset:         98
        .size:           2
        .value_kind:     hidden_remainder_x
      - .offset:         100
        .size:           2
        .value_kind:     hidden_remainder_y
      - .offset:         102
        .size:           2
        .value_kind:     hidden_remainder_z
      - .offset:         120
        .size:           8
        .value_kind:     hidden_global_offset_x
      - .offset:         128
        .size:           8
        .value_kind:     hidden_global_offset_y
      - .offset:         136
        .size:           8
        .value_kind:     hidden_global_offset_z
      - .offset:         144
        .size:           2
        .value_kind:     hidden_grid_dims
    .group_segment_fixed_size: 0
    .kernarg_segment_align: 8
    .kernarg_segment_size: 336
    .language:       OpenCL C
    .language_version:
      - 2
      - 0
    .max_flat_workgroup_size: 256
    .name:           _ZN9rocsparseL21csrmvt_general_kernelILj256ELj16EllffffEEvbbT2_NS_24const_host_device_scalarIT6_EEPKT1_S7_PKS1_PKT3_PKT4_PT5_21rocsparse_index_base_b
    .private_segment_fixed_size: 0
    .sgpr_count:     34
    .sgpr_spill_count: 0
    .symbol:         _ZN9rocsparseL21csrmvt_general_kernelILj256ELj16EllffffEEvbbT2_NS_24const_host_device_scalarIT6_EEPKT1_S7_PKS1_PKT3_PKT4_PT5_21rocsparse_index_base_b.kd
    .uniform_work_group_size: 1
    .uses_dynamic_stack: false
    .vgpr_count:     21
    .vgpr_spill_count: 0
    .wavefront_size: 64
  - .agpr_count:     0
    .args:
      - .offset:         0
        .size:           1
        .value_kind:     by_value
      - .offset:         1
        .size:           1
        .value_kind:     by_value
      - .offset:         8
        .size:           8
        .value_kind:     by_value
      - .offset:         16
        .size:           8
        .value_kind:     by_value
      - .address_space:  global
        .offset:         24
        .size:           8
        .value_kind:     global_buffer
      - .address_space:  global
        .offset:         32
        .size:           8
        .value_kind:     global_buffer
      - .actual_access:  read_only
        .address_space:  global
        .offset:         40
        .size:           8
        .value_kind:     global_buffer
      - .actual_access:  read_only
        .address_space:  global
        .offset:         48
        .size:           8
        .value_kind:     global_buffer
      - .actual_access:  read_only
        .address_space:  global
        .offset:         56
        .size:           8
        .value_kind:     global_buffer
      - .address_space:  global
        .offset:         64
        .size:           8
        .value_kind:     global_buffer
      - .offset:         72
        .size:           4
        .value_kind:     by_value
      - .offset:         76
        .size:           1
        .value_kind:     by_value
      - .offset:         80
        .size:           4
        .value_kind:     hidden_block_count_x
      - .offset:         84
        .size:           4
        .value_kind:     hidden_block_count_y
      - .offset:         88
        .size:           4
        .value_kind:     hidden_block_count_z
      - .offset:         92
        .size:           2
        .value_kind:     hidden_group_size_x
      - .offset:         94
        .size:           2
        .value_kind:     hidden_group_size_y
      - .offset:         96
        .size:           2
        .value_kind:     hidden_group_size_z
      - .offset:         98
        .size:           2
        .value_kind:     hidden_remainder_x
      - .offset:         100
        .size:           2
        .value_kind:     hidden_remainder_y
      - .offset:         102
        .size:           2
        .value_kind:     hidden_remainder_z
      - .offset:         120
        .size:           8
        .value_kind:     hidden_global_offset_x
      - .offset:         128
        .size:           8
        .value_kind:     hidden_global_offset_y
      - .offset:         136
        .size:           8
        .value_kind:     hidden_global_offset_z
      - .offset:         144
        .size:           2
        .value_kind:     hidden_grid_dims
    .group_segment_fixed_size: 0
    .kernarg_segment_align: 8
    .kernarg_segment_size: 336
    .language:       OpenCL C
    .language_version:
      - 2
      - 0
    .max_flat_workgroup_size: 256
    .name:           _ZN9rocsparseL21csrmvt_general_kernelILj256ELj32EllffffEEvbbT2_NS_24const_host_device_scalarIT6_EEPKT1_S7_PKS1_PKT3_PKT4_PT5_21rocsparse_index_base_b
    .private_segment_fixed_size: 0
    .sgpr_count:     34
    .sgpr_spill_count: 0
    .symbol:         _ZN9rocsparseL21csrmvt_general_kernelILj256ELj32EllffffEEvbbT2_NS_24const_host_device_scalarIT6_EEPKT1_S7_PKS1_PKT3_PKT4_PT5_21rocsparse_index_base_b.kd
    .uniform_work_group_size: 1
    .uses_dynamic_stack: false
    .vgpr_count:     21
    .vgpr_spill_count: 0
    .wavefront_size: 64
  - .agpr_count:     0
    .args:
      - .offset:         0
        .size:           1
        .value_kind:     by_value
      - .offset:         1
        .size:           1
        .value_kind:     by_value
      - .offset:         8
        .size:           8
        .value_kind:     by_value
      - .offset:         16
        .size:           8
        .value_kind:     by_value
      - .address_space:  global
        .offset:         24
        .size:           8
        .value_kind:     global_buffer
      - .address_space:  global
        .offset:         32
        .size:           8
        .value_kind:     global_buffer
      - .actual_access:  read_only
        .address_space:  global
        .offset:         40
        .size:           8
        .value_kind:     global_buffer
      - .actual_access:  read_only
        .address_space:  global
        .offset:         48
        .size:           8
        .value_kind:     global_buffer
      - .actual_access:  read_only
        .address_space:  global
        .offset:         56
        .size:           8
        .value_kind:     global_buffer
      - .address_space:  global
        .offset:         64
        .size:           8
        .value_kind:     global_buffer
      - .offset:         72
        .size:           4
        .value_kind:     by_value
      - .offset:         76
        .size:           1
        .value_kind:     by_value
      - .offset:         80
        .size:           4
        .value_kind:     hidden_block_count_x
      - .offset:         84
        .size:           4
        .value_kind:     hidden_block_count_y
      - .offset:         88
        .size:           4
        .value_kind:     hidden_block_count_z
      - .offset:         92
        .size:           2
        .value_kind:     hidden_group_size_x
      - .offset:         94
        .size:           2
        .value_kind:     hidden_group_size_y
      - .offset:         96
        .size:           2
        .value_kind:     hidden_group_size_z
      - .offset:         98
        .size:           2
        .value_kind:     hidden_remainder_x
      - .offset:         100
        .size:           2
        .value_kind:     hidden_remainder_y
      - .offset:         102
        .size:           2
        .value_kind:     hidden_remainder_z
      - .offset:         120
        .size:           8
        .value_kind:     hidden_global_offset_x
      - .offset:         128
        .size:           8
        .value_kind:     hidden_global_offset_y
      - .offset:         136
        .size:           8
        .value_kind:     hidden_global_offset_z
      - .offset:         144
        .size:           2
        .value_kind:     hidden_grid_dims
    .group_segment_fixed_size: 0
    .kernarg_segment_align: 8
    .kernarg_segment_size: 336
    .language:       OpenCL C
    .language_version:
      - 2
      - 0
    .max_flat_workgroup_size: 256
    .name:           _ZN9rocsparseL21csrmvt_general_kernelILj256ELj64EllffffEEvbbT2_NS_24const_host_device_scalarIT6_EEPKT1_S7_PKS1_PKT3_PKT4_PT5_21rocsparse_index_base_b
    .private_segment_fixed_size: 0
    .sgpr_count:     34
    .sgpr_spill_count: 0
    .symbol:         _ZN9rocsparseL21csrmvt_general_kernelILj256ELj64EllffffEEvbbT2_NS_24const_host_device_scalarIT6_EEPKT1_S7_PKS1_PKT3_PKT4_PT5_21rocsparse_index_base_b.kd
    .uniform_work_group_size: 1
    .uses_dynamic_stack: false
    .vgpr_count:     21
    .vgpr_spill_count: 0
    .wavefront_size: 64
  - .agpr_count:     0
    .args:
      - .offset:         0
        .size:           1
        .value_kind:     by_value
      - .offset:         4
        .size:           4
        .value_kind:     by_value
      - .offset:         8
        .size:           8
        .value_kind:     by_value
      - .address_space:  global
        .offset:         16
        .size:           8
        .value_kind:     global_buffer
      - .address_space:  global
        .offset:         24
        .size:           8
        .value_kind:     global_buffer
      - .actual_access:  read_only
        .address_space:  global
        .offset:         32
        .size:           8
        .value_kind:     global_buffer
      - .actual_access:  read_only
        .address_space:  global
        .offset:         40
        .size:           8
        .value_kind:     global_buffer
      - .actual_access:  read_only
        .address_space:  global
        .offset:         48
        .size:           8
        .value_kind:     global_buffer
      - .offset:         56
        .size:           8
        .value_kind:     by_value
      - .address_space:  global
        .offset:         64
        .size:           8
        .value_kind:     global_buffer
      - .offset:         72
        .size:           4
        .value_kind:     by_value
      - .offset:         76
        .size:           1
        .value_kind:     by_value
      - .offset:         80
        .size:           4
        .value_kind:     hidden_block_count_x
      - .offset:         84
        .size:           4
        .value_kind:     hidden_block_count_y
      - .offset:         88
        .size:           4
        .value_kind:     hidden_block_count_z
      - .offset:         92
        .size:           2
        .value_kind:     hidden_group_size_x
      - .offset:         94
        .size:           2
        .value_kind:     hidden_group_size_y
      - .offset:         96
        .size:           2
        .value_kind:     hidden_group_size_z
      - .offset:         98
        .size:           2
        .value_kind:     hidden_remainder_x
      - .offset:         100
        .size:           2
        .value_kind:     hidden_remainder_y
      - .offset:         102
        .size:           2
        .value_kind:     hidden_remainder_z
      - .offset:         120
        .size:           8
        .value_kind:     hidden_global_offset_x
      - .offset:         128
        .size:           8
        .value_kind:     hidden_global_offset_y
      - .offset:         136
        .size:           8
        .value_kind:     hidden_global_offset_z
      - .offset:         144
        .size:           2
        .value_kind:     hidden_grid_dims
    .group_segment_fixed_size: 0
    .kernarg_segment_align: 8
    .kernarg_segment_size: 336
    .language:       OpenCL C
    .language_version:
      - 2
      - 0
    .max_flat_workgroup_size: 256
    .name:           _ZN9rocsparseL21csrmvn_general_kernelILj256ELj2EiiddddEEvbT2_NS_24const_host_device_scalarIT6_EEPKT1_S7_PKS1_PKT3_PKT4_S4_PT5_21rocsparse_index_base_b
    .private_segment_fixed_size: 0
    .sgpr_count:     29
    .sgpr_spill_count: 0
    .symbol:         _ZN9rocsparseL21csrmvn_general_kernelILj256ELj2EiiddddEEvbT2_NS_24const_host_device_scalarIT6_EEPKT1_S7_PKS1_PKT3_PKT4_S4_PT5_21rocsparse_index_base_b.kd
    .uniform_work_group_size: 1
    .uses_dynamic_stack: false
    .vgpr_count:     19
    .vgpr_spill_count: 0
    .wavefront_size: 64
  - .agpr_count:     0
    .args:
      - .offset:         0
        .size:           1
        .value_kind:     by_value
      - .offset:         4
        .size:           4
        .value_kind:     by_value
      - .offset:         8
        .size:           8
        .value_kind:     by_value
      - .address_space:  global
        .offset:         16
        .size:           8
        .value_kind:     global_buffer
      - .address_space:  global
        .offset:         24
        .size:           8
        .value_kind:     global_buffer
      - .actual_access:  read_only
        .address_space:  global
        .offset:         32
        .size:           8
        .value_kind:     global_buffer
      - .actual_access:  read_only
        .address_space:  global
        .offset:         40
        .size:           8
        .value_kind:     global_buffer
      - .actual_access:  read_only
        .address_space:  global
        .offset:         48
        .size:           8
        .value_kind:     global_buffer
      - .offset:         56
        .size:           8
        .value_kind:     by_value
      - .address_space:  global
        .offset:         64
        .size:           8
        .value_kind:     global_buffer
      - .offset:         72
        .size:           4
        .value_kind:     by_value
      - .offset:         76
        .size:           1
        .value_kind:     by_value
      - .offset:         80
        .size:           4
        .value_kind:     hidden_block_count_x
      - .offset:         84
        .size:           4
        .value_kind:     hidden_block_count_y
      - .offset:         88
        .size:           4
        .value_kind:     hidden_block_count_z
      - .offset:         92
        .size:           2
        .value_kind:     hidden_group_size_x
      - .offset:         94
        .size:           2
        .value_kind:     hidden_group_size_y
      - .offset:         96
        .size:           2
        .value_kind:     hidden_group_size_z
      - .offset:         98
        .size:           2
        .value_kind:     hidden_remainder_x
      - .offset:         100
        .size:           2
        .value_kind:     hidden_remainder_y
      - .offset:         102
        .size:           2
        .value_kind:     hidden_remainder_z
      - .offset:         120
        .size:           8
        .value_kind:     hidden_global_offset_x
      - .offset:         128
        .size:           8
        .value_kind:     hidden_global_offset_y
      - .offset:         136
        .size:           8
        .value_kind:     hidden_global_offset_z
      - .offset:         144
        .size:           2
        .value_kind:     hidden_grid_dims
    .group_segment_fixed_size: 0
    .kernarg_segment_align: 8
    .kernarg_segment_size: 336
    .language:       OpenCL C
    .language_version:
      - 2
      - 0
    .max_flat_workgroup_size: 256
    .name:           _ZN9rocsparseL21csrmvn_general_kernelILj256ELj4EiiddddEEvbT2_NS_24const_host_device_scalarIT6_EEPKT1_S7_PKS1_PKT3_PKT4_S4_PT5_21rocsparse_index_base_b
    .private_segment_fixed_size: 0
    .sgpr_count:     29
    .sgpr_spill_count: 0
    .symbol:         _ZN9rocsparseL21csrmvn_general_kernelILj256ELj4EiiddddEEvbT2_NS_24const_host_device_scalarIT6_EEPKT1_S7_PKS1_PKT3_PKT4_S4_PT5_21rocsparse_index_base_b.kd
    .uniform_work_group_size: 1
    .uses_dynamic_stack: false
    .vgpr_count:     19
    .vgpr_spill_count: 0
    .wavefront_size: 64
  - .agpr_count:     0
    .args:
      - .offset:         0
        .size:           1
        .value_kind:     by_value
      - .offset:         4
        .size:           4
        .value_kind:     by_value
      - .offset:         8
        .size:           8
        .value_kind:     by_value
      - .address_space:  global
        .offset:         16
        .size:           8
        .value_kind:     global_buffer
      - .address_space:  global
        .offset:         24
        .size:           8
        .value_kind:     global_buffer
      - .actual_access:  read_only
        .address_space:  global
        .offset:         32
        .size:           8
        .value_kind:     global_buffer
      - .actual_access:  read_only
        .address_space:  global
        .offset:         40
        .size:           8
        .value_kind:     global_buffer
      - .actual_access:  read_only
        .address_space:  global
        .offset:         48
        .size:           8
        .value_kind:     global_buffer
      - .offset:         56
        .size:           8
        .value_kind:     by_value
      - .address_space:  global
        .offset:         64
        .size:           8
        .value_kind:     global_buffer
      - .offset:         72
        .size:           4
        .value_kind:     by_value
      - .offset:         76
        .size:           1
        .value_kind:     by_value
      - .offset:         80
        .size:           4
        .value_kind:     hidden_block_count_x
      - .offset:         84
        .size:           4
        .value_kind:     hidden_block_count_y
      - .offset:         88
        .size:           4
        .value_kind:     hidden_block_count_z
      - .offset:         92
        .size:           2
        .value_kind:     hidden_group_size_x
      - .offset:         94
        .size:           2
        .value_kind:     hidden_group_size_y
      - .offset:         96
        .size:           2
        .value_kind:     hidden_group_size_z
      - .offset:         98
        .size:           2
        .value_kind:     hidden_remainder_x
      - .offset:         100
        .size:           2
        .value_kind:     hidden_remainder_y
      - .offset:         102
        .size:           2
        .value_kind:     hidden_remainder_z
      - .offset:         120
        .size:           8
        .value_kind:     hidden_global_offset_x
      - .offset:         128
        .size:           8
        .value_kind:     hidden_global_offset_y
      - .offset:         136
        .size:           8
        .value_kind:     hidden_global_offset_z
      - .offset:         144
        .size:           2
        .value_kind:     hidden_grid_dims
    .group_segment_fixed_size: 0
    .kernarg_segment_align: 8
    .kernarg_segment_size: 336
    .language:       OpenCL C
    .language_version:
      - 2
      - 0
    .max_flat_workgroup_size: 256
    .name:           _ZN9rocsparseL21csrmvn_general_kernelILj256ELj8EiiddddEEvbT2_NS_24const_host_device_scalarIT6_EEPKT1_S7_PKS1_PKT3_PKT4_S4_PT5_21rocsparse_index_base_b
    .private_segment_fixed_size: 0
    .sgpr_count:     29
    .sgpr_spill_count: 0
    .symbol:         _ZN9rocsparseL21csrmvn_general_kernelILj256ELj8EiiddddEEvbT2_NS_24const_host_device_scalarIT6_EEPKT1_S7_PKS1_PKT3_PKT4_S4_PT5_21rocsparse_index_base_b.kd
    .uniform_work_group_size: 1
    .uses_dynamic_stack: false
    .vgpr_count:     19
    .vgpr_spill_count: 0
    .wavefront_size: 64
  - .agpr_count:     0
    .args:
      - .offset:         0
        .size:           1
        .value_kind:     by_value
      - .offset:         4
        .size:           4
        .value_kind:     by_value
      - .offset:         8
        .size:           8
        .value_kind:     by_value
      - .address_space:  global
        .offset:         16
        .size:           8
        .value_kind:     global_buffer
      - .address_space:  global
        .offset:         24
        .size:           8
        .value_kind:     global_buffer
      - .actual_access:  read_only
        .address_space:  global
        .offset:         32
        .size:           8
        .value_kind:     global_buffer
      - .actual_access:  read_only
        .address_space:  global
        .offset:         40
        .size:           8
        .value_kind:     global_buffer
      - .actual_access:  read_only
        .address_space:  global
        .offset:         48
        .size:           8
        .value_kind:     global_buffer
      - .offset:         56
        .size:           8
        .value_kind:     by_value
      - .address_space:  global
        .offset:         64
        .size:           8
        .value_kind:     global_buffer
      - .offset:         72
        .size:           4
        .value_kind:     by_value
      - .offset:         76
        .size:           1
        .value_kind:     by_value
      - .offset:         80
        .size:           4
        .value_kind:     hidden_block_count_x
      - .offset:         84
        .size:           4
        .value_kind:     hidden_block_count_y
      - .offset:         88
        .size:           4
        .value_kind:     hidden_block_count_z
      - .offset:         92
        .size:           2
        .value_kind:     hidden_group_size_x
      - .offset:         94
        .size:           2
        .value_kind:     hidden_group_size_y
      - .offset:         96
        .size:           2
        .value_kind:     hidden_group_size_z
      - .offset:         98
        .size:           2
        .value_kind:     hidden_remainder_x
      - .offset:         100
        .size:           2
        .value_kind:     hidden_remainder_y
      - .offset:         102
        .size:           2
        .value_kind:     hidden_remainder_z
      - .offset:         120
        .size:           8
        .value_kind:     hidden_global_offset_x
      - .offset:         128
        .size:           8
        .value_kind:     hidden_global_offset_y
      - .offset:         136
        .size:           8
        .value_kind:     hidden_global_offset_z
      - .offset:         144
        .size:           2
        .value_kind:     hidden_grid_dims
    .group_segment_fixed_size: 0
    .kernarg_segment_align: 8
    .kernarg_segment_size: 336
    .language:       OpenCL C
    .language_version:
      - 2
      - 0
    .max_flat_workgroup_size: 256
    .name:           _ZN9rocsparseL21csrmvn_general_kernelILj256ELj16EiiddddEEvbT2_NS_24const_host_device_scalarIT6_EEPKT1_S7_PKS1_PKT3_PKT4_S4_PT5_21rocsparse_index_base_b
    .private_segment_fixed_size: 0
    .sgpr_count:     29
    .sgpr_spill_count: 0
    .symbol:         _ZN9rocsparseL21csrmvn_general_kernelILj256ELj16EiiddddEEvbT2_NS_24const_host_device_scalarIT6_EEPKT1_S7_PKS1_PKT3_PKT4_S4_PT5_21rocsparse_index_base_b.kd
    .uniform_work_group_size: 1
    .uses_dynamic_stack: false
    .vgpr_count:     19
    .vgpr_spill_count: 0
    .wavefront_size: 64
  - .agpr_count:     0
    .args:
      - .offset:         0
        .size:           1
        .value_kind:     by_value
      - .offset:         4
        .size:           4
        .value_kind:     by_value
      - .offset:         8
        .size:           8
        .value_kind:     by_value
      - .address_space:  global
        .offset:         16
        .size:           8
        .value_kind:     global_buffer
      - .address_space:  global
        .offset:         24
        .size:           8
        .value_kind:     global_buffer
      - .actual_access:  read_only
        .address_space:  global
        .offset:         32
        .size:           8
        .value_kind:     global_buffer
      - .actual_access:  read_only
        .address_space:  global
        .offset:         40
        .size:           8
        .value_kind:     global_buffer
      - .actual_access:  read_only
        .address_space:  global
        .offset:         48
        .size:           8
        .value_kind:     global_buffer
      - .offset:         56
        .size:           8
        .value_kind:     by_value
      - .address_space:  global
        .offset:         64
        .size:           8
        .value_kind:     global_buffer
      - .offset:         72
        .size:           4
        .value_kind:     by_value
      - .offset:         76
        .size:           1
        .value_kind:     by_value
      - .offset:         80
        .size:           4
        .value_kind:     hidden_block_count_x
      - .offset:         84
        .size:           4
        .value_kind:     hidden_block_count_y
      - .offset:         88
        .size:           4
        .value_kind:     hidden_block_count_z
      - .offset:         92
        .size:           2
        .value_kind:     hidden_group_size_x
      - .offset:         94
        .size:           2
        .value_kind:     hidden_group_size_y
      - .offset:         96
        .size:           2
        .value_kind:     hidden_group_size_z
      - .offset:         98
        .size:           2
        .value_kind:     hidden_remainder_x
      - .offset:         100
        .size:           2
        .value_kind:     hidden_remainder_y
      - .offset:         102
        .size:           2
        .value_kind:     hidden_remainder_z
      - .offset:         120
        .size:           8
        .value_kind:     hidden_global_offset_x
      - .offset:         128
        .size:           8
        .value_kind:     hidden_global_offset_y
      - .offset:         136
        .size:           8
        .value_kind:     hidden_global_offset_z
      - .offset:         144
        .size:           2
        .value_kind:     hidden_grid_dims
    .group_segment_fixed_size: 0
    .kernarg_segment_align: 8
    .kernarg_segment_size: 336
    .language:       OpenCL C
    .language_version:
      - 2
      - 0
    .max_flat_workgroup_size: 256
    .name:           _ZN9rocsparseL21csrmvn_general_kernelILj256ELj32EiiddddEEvbT2_NS_24const_host_device_scalarIT6_EEPKT1_S7_PKS1_PKT3_PKT4_S4_PT5_21rocsparse_index_base_b
    .private_segment_fixed_size: 0
    .sgpr_count:     29
    .sgpr_spill_count: 0
    .symbol:         _ZN9rocsparseL21csrmvn_general_kernelILj256ELj32EiiddddEEvbT2_NS_24const_host_device_scalarIT6_EEPKT1_S7_PKS1_PKT3_PKT4_S4_PT5_21rocsparse_index_base_b.kd
    .uniform_work_group_size: 1
    .uses_dynamic_stack: false
    .vgpr_count:     19
    .vgpr_spill_count: 0
    .wavefront_size: 64
  - .agpr_count:     0
    .args:
      - .offset:         0
        .size:           1
        .value_kind:     by_value
      - .offset:         4
        .size:           4
        .value_kind:     by_value
      - .offset:         8
        .size:           8
        .value_kind:     by_value
      - .address_space:  global
        .offset:         16
        .size:           8
        .value_kind:     global_buffer
      - .address_space:  global
        .offset:         24
        .size:           8
        .value_kind:     global_buffer
      - .actual_access:  read_only
        .address_space:  global
        .offset:         32
        .size:           8
        .value_kind:     global_buffer
      - .actual_access:  read_only
        .address_space:  global
        .offset:         40
        .size:           8
        .value_kind:     global_buffer
      - .actual_access:  read_only
        .address_space:  global
        .offset:         48
        .size:           8
        .value_kind:     global_buffer
      - .offset:         56
        .size:           8
        .value_kind:     by_value
      - .address_space:  global
        .offset:         64
        .size:           8
        .value_kind:     global_buffer
      - .offset:         72
        .size:           4
        .value_kind:     by_value
      - .offset:         76
        .size:           1
        .value_kind:     by_value
      - .offset:         80
        .size:           4
        .value_kind:     hidden_block_count_x
      - .offset:         84
        .size:           4
        .value_kind:     hidden_block_count_y
      - .offset:         88
        .size:           4
        .value_kind:     hidden_block_count_z
      - .offset:         92
        .size:           2
        .value_kind:     hidden_group_size_x
      - .offset:         94
        .size:           2
        .value_kind:     hidden_group_size_y
      - .offset:         96
        .size:           2
        .value_kind:     hidden_group_size_z
      - .offset:         98
        .size:           2
        .value_kind:     hidden_remainder_x
      - .offset:         100
        .size:           2
        .value_kind:     hidden_remainder_y
      - .offset:         102
        .size:           2
        .value_kind:     hidden_remainder_z
      - .offset:         120
        .size:           8
        .value_kind:     hidden_global_offset_x
      - .offset:         128
        .size:           8
        .value_kind:     hidden_global_offset_y
      - .offset:         136
        .size:           8
        .value_kind:     hidden_global_offset_z
      - .offset:         144
        .size:           2
        .value_kind:     hidden_grid_dims
    .group_segment_fixed_size: 0
    .kernarg_segment_align: 8
    .kernarg_segment_size: 336
    .language:       OpenCL C
    .language_version:
      - 2
      - 0
    .max_flat_workgroup_size: 256
    .name:           _ZN9rocsparseL21csrmvn_general_kernelILj256ELj64EiiddddEEvbT2_NS_24const_host_device_scalarIT6_EEPKT1_S7_PKS1_PKT3_PKT4_S4_PT5_21rocsparse_index_base_b
    .private_segment_fixed_size: 0
    .sgpr_count:     29
    .sgpr_spill_count: 0
    .symbol:         _ZN9rocsparseL21csrmvn_general_kernelILj256ELj64EiiddddEEvbT2_NS_24const_host_device_scalarIT6_EEPKT1_S7_PKS1_PKT3_PKT4_S4_PT5_21rocsparse_index_base_b.kd
    .uniform_work_group_size: 1
    .uses_dynamic_stack: false
    .vgpr_count:     19
    .vgpr_spill_count: 0
    .wavefront_size: 64
  - .agpr_count:     0
    .args:
      - .offset:         0
        .size:           1
        .value_kind:     by_value
      - .offset:         1
        .size:           1
        .value_kind:     by_value
      - .offset:         4
        .size:           4
        .value_kind:     by_value
      - .offset:         8
        .size:           8
        .value_kind:     by_value
      - .address_space:  global
        .offset:         16
        .size:           8
        .value_kind:     global_buffer
      - .address_space:  global
        .offset:         24
        .size:           8
        .value_kind:     global_buffer
      - .actual_access:  read_only
        .address_space:  global
        .offset:         32
        .size:           8
        .value_kind:     global_buffer
      - .actual_access:  read_only
        .address_space:  global
        .offset:         40
        .size:           8
        .value_kind:     global_buffer
      - .actual_access:  read_only
        .address_space:  global
        .offset:         48
        .size:           8
        .value_kind:     global_buffer
      - .address_space:  global
        .offset:         56
        .size:           8
        .value_kind:     global_buffer
      - .offset:         64
        .size:           4
        .value_kind:     by_value
      - .offset:         68
        .size:           1
        .value_kind:     by_value
      - .offset:         72
        .size:           4
        .value_kind:     hidden_block_count_x
      - .offset:         76
        .size:           4
        .value_kind:     hidden_block_count_y
      - .offset:         80
        .size:           4
        .value_kind:     hidden_block_count_z
      - .offset:         84
        .size:           2
        .value_kind:     hidden_group_size_x
      - .offset:         86
        .size:           2
        .value_kind:     hidden_group_size_y
      - .offset:         88
        .size:           2
        .value_kind:     hidden_group_size_z
      - .offset:         90
        .size:           2
        .value_kind:     hidden_remainder_x
      - .offset:         92
        .size:           2
        .value_kind:     hidden_remainder_y
      - .offset:         94
        .size:           2
        .value_kind:     hidden_remainder_z
      - .offset:         112
        .size:           8
        .value_kind:     hidden_global_offset_x
      - .offset:         120
        .size:           8
        .value_kind:     hidden_global_offset_y
      - .offset:         128
        .size:           8
        .value_kind:     hidden_global_offset_z
      - .offset:         136
        .size:           2
        .value_kind:     hidden_grid_dims
    .group_segment_fixed_size: 0
    .kernarg_segment_align: 8
    .kernarg_segment_size: 328
    .language:       OpenCL C
    .language_version:
      - 2
      - 0
    .max_flat_workgroup_size: 256
    .name:           _ZN9rocsparseL21csrmvt_general_kernelILj256ELj4EiiddddEEvbbT2_NS_24const_host_device_scalarIT6_EEPKT1_S7_PKS1_PKT3_PKT4_PT5_21rocsparse_index_base_b
    .private_segment_fixed_size: 0
    .sgpr_count:     32
    .sgpr_spill_count: 0
    .symbol:         _ZN9rocsparseL21csrmvt_general_kernelILj256ELj4EiiddddEEvbbT2_NS_24const_host_device_scalarIT6_EEPKT1_S7_PKS1_PKT3_PKT4_PT5_21rocsparse_index_base_b.kd
    .uniform_work_group_size: 1
    .uses_dynamic_stack: false
    .vgpr_count:     22
    .vgpr_spill_count: 0
    .wavefront_size: 64
  - .agpr_count:     0
    .args:
      - .offset:         0
        .size:           1
        .value_kind:     by_value
      - .offset:         1
        .size:           1
        .value_kind:     by_value
      - .offset:         4
        .size:           4
        .value_kind:     by_value
      - .offset:         8
        .size:           8
        .value_kind:     by_value
      - .address_space:  global
        .offset:         16
        .size:           8
        .value_kind:     global_buffer
      - .address_space:  global
        .offset:         24
        .size:           8
        .value_kind:     global_buffer
      - .actual_access:  read_only
        .address_space:  global
        .offset:         32
        .size:           8
        .value_kind:     global_buffer
      - .actual_access:  read_only
        .address_space:  global
        .offset:         40
        .size:           8
        .value_kind:     global_buffer
      - .actual_access:  read_only
        .address_space:  global
        .offset:         48
        .size:           8
        .value_kind:     global_buffer
      - .address_space:  global
        .offset:         56
        .size:           8
        .value_kind:     global_buffer
      - .offset:         64
        .size:           4
        .value_kind:     by_value
      - .offset:         68
        .size:           1
        .value_kind:     by_value
      - .offset:         72
        .size:           4
        .value_kind:     hidden_block_count_x
      - .offset:         76
        .size:           4
        .value_kind:     hidden_block_count_y
      - .offset:         80
        .size:           4
        .value_kind:     hidden_block_count_z
      - .offset:         84
        .size:           2
        .value_kind:     hidden_group_size_x
      - .offset:         86
        .size:           2
        .value_kind:     hidden_group_size_y
      - .offset:         88
        .size:           2
        .value_kind:     hidden_group_size_z
      - .offset:         90
        .size:           2
        .value_kind:     hidden_remainder_x
      - .offset:         92
        .size:           2
        .value_kind:     hidden_remainder_y
      - .offset:         94
        .size:           2
        .value_kind:     hidden_remainder_z
      - .offset:         112
        .size:           8
        .value_kind:     hidden_global_offset_x
      - .offset:         120
        .size:           8
        .value_kind:     hidden_global_offset_y
      - .offset:         128
        .size:           8
        .value_kind:     hidden_global_offset_z
      - .offset:         136
        .size:           2
        .value_kind:     hidden_grid_dims
    .group_segment_fixed_size: 0
    .kernarg_segment_align: 8
    .kernarg_segment_size: 328
    .language:       OpenCL C
    .language_version:
      - 2
      - 0
    .max_flat_workgroup_size: 256
    .name:           _ZN9rocsparseL21csrmvt_general_kernelILj256ELj8EiiddddEEvbbT2_NS_24const_host_device_scalarIT6_EEPKT1_S7_PKS1_PKT3_PKT4_PT5_21rocsparse_index_base_b
    .private_segment_fixed_size: 0
    .sgpr_count:     32
    .sgpr_spill_count: 0
    .symbol:         _ZN9rocsparseL21csrmvt_general_kernelILj256ELj8EiiddddEEvbbT2_NS_24const_host_device_scalarIT6_EEPKT1_S7_PKS1_PKT3_PKT4_PT5_21rocsparse_index_base_b.kd
    .uniform_work_group_size: 1
    .uses_dynamic_stack: false
    .vgpr_count:     22
    .vgpr_spill_count: 0
    .wavefront_size: 64
  - .agpr_count:     0
    .args:
      - .offset:         0
        .size:           1
        .value_kind:     by_value
      - .offset:         1
        .size:           1
        .value_kind:     by_value
      - .offset:         4
        .size:           4
        .value_kind:     by_value
      - .offset:         8
        .size:           8
        .value_kind:     by_value
      - .address_space:  global
        .offset:         16
        .size:           8
        .value_kind:     global_buffer
      - .address_space:  global
        .offset:         24
        .size:           8
        .value_kind:     global_buffer
      - .actual_access:  read_only
        .address_space:  global
        .offset:         32
        .size:           8
        .value_kind:     global_buffer
      - .actual_access:  read_only
        .address_space:  global
        .offset:         40
        .size:           8
        .value_kind:     global_buffer
      - .actual_access:  read_only
        .address_space:  global
        .offset:         48
        .size:           8
        .value_kind:     global_buffer
      - .address_space:  global
        .offset:         56
        .size:           8
        .value_kind:     global_buffer
      - .offset:         64
        .size:           4
        .value_kind:     by_value
      - .offset:         68
        .size:           1
        .value_kind:     by_value
      - .offset:         72
        .size:           4
        .value_kind:     hidden_block_count_x
      - .offset:         76
        .size:           4
        .value_kind:     hidden_block_count_y
      - .offset:         80
        .size:           4
        .value_kind:     hidden_block_count_z
      - .offset:         84
        .size:           2
        .value_kind:     hidden_group_size_x
      - .offset:         86
        .size:           2
        .value_kind:     hidden_group_size_y
      - .offset:         88
        .size:           2
        .value_kind:     hidden_group_size_z
      - .offset:         90
        .size:           2
        .value_kind:     hidden_remainder_x
      - .offset:         92
        .size:           2
        .value_kind:     hidden_remainder_y
      - .offset:         94
        .size:           2
        .value_kind:     hidden_remainder_z
      - .offset:         112
        .size:           8
        .value_kind:     hidden_global_offset_x
      - .offset:         120
        .size:           8
        .value_kind:     hidden_global_offset_y
      - .offset:         128
        .size:           8
        .value_kind:     hidden_global_offset_z
      - .offset:         136
        .size:           2
        .value_kind:     hidden_grid_dims
    .group_segment_fixed_size: 0
    .kernarg_segment_align: 8
    .kernarg_segment_size: 328
    .language:       OpenCL C
    .language_version:
      - 2
      - 0
    .max_flat_workgroup_size: 256
    .name:           _ZN9rocsparseL21csrmvt_general_kernelILj256ELj16EiiddddEEvbbT2_NS_24const_host_device_scalarIT6_EEPKT1_S7_PKS1_PKT3_PKT4_PT5_21rocsparse_index_base_b
    .private_segment_fixed_size: 0
    .sgpr_count:     32
    .sgpr_spill_count: 0
    .symbol:         _ZN9rocsparseL21csrmvt_general_kernelILj256ELj16EiiddddEEvbbT2_NS_24const_host_device_scalarIT6_EEPKT1_S7_PKS1_PKT3_PKT4_PT5_21rocsparse_index_base_b.kd
    .uniform_work_group_size: 1
    .uses_dynamic_stack: false
    .vgpr_count:     22
    .vgpr_spill_count: 0
    .wavefront_size: 64
  - .agpr_count:     0
    .args:
      - .offset:         0
        .size:           1
        .value_kind:     by_value
      - .offset:         1
        .size:           1
        .value_kind:     by_value
      - .offset:         4
        .size:           4
        .value_kind:     by_value
      - .offset:         8
        .size:           8
        .value_kind:     by_value
      - .address_space:  global
        .offset:         16
        .size:           8
        .value_kind:     global_buffer
      - .address_space:  global
        .offset:         24
        .size:           8
        .value_kind:     global_buffer
      - .actual_access:  read_only
        .address_space:  global
        .offset:         32
        .size:           8
        .value_kind:     global_buffer
      - .actual_access:  read_only
        .address_space:  global
        .offset:         40
        .size:           8
        .value_kind:     global_buffer
      - .actual_access:  read_only
        .address_space:  global
        .offset:         48
        .size:           8
        .value_kind:     global_buffer
      - .address_space:  global
        .offset:         56
        .size:           8
        .value_kind:     global_buffer
      - .offset:         64
        .size:           4
        .value_kind:     by_value
      - .offset:         68
        .size:           1
        .value_kind:     by_value
      - .offset:         72
        .size:           4
        .value_kind:     hidden_block_count_x
      - .offset:         76
        .size:           4
        .value_kind:     hidden_block_count_y
      - .offset:         80
        .size:           4
        .value_kind:     hidden_block_count_z
      - .offset:         84
        .size:           2
        .value_kind:     hidden_group_size_x
      - .offset:         86
        .size:           2
        .value_kind:     hidden_group_size_y
      - .offset:         88
        .size:           2
        .value_kind:     hidden_group_size_z
      - .offset:         90
        .size:           2
        .value_kind:     hidden_remainder_x
      - .offset:         92
        .size:           2
        .value_kind:     hidden_remainder_y
      - .offset:         94
        .size:           2
        .value_kind:     hidden_remainder_z
      - .offset:         112
        .size:           8
        .value_kind:     hidden_global_offset_x
      - .offset:         120
        .size:           8
        .value_kind:     hidden_global_offset_y
      - .offset:         128
        .size:           8
        .value_kind:     hidden_global_offset_z
      - .offset:         136
        .size:           2
        .value_kind:     hidden_grid_dims
    .group_segment_fixed_size: 0
    .kernarg_segment_align: 8
    .kernarg_segment_size: 328
    .language:       OpenCL C
    .language_version:
      - 2
      - 0
    .max_flat_workgroup_size: 256
    .name:           _ZN9rocsparseL21csrmvt_general_kernelILj256ELj32EiiddddEEvbbT2_NS_24const_host_device_scalarIT6_EEPKT1_S7_PKS1_PKT3_PKT4_PT5_21rocsparse_index_base_b
    .private_segment_fixed_size: 0
    .sgpr_count:     32
    .sgpr_spill_count: 0
    .symbol:         _ZN9rocsparseL21csrmvt_general_kernelILj256ELj32EiiddddEEvbbT2_NS_24const_host_device_scalarIT6_EEPKT1_S7_PKS1_PKT3_PKT4_PT5_21rocsparse_index_base_b.kd
    .uniform_work_group_size: 1
    .uses_dynamic_stack: false
    .vgpr_count:     22
    .vgpr_spill_count: 0
    .wavefront_size: 64
  - .agpr_count:     0
    .args:
      - .offset:         0
        .size:           1
        .value_kind:     by_value
      - .offset:         1
        .size:           1
        .value_kind:     by_value
      - .offset:         4
        .size:           4
        .value_kind:     by_value
      - .offset:         8
        .size:           8
        .value_kind:     by_value
      - .address_space:  global
        .offset:         16
        .size:           8
        .value_kind:     global_buffer
      - .address_space:  global
        .offset:         24
        .size:           8
        .value_kind:     global_buffer
      - .actual_access:  read_only
        .address_space:  global
        .offset:         32
        .size:           8
        .value_kind:     global_buffer
      - .actual_access:  read_only
        .address_space:  global
        .offset:         40
        .size:           8
        .value_kind:     global_buffer
      - .actual_access:  read_only
        .address_space:  global
        .offset:         48
        .size:           8
        .value_kind:     global_buffer
      - .address_space:  global
        .offset:         56
        .size:           8
        .value_kind:     global_buffer
      - .offset:         64
        .size:           4
        .value_kind:     by_value
      - .offset:         68
        .size:           1
        .value_kind:     by_value
      - .offset:         72
        .size:           4
        .value_kind:     hidden_block_count_x
      - .offset:         76
        .size:           4
        .value_kind:     hidden_block_count_y
      - .offset:         80
        .size:           4
        .value_kind:     hidden_block_count_z
      - .offset:         84
        .size:           2
        .value_kind:     hidden_group_size_x
      - .offset:         86
        .size:           2
        .value_kind:     hidden_group_size_y
      - .offset:         88
        .size:           2
        .value_kind:     hidden_group_size_z
      - .offset:         90
        .size:           2
        .value_kind:     hidden_remainder_x
      - .offset:         92
        .size:           2
        .value_kind:     hidden_remainder_y
      - .offset:         94
        .size:           2
        .value_kind:     hidden_remainder_z
      - .offset:         112
        .size:           8
        .value_kind:     hidden_global_offset_x
      - .offset:         120
        .size:           8
        .value_kind:     hidden_global_offset_y
      - .offset:         128
        .size:           8
        .value_kind:     hidden_global_offset_z
      - .offset:         136
        .size:           2
        .value_kind:     hidden_grid_dims
    .group_segment_fixed_size: 0
    .kernarg_segment_align: 8
    .kernarg_segment_size: 328
    .language:       OpenCL C
    .language_version:
      - 2
      - 0
    .max_flat_workgroup_size: 256
    .name:           _ZN9rocsparseL21csrmvt_general_kernelILj256ELj64EiiddddEEvbbT2_NS_24const_host_device_scalarIT6_EEPKT1_S7_PKS1_PKT3_PKT4_PT5_21rocsparse_index_base_b
    .private_segment_fixed_size: 0
    .sgpr_count:     32
    .sgpr_spill_count: 0
    .symbol:         _ZN9rocsparseL21csrmvt_general_kernelILj256ELj64EiiddddEEvbbT2_NS_24const_host_device_scalarIT6_EEPKT1_S7_PKS1_PKT3_PKT4_PT5_21rocsparse_index_base_b.kd
    .uniform_work_group_size: 1
    .uses_dynamic_stack: false
    .vgpr_count:     22
    .vgpr_spill_count: 0
    .wavefront_size: 64
  - .agpr_count:     0
    .args:
      - .offset:         0
        .size:           1
        .value_kind:     by_value
      - .offset:         4
        .size:           4
        .value_kind:     by_value
      - .offset:         8
        .size:           8
        .value_kind:     by_value
      - .address_space:  global
        .offset:         16
        .size:           8
        .value_kind:     global_buffer
      - .address_space:  global
        .offset:         24
        .size:           8
        .value_kind:     global_buffer
      - .actual_access:  read_only
        .address_space:  global
        .offset:         32
        .size:           8
        .value_kind:     global_buffer
      - .actual_access:  read_only
        .address_space:  global
        .offset:         40
        .size:           8
        .value_kind:     global_buffer
      - .actual_access:  read_only
        .address_space:  global
        .offset:         48
        .size:           8
        .value_kind:     global_buffer
      - .offset:         56
        .size:           8
        .value_kind:     by_value
      - .address_space:  global
        .offset:         64
        .size:           8
        .value_kind:     global_buffer
      - .offset:         72
        .size:           4
        .value_kind:     by_value
      - .offset:         76
        .size:           1
        .value_kind:     by_value
      - .offset:         80
        .size:           4
        .value_kind:     hidden_block_count_x
      - .offset:         84
        .size:           4
        .value_kind:     hidden_block_count_y
      - .offset:         88
        .size:           4
        .value_kind:     hidden_block_count_z
      - .offset:         92
        .size:           2
        .value_kind:     hidden_group_size_x
      - .offset:         94
        .size:           2
        .value_kind:     hidden_group_size_y
      - .offset:         96
        .size:           2
        .value_kind:     hidden_group_size_z
      - .offset:         98
        .size:           2
        .value_kind:     hidden_remainder_x
      - .offset:         100
        .size:           2
        .value_kind:     hidden_remainder_y
      - .offset:         102
        .size:           2
        .value_kind:     hidden_remainder_z
      - .offset:         120
        .size:           8
        .value_kind:     hidden_global_offset_x
      - .offset:         128
        .size:           8
        .value_kind:     hidden_global_offset_y
      - .offset:         136
        .size:           8
        .value_kind:     hidden_global_offset_z
      - .offset:         144
        .size:           2
        .value_kind:     hidden_grid_dims
    .group_segment_fixed_size: 0
    .kernarg_segment_align: 8
    .kernarg_segment_size: 336
    .language:       OpenCL C
    .language_version:
      - 2
      - 0
    .max_flat_workgroup_size: 256
    .name:           _ZN9rocsparseL21csrmvn_general_kernelILj256ELj2EliddddEEvbT2_NS_24const_host_device_scalarIT6_EEPKT1_S7_PKS1_PKT3_PKT4_S4_PT5_21rocsparse_index_base_b
    .private_segment_fixed_size: 0
    .sgpr_count:     28
    .sgpr_spill_count: 0
    .symbol:         _ZN9rocsparseL21csrmvn_general_kernelILj256ELj2EliddddEEvbT2_NS_24const_host_device_scalarIT6_EEPKT1_S7_PKS1_PKT3_PKT4_S4_PT5_21rocsparse_index_base_b.kd
    .uniform_work_group_size: 1
    .uses_dynamic_stack: false
    .vgpr_count:     28
    .vgpr_spill_count: 0
    .wavefront_size: 64
  - .agpr_count:     0
    .args:
      - .offset:         0
        .size:           1
        .value_kind:     by_value
      - .offset:         4
        .size:           4
        .value_kind:     by_value
      - .offset:         8
        .size:           8
        .value_kind:     by_value
      - .address_space:  global
        .offset:         16
        .size:           8
        .value_kind:     global_buffer
      - .address_space:  global
        .offset:         24
        .size:           8
        .value_kind:     global_buffer
      - .actual_access:  read_only
        .address_space:  global
        .offset:         32
        .size:           8
        .value_kind:     global_buffer
      - .actual_access:  read_only
        .address_space:  global
        .offset:         40
        .size:           8
        .value_kind:     global_buffer
      - .actual_access:  read_only
        .address_space:  global
        .offset:         48
        .size:           8
        .value_kind:     global_buffer
      - .offset:         56
        .size:           8
        .value_kind:     by_value
      - .address_space:  global
        .offset:         64
        .size:           8
        .value_kind:     global_buffer
      - .offset:         72
        .size:           4
        .value_kind:     by_value
      - .offset:         76
        .size:           1
        .value_kind:     by_value
      - .offset:         80
        .size:           4
        .value_kind:     hidden_block_count_x
      - .offset:         84
        .size:           4
        .value_kind:     hidden_block_count_y
      - .offset:         88
        .size:           4
        .value_kind:     hidden_block_count_z
      - .offset:         92
        .size:           2
        .value_kind:     hidden_group_size_x
      - .offset:         94
        .size:           2
        .value_kind:     hidden_group_size_y
      - .offset:         96
        .size:           2
        .value_kind:     hidden_group_size_z
      - .offset:         98
        .size:           2
        .value_kind:     hidden_remainder_x
      - .offset:         100
        .size:           2
        .value_kind:     hidden_remainder_y
      - .offset:         102
        .size:           2
        .value_kind:     hidden_remainder_z
      - .offset:         120
        .size:           8
        .value_kind:     hidden_global_offset_x
      - .offset:         128
        .size:           8
        .value_kind:     hidden_global_offset_y
      - .offset:         136
        .size:           8
        .value_kind:     hidden_global_offset_z
      - .offset:         144
        .size:           2
        .value_kind:     hidden_grid_dims
    .group_segment_fixed_size: 0
    .kernarg_segment_align: 8
    .kernarg_segment_size: 336
    .language:       OpenCL C
    .language_version:
      - 2
      - 0
    .max_flat_workgroup_size: 256
    .name:           _ZN9rocsparseL21csrmvn_general_kernelILj256ELj4EliddddEEvbT2_NS_24const_host_device_scalarIT6_EEPKT1_S7_PKS1_PKT3_PKT4_S4_PT5_21rocsparse_index_base_b
    .private_segment_fixed_size: 0
    .sgpr_count:     28
    .sgpr_spill_count: 0
    .symbol:         _ZN9rocsparseL21csrmvn_general_kernelILj256ELj4EliddddEEvbT2_NS_24const_host_device_scalarIT6_EEPKT1_S7_PKS1_PKT3_PKT4_S4_PT5_21rocsparse_index_base_b.kd
    .uniform_work_group_size: 1
    .uses_dynamic_stack: false
    .vgpr_count:     28
    .vgpr_spill_count: 0
    .wavefront_size: 64
  - .agpr_count:     0
    .args:
      - .offset:         0
        .size:           1
        .value_kind:     by_value
      - .offset:         4
        .size:           4
        .value_kind:     by_value
      - .offset:         8
        .size:           8
        .value_kind:     by_value
      - .address_space:  global
        .offset:         16
        .size:           8
        .value_kind:     global_buffer
      - .address_space:  global
        .offset:         24
        .size:           8
        .value_kind:     global_buffer
      - .actual_access:  read_only
        .address_space:  global
        .offset:         32
        .size:           8
        .value_kind:     global_buffer
      - .actual_access:  read_only
        .address_space:  global
        .offset:         40
        .size:           8
        .value_kind:     global_buffer
      - .actual_access:  read_only
        .address_space:  global
        .offset:         48
        .size:           8
        .value_kind:     global_buffer
      - .offset:         56
        .size:           8
        .value_kind:     by_value
      - .address_space:  global
        .offset:         64
        .size:           8
        .value_kind:     global_buffer
      - .offset:         72
        .size:           4
        .value_kind:     by_value
      - .offset:         76
        .size:           1
        .value_kind:     by_value
      - .offset:         80
        .size:           4
        .value_kind:     hidden_block_count_x
      - .offset:         84
        .size:           4
        .value_kind:     hidden_block_count_y
      - .offset:         88
        .size:           4
        .value_kind:     hidden_block_count_z
      - .offset:         92
        .size:           2
        .value_kind:     hidden_group_size_x
      - .offset:         94
        .size:           2
        .value_kind:     hidden_group_size_y
      - .offset:         96
        .size:           2
        .value_kind:     hidden_group_size_z
      - .offset:         98
        .size:           2
        .value_kind:     hidden_remainder_x
      - .offset:         100
        .size:           2
        .value_kind:     hidden_remainder_y
      - .offset:         102
        .size:           2
        .value_kind:     hidden_remainder_z
      - .offset:         120
        .size:           8
        .value_kind:     hidden_global_offset_x
      - .offset:         128
        .size:           8
        .value_kind:     hidden_global_offset_y
      - .offset:         136
        .size:           8
        .value_kind:     hidden_global_offset_z
      - .offset:         144
        .size:           2
        .value_kind:     hidden_grid_dims
    .group_segment_fixed_size: 0
    .kernarg_segment_align: 8
    .kernarg_segment_size: 336
    .language:       OpenCL C
    .language_version:
      - 2
      - 0
    .max_flat_workgroup_size: 256
    .name:           _ZN9rocsparseL21csrmvn_general_kernelILj256ELj8EliddddEEvbT2_NS_24const_host_device_scalarIT6_EEPKT1_S7_PKS1_PKT3_PKT4_S4_PT5_21rocsparse_index_base_b
    .private_segment_fixed_size: 0
    .sgpr_count:     28
    .sgpr_spill_count: 0
    .symbol:         _ZN9rocsparseL21csrmvn_general_kernelILj256ELj8EliddddEEvbT2_NS_24const_host_device_scalarIT6_EEPKT1_S7_PKS1_PKT3_PKT4_S4_PT5_21rocsparse_index_base_b.kd
    .uniform_work_group_size: 1
    .uses_dynamic_stack: false
    .vgpr_count:     28
    .vgpr_spill_count: 0
    .wavefront_size: 64
  - .agpr_count:     0
    .args:
      - .offset:         0
        .size:           1
        .value_kind:     by_value
      - .offset:         4
        .size:           4
        .value_kind:     by_value
      - .offset:         8
        .size:           8
        .value_kind:     by_value
      - .address_space:  global
        .offset:         16
        .size:           8
        .value_kind:     global_buffer
      - .address_space:  global
        .offset:         24
        .size:           8
        .value_kind:     global_buffer
      - .actual_access:  read_only
        .address_space:  global
        .offset:         32
        .size:           8
        .value_kind:     global_buffer
      - .actual_access:  read_only
        .address_space:  global
        .offset:         40
        .size:           8
        .value_kind:     global_buffer
      - .actual_access:  read_only
        .address_space:  global
        .offset:         48
        .size:           8
        .value_kind:     global_buffer
      - .offset:         56
        .size:           8
        .value_kind:     by_value
      - .address_space:  global
        .offset:         64
        .size:           8
        .value_kind:     global_buffer
      - .offset:         72
        .size:           4
        .value_kind:     by_value
      - .offset:         76
        .size:           1
        .value_kind:     by_value
      - .offset:         80
        .size:           4
        .value_kind:     hidden_block_count_x
      - .offset:         84
        .size:           4
        .value_kind:     hidden_block_count_y
      - .offset:         88
        .size:           4
        .value_kind:     hidden_block_count_z
      - .offset:         92
        .size:           2
        .value_kind:     hidden_group_size_x
      - .offset:         94
        .size:           2
        .value_kind:     hidden_group_size_y
      - .offset:         96
        .size:           2
        .value_kind:     hidden_group_size_z
      - .offset:         98
        .size:           2
        .value_kind:     hidden_remainder_x
      - .offset:         100
        .size:           2
        .value_kind:     hidden_remainder_y
      - .offset:         102
        .size:           2
        .value_kind:     hidden_remainder_z
      - .offset:         120
        .size:           8
        .value_kind:     hidden_global_offset_x
      - .offset:         128
        .size:           8
        .value_kind:     hidden_global_offset_y
      - .offset:         136
        .size:           8
        .value_kind:     hidden_global_offset_z
      - .offset:         144
        .size:           2
        .value_kind:     hidden_grid_dims
    .group_segment_fixed_size: 0
    .kernarg_segment_align: 8
    .kernarg_segment_size: 336
    .language:       OpenCL C
    .language_version:
      - 2
      - 0
    .max_flat_workgroup_size: 256
    .name:           _ZN9rocsparseL21csrmvn_general_kernelILj256ELj16EliddddEEvbT2_NS_24const_host_device_scalarIT6_EEPKT1_S7_PKS1_PKT3_PKT4_S4_PT5_21rocsparse_index_base_b
    .private_segment_fixed_size: 0
    .sgpr_count:     30
    .sgpr_spill_count: 0
    .symbol:         _ZN9rocsparseL21csrmvn_general_kernelILj256ELj16EliddddEEvbT2_NS_24const_host_device_scalarIT6_EEPKT1_S7_PKS1_PKT3_PKT4_S4_PT5_21rocsparse_index_base_b.kd
    .uniform_work_group_size: 1
    .uses_dynamic_stack: false
    .vgpr_count:     28
    .vgpr_spill_count: 0
    .wavefront_size: 64
  - .agpr_count:     0
    .args:
      - .offset:         0
        .size:           1
        .value_kind:     by_value
      - .offset:         4
        .size:           4
        .value_kind:     by_value
      - .offset:         8
        .size:           8
        .value_kind:     by_value
      - .address_space:  global
        .offset:         16
        .size:           8
        .value_kind:     global_buffer
      - .address_space:  global
        .offset:         24
        .size:           8
        .value_kind:     global_buffer
      - .actual_access:  read_only
        .address_space:  global
        .offset:         32
        .size:           8
        .value_kind:     global_buffer
      - .actual_access:  read_only
        .address_space:  global
        .offset:         40
        .size:           8
        .value_kind:     global_buffer
      - .actual_access:  read_only
        .address_space:  global
        .offset:         48
        .size:           8
        .value_kind:     global_buffer
      - .offset:         56
        .size:           8
        .value_kind:     by_value
      - .address_space:  global
        .offset:         64
        .size:           8
        .value_kind:     global_buffer
      - .offset:         72
        .size:           4
        .value_kind:     by_value
      - .offset:         76
        .size:           1
        .value_kind:     by_value
      - .offset:         80
        .size:           4
        .value_kind:     hidden_block_count_x
      - .offset:         84
        .size:           4
        .value_kind:     hidden_block_count_y
      - .offset:         88
        .size:           4
        .value_kind:     hidden_block_count_z
      - .offset:         92
        .size:           2
        .value_kind:     hidden_group_size_x
      - .offset:         94
        .size:           2
        .value_kind:     hidden_group_size_y
      - .offset:         96
        .size:           2
        .value_kind:     hidden_group_size_z
      - .offset:         98
        .size:           2
        .value_kind:     hidden_remainder_x
      - .offset:         100
        .size:           2
        .value_kind:     hidden_remainder_y
      - .offset:         102
        .size:           2
        .value_kind:     hidden_remainder_z
      - .offset:         120
        .size:           8
        .value_kind:     hidden_global_offset_x
      - .offset:         128
        .size:           8
        .value_kind:     hidden_global_offset_y
      - .offset:         136
        .size:           8
        .value_kind:     hidden_global_offset_z
      - .offset:         144
        .size:           2
        .value_kind:     hidden_grid_dims
    .group_segment_fixed_size: 0
    .kernarg_segment_align: 8
    .kernarg_segment_size: 336
    .language:       OpenCL C
    .language_version:
      - 2
      - 0
    .max_flat_workgroup_size: 256
    .name:           _ZN9rocsparseL21csrmvn_general_kernelILj256ELj32EliddddEEvbT2_NS_24const_host_device_scalarIT6_EEPKT1_S7_PKS1_PKT3_PKT4_S4_PT5_21rocsparse_index_base_b
    .private_segment_fixed_size: 0
    .sgpr_count:     30
    .sgpr_spill_count: 0
    .symbol:         _ZN9rocsparseL21csrmvn_general_kernelILj256ELj32EliddddEEvbT2_NS_24const_host_device_scalarIT6_EEPKT1_S7_PKS1_PKT3_PKT4_S4_PT5_21rocsparse_index_base_b.kd
    .uniform_work_group_size: 1
    .uses_dynamic_stack: false
    .vgpr_count:     28
    .vgpr_spill_count: 0
    .wavefront_size: 64
  - .agpr_count:     0
    .args:
      - .offset:         0
        .size:           1
        .value_kind:     by_value
      - .offset:         4
        .size:           4
        .value_kind:     by_value
      - .offset:         8
        .size:           8
        .value_kind:     by_value
      - .address_space:  global
        .offset:         16
        .size:           8
        .value_kind:     global_buffer
      - .address_space:  global
        .offset:         24
        .size:           8
        .value_kind:     global_buffer
      - .actual_access:  read_only
        .address_space:  global
        .offset:         32
        .size:           8
        .value_kind:     global_buffer
      - .actual_access:  read_only
        .address_space:  global
        .offset:         40
        .size:           8
        .value_kind:     global_buffer
      - .actual_access:  read_only
        .address_space:  global
        .offset:         48
        .size:           8
        .value_kind:     global_buffer
      - .offset:         56
        .size:           8
        .value_kind:     by_value
      - .address_space:  global
        .offset:         64
        .size:           8
        .value_kind:     global_buffer
      - .offset:         72
        .size:           4
        .value_kind:     by_value
      - .offset:         76
        .size:           1
        .value_kind:     by_value
      - .offset:         80
        .size:           4
        .value_kind:     hidden_block_count_x
      - .offset:         84
        .size:           4
        .value_kind:     hidden_block_count_y
      - .offset:         88
        .size:           4
        .value_kind:     hidden_block_count_z
      - .offset:         92
        .size:           2
        .value_kind:     hidden_group_size_x
      - .offset:         94
        .size:           2
        .value_kind:     hidden_group_size_y
      - .offset:         96
        .size:           2
        .value_kind:     hidden_group_size_z
      - .offset:         98
        .size:           2
        .value_kind:     hidden_remainder_x
      - .offset:         100
        .size:           2
        .value_kind:     hidden_remainder_y
      - .offset:         102
        .size:           2
        .value_kind:     hidden_remainder_z
      - .offset:         120
        .size:           8
        .value_kind:     hidden_global_offset_x
      - .offset:         128
        .size:           8
        .value_kind:     hidden_global_offset_y
      - .offset:         136
        .size:           8
        .value_kind:     hidden_global_offset_z
      - .offset:         144
        .size:           2
        .value_kind:     hidden_grid_dims
    .group_segment_fixed_size: 0
    .kernarg_segment_align: 8
    .kernarg_segment_size: 336
    .language:       OpenCL C
    .language_version:
      - 2
      - 0
    .max_flat_workgroup_size: 256
    .name:           _ZN9rocsparseL21csrmvn_general_kernelILj256ELj64EliddddEEvbT2_NS_24const_host_device_scalarIT6_EEPKT1_S7_PKS1_PKT3_PKT4_S4_PT5_21rocsparse_index_base_b
    .private_segment_fixed_size: 0
    .sgpr_count:     30
    .sgpr_spill_count: 0
    .symbol:         _ZN9rocsparseL21csrmvn_general_kernelILj256ELj64EliddddEEvbT2_NS_24const_host_device_scalarIT6_EEPKT1_S7_PKS1_PKT3_PKT4_S4_PT5_21rocsparse_index_base_b.kd
    .uniform_work_group_size: 1
    .uses_dynamic_stack: false
    .vgpr_count:     28
    .vgpr_spill_count: 0
    .wavefront_size: 64
  - .agpr_count:     0
    .args:
      - .offset:         0
        .size:           1
        .value_kind:     by_value
      - .offset:         1
        .size:           1
        .value_kind:     by_value
      - .offset:         4
        .size:           4
        .value_kind:     by_value
      - .offset:         8
        .size:           8
        .value_kind:     by_value
      - .address_space:  global
        .offset:         16
        .size:           8
        .value_kind:     global_buffer
      - .address_space:  global
        .offset:         24
        .size:           8
        .value_kind:     global_buffer
      - .actual_access:  read_only
        .address_space:  global
        .offset:         32
        .size:           8
        .value_kind:     global_buffer
      - .actual_access:  read_only
        .address_space:  global
        .offset:         40
        .size:           8
        .value_kind:     global_buffer
      - .actual_access:  read_only
        .address_space:  global
        .offset:         48
        .size:           8
        .value_kind:     global_buffer
      - .address_space:  global
        .offset:         56
        .size:           8
        .value_kind:     global_buffer
      - .offset:         64
        .size:           4
        .value_kind:     by_value
      - .offset:         68
        .size:           1
        .value_kind:     by_value
      - .offset:         72
        .size:           4
        .value_kind:     hidden_block_count_x
      - .offset:         76
        .size:           4
        .value_kind:     hidden_block_count_y
      - .offset:         80
        .size:           4
        .value_kind:     hidden_block_count_z
      - .offset:         84
        .size:           2
        .value_kind:     hidden_group_size_x
      - .offset:         86
        .size:           2
        .value_kind:     hidden_group_size_y
      - .offset:         88
        .size:           2
        .value_kind:     hidden_group_size_z
      - .offset:         90
        .size:           2
        .value_kind:     hidden_remainder_x
      - .offset:         92
        .size:           2
        .value_kind:     hidden_remainder_y
      - .offset:         94
        .size:           2
        .value_kind:     hidden_remainder_z
      - .offset:         112
        .size:           8
        .value_kind:     hidden_global_offset_x
      - .offset:         120
        .size:           8
        .value_kind:     hidden_global_offset_y
      - .offset:         128
        .size:           8
        .value_kind:     hidden_global_offset_z
      - .offset:         136
        .size:           2
        .value_kind:     hidden_grid_dims
    .group_segment_fixed_size: 0
    .kernarg_segment_align: 8
    .kernarg_segment_size: 328
    .language:       OpenCL C
    .language_version:
      - 2
      - 0
    .max_flat_workgroup_size: 256
    .name:           _ZN9rocsparseL21csrmvt_general_kernelILj256ELj4EliddddEEvbbT2_NS_24const_host_device_scalarIT6_EEPKT1_S7_PKS1_PKT3_PKT4_PT5_21rocsparse_index_base_b
    .private_segment_fixed_size: 0
    .sgpr_count:     32
    .sgpr_spill_count: 0
    .symbol:         _ZN9rocsparseL21csrmvt_general_kernelILj256ELj4EliddddEEvbbT2_NS_24const_host_device_scalarIT6_EEPKT1_S7_PKS1_PKT3_PKT4_PT5_21rocsparse_index_base_b.kd
    .uniform_work_group_size: 1
    .uses_dynamic_stack: false
    .vgpr_count:     25
    .vgpr_spill_count: 0
    .wavefront_size: 64
  - .agpr_count:     0
    .args:
      - .offset:         0
        .size:           1
        .value_kind:     by_value
      - .offset:         1
        .size:           1
        .value_kind:     by_value
      - .offset:         4
        .size:           4
        .value_kind:     by_value
      - .offset:         8
        .size:           8
        .value_kind:     by_value
      - .address_space:  global
        .offset:         16
        .size:           8
        .value_kind:     global_buffer
      - .address_space:  global
        .offset:         24
        .size:           8
        .value_kind:     global_buffer
      - .actual_access:  read_only
        .address_space:  global
        .offset:         32
        .size:           8
        .value_kind:     global_buffer
      - .actual_access:  read_only
        .address_space:  global
        .offset:         40
        .size:           8
        .value_kind:     global_buffer
      - .actual_access:  read_only
        .address_space:  global
        .offset:         48
        .size:           8
        .value_kind:     global_buffer
      - .address_space:  global
        .offset:         56
        .size:           8
        .value_kind:     global_buffer
      - .offset:         64
        .size:           4
        .value_kind:     by_value
      - .offset:         68
        .size:           1
        .value_kind:     by_value
      - .offset:         72
        .size:           4
        .value_kind:     hidden_block_count_x
      - .offset:         76
        .size:           4
        .value_kind:     hidden_block_count_y
      - .offset:         80
        .size:           4
        .value_kind:     hidden_block_count_z
      - .offset:         84
        .size:           2
        .value_kind:     hidden_group_size_x
      - .offset:         86
        .size:           2
        .value_kind:     hidden_group_size_y
      - .offset:         88
        .size:           2
        .value_kind:     hidden_group_size_z
      - .offset:         90
        .size:           2
        .value_kind:     hidden_remainder_x
      - .offset:         92
        .size:           2
        .value_kind:     hidden_remainder_y
      - .offset:         94
        .size:           2
        .value_kind:     hidden_remainder_z
      - .offset:         112
        .size:           8
        .value_kind:     hidden_global_offset_x
      - .offset:         120
        .size:           8
        .value_kind:     hidden_global_offset_y
      - .offset:         128
        .size:           8
        .value_kind:     hidden_global_offset_z
      - .offset:         136
        .size:           2
        .value_kind:     hidden_grid_dims
    .group_segment_fixed_size: 0
    .kernarg_segment_align: 8
    .kernarg_segment_size: 328
    .language:       OpenCL C
    .language_version:
      - 2
      - 0
    .max_flat_workgroup_size: 256
    .name:           _ZN9rocsparseL21csrmvt_general_kernelILj256ELj8EliddddEEvbbT2_NS_24const_host_device_scalarIT6_EEPKT1_S7_PKS1_PKT3_PKT4_PT5_21rocsparse_index_base_b
    .private_segment_fixed_size: 0
    .sgpr_count:     32
    .sgpr_spill_count: 0
    .symbol:         _ZN9rocsparseL21csrmvt_general_kernelILj256ELj8EliddddEEvbbT2_NS_24const_host_device_scalarIT6_EEPKT1_S7_PKS1_PKT3_PKT4_PT5_21rocsparse_index_base_b.kd
    .uniform_work_group_size: 1
    .uses_dynamic_stack: false
    .vgpr_count:     25
    .vgpr_spill_count: 0
    .wavefront_size: 64
  - .agpr_count:     0
    .args:
      - .offset:         0
        .size:           1
        .value_kind:     by_value
      - .offset:         1
        .size:           1
        .value_kind:     by_value
      - .offset:         4
        .size:           4
        .value_kind:     by_value
      - .offset:         8
        .size:           8
        .value_kind:     by_value
      - .address_space:  global
        .offset:         16
        .size:           8
        .value_kind:     global_buffer
      - .address_space:  global
        .offset:         24
        .size:           8
        .value_kind:     global_buffer
      - .actual_access:  read_only
        .address_space:  global
        .offset:         32
        .size:           8
        .value_kind:     global_buffer
      - .actual_access:  read_only
        .address_space:  global
        .offset:         40
        .size:           8
        .value_kind:     global_buffer
      - .actual_access:  read_only
        .address_space:  global
        .offset:         48
        .size:           8
        .value_kind:     global_buffer
      - .address_space:  global
        .offset:         56
        .size:           8
        .value_kind:     global_buffer
      - .offset:         64
        .size:           4
        .value_kind:     by_value
      - .offset:         68
        .size:           1
        .value_kind:     by_value
      - .offset:         72
        .size:           4
        .value_kind:     hidden_block_count_x
      - .offset:         76
        .size:           4
        .value_kind:     hidden_block_count_y
      - .offset:         80
        .size:           4
        .value_kind:     hidden_block_count_z
      - .offset:         84
        .size:           2
        .value_kind:     hidden_group_size_x
      - .offset:         86
        .size:           2
        .value_kind:     hidden_group_size_y
      - .offset:         88
        .size:           2
        .value_kind:     hidden_group_size_z
      - .offset:         90
        .size:           2
        .value_kind:     hidden_remainder_x
      - .offset:         92
        .size:           2
        .value_kind:     hidden_remainder_y
      - .offset:         94
        .size:           2
        .value_kind:     hidden_remainder_z
      - .offset:         112
        .size:           8
        .value_kind:     hidden_global_offset_x
      - .offset:         120
        .size:           8
        .value_kind:     hidden_global_offset_y
      - .offset:         128
        .size:           8
        .value_kind:     hidden_global_offset_z
      - .offset:         136
        .size:           2
        .value_kind:     hidden_grid_dims
    .group_segment_fixed_size: 0
    .kernarg_segment_align: 8
    .kernarg_segment_size: 328
    .language:       OpenCL C
    .language_version:
      - 2
      - 0
    .max_flat_workgroup_size: 256
    .name:           _ZN9rocsparseL21csrmvt_general_kernelILj256ELj16EliddddEEvbbT2_NS_24const_host_device_scalarIT6_EEPKT1_S7_PKS1_PKT3_PKT4_PT5_21rocsparse_index_base_b
    .private_segment_fixed_size: 0
    .sgpr_count:     32
    .sgpr_spill_count: 0
    .symbol:         _ZN9rocsparseL21csrmvt_general_kernelILj256ELj16EliddddEEvbbT2_NS_24const_host_device_scalarIT6_EEPKT1_S7_PKS1_PKT3_PKT4_PT5_21rocsparse_index_base_b.kd
    .uniform_work_group_size: 1
    .uses_dynamic_stack: false
    .vgpr_count:     25
    .vgpr_spill_count: 0
    .wavefront_size: 64
  - .agpr_count:     0
    .args:
      - .offset:         0
        .size:           1
        .value_kind:     by_value
      - .offset:         1
        .size:           1
        .value_kind:     by_value
      - .offset:         4
        .size:           4
        .value_kind:     by_value
      - .offset:         8
        .size:           8
        .value_kind:     by_value
      - .address_space:  global
        .offset:         16
        .size:           8
        .value_kind:     global_buffer
      - .address_space:  global
        .offset:         24
        .size:           8
        .value_kind:     global_buffer
      - .actual_access:  read_only
        .address_space:  global
        .offset:         32
        .size:           8
        .value_kind:     global_buffer
      - .actual_access:  read_only
        .address_space:  global
        .offset:         40
        .size:           8
        .value_kind:     global_buffer
      - .actual_access:  read_only
        .address_space:  global
        .offset:         48
        .size:           8
        .value_kind:     global_buffer
      - .address_space:  global
        .offset:         56
        .size:           8
        .value_kind:     global_buffer
      - .offset:         64
        .size:           4
        .value_kind:     by_value
      - .offset:         68
        .size:           1
        .value_kind:     by_value
      - .offset:         72
        .size:           4
        .value_kind:     hidden_block_count_x
      - .offset:         76
        .size:           4
        .value_kind:     hidden_block_count_y
      - .offset:         80
        .size:           4
        .value_kind:     hidden_block_count_z
      - .offset:         84
        .size:           2
        .value_kind:     hidden_group_size_x
      - .offset:         86
        .size:           2
        .value_kind:     hidden_group_size_y
      - .offset:         88
        .size:           2
        .value_kind:     hidden_group_size_z
      - .offset:         90
        .size:           2
        .value_kind:     hidden_remainder_x
      - .offset:         92
        .size:           2
        .value_kind:     hidden_remainder_y
      - .offset:         94
        .size:           2
        .value_kind:     hidden_remainder_z
      - .offset:         112
        .size:           8
        .value_kind:     hidden_global_offset_x
      - .offset:         120
        .size:           8
        .value_kind:     hidden_global_offset_y
      - .offset:         128
        .size:           8
        .value_kind:     hidden_global_offset_z
      - .offset:         136
        .size:           2
        .value_kind:     hidden_grid_dims
    .group_segment_fixed_size: 0
    .kernarg_segment_align: 8
    .kernarg_segment_size: 328
    .language:       OpenCL C
    .language_version:
      - 2
      - 0
    .max_flat_workgroup_size: 256
    .name:           _ZN9rocsparseL21csrmvt_general_kernelILj256ELj32EliddddEEvbbT2_NS_24const_host_device_scalarIT6_EEPKT1_S7_PKS1_PKT3_PKT4_PT5_21rocsparse_index_base_b
    .private_segment_fixed_size: 0
    .sgpr_count:     32
    .sgpr_spill_count: 0
    .symbol:         _ZN9rocsparseL21csrmvt_general_kernelILj256ELj32EliddddEEvbbT2_NS_24const_host_device_scalarIT6_EEPKT1_S7_PKS1_PKT3_PKT4_PT5_21rocsparse_index_base_b.kd
    .uniform_work_group_size: 1
    .uses_dynamic_stack: false
    .vgpr_count:     25
    .vgpr_spill_count: 0
    .wavefront_size: 64
  - .agpr_count:     0
    .args:
      - .offset:         0
        .size:           1
        .value_kind:     by_value
      - .offset:         1
        .size:           1
        .value_kind:     by_value
      - .offset:         4
        .size:           4
        .value_kind:     by_value
      - .offset:         8
        .size:           8
        .value_kind:     by_value
      - .address_space:  global
        .offset:         16
        .size:           8
        .value_kind:     global_buffer
      - .address_space:  global
        .offset:         24
        .size:           8
        .value_kind:     global_buffer
      - .actual_access:  read_only
        .address_space:  global
        .offset:         32
        .size:           8
        .value_kind:     global_buffer
      - .actual_access:  read_only
        .address_space:  global
        .offset:         40
        .size:           8
        .value_kind:     global_buffer
      - .actual_access:  read_only
        .address_space:  global
        .offset:         48
        .size:           8
        .value_kind:     global_buffer
      - .address_space:  global
        .offset:         56
        .size:           8
        .value_kind:     global_buffer
      - .offset:         64
        .size:           4
        .value_kind:     by_value
      - .offset:         68
        .size:           1
        .value_kind:     by_value
      - .offset:         72
        .size:           4
        .value_kind:     hidden_block_count_x
      - .offset:         76
        .size:           4
        .value_kind:     hidden_block_count_y
      - .offset:         80
        .size:           4
        .value_kind:     hidden_block_count_z
      - .offset:         84
        .size:           2
        .value_kind:     hidden_group_size_x
      - .offset:         86
        .size:           2
        .value_kind:     hidden_group_size_y
      - .offset:         88
        .size:           2
        .value_kind:     hidden_group_size_z
      - .offset:         90
        .size:           2
        .value_kind:     hidden_remainder_x
      - .offset:         92
        .size:           2
        .value_kind:     hidden_remainder_y
      - .offset:         94
        .size:           2
        .value_kind:     hidden_remainder_z
      - .offset:         112
        .size:           8
        .value_kind:     hidden_global_offset_x
      - .offset:         120
        .size:           8
        .value_kind:     hidden_global_offset_y
      - .offset:         128
        .size:           8
        .value_kind:     hidden_global_offset_z
      - .offset:         136
        .size:           2
        .value_kind:     hidden_grid_dims
    .group_segment_fixed_size: 0
    .kernarg_segment_align: 8
    .kernarg_segment_size: 328
    .language:       OpenCL C
    .language_version:
      - 2
      - 0
    .max_flat_workgroup_size: 256
    .name:           _ZN9rocsparseL21csrmvt_general_kernelILj256ELj64EliddddEEvbbT2_NS_24const_host_device_scalarIT6_EEPKT1_S7_PKS1_PKT3_PKT4_PT5_21rocsparse_index_base_b
    .private_segment_fixed_size: 0
    .sgpr_count:     32
    .sgpr_spill_count: 0
    .symbol:         _ZN9rocsparseL21csrmvt_general_kernelILj256ELj64EliddddEEvbbT2_NS_24const_host_device_scalarIT6_EEPKT1_S7_PKS1_PKT3_PKT4_PT5_21rocsparse_index_base_b.kd
    .uniform_work_group_size: 1
    .uses_dynamic_stack: false
    .vgpr_count:     25
    .vgpr_spill_count: 0
    .wavefront_size: 64
  - .agpr_count:     0
    .args:
      - .offset:         0
        .size:           1
        .value_kind:     by_value
      - .offset:         8
        .size:           8
        .value_kind:     by_value
      - .offset:         16
        .size:           8
        .value_kind:     by_value
      - .address_space:  global
        .offset:         24
        .size:           8
        .value_kind:     global_buffer
      - .address_space:  global
        .offset:         32
        .size:           8
        .value_kind:     global_buffer
      - .actual_access:  read_only
        .address_space:  global
        .offset:         40
        .size:           8
        .value_kind:     global_buffer
      - .actual_access:  read_only
        .address_space:  global
        .offset:         48
        .size:           8
        .value_kind:     global_buffer
      - .actual_access:  read_only
        .address_space:  global
        .offset:         56
        .size:           8
        .value_kind:     global_buffer
      - .offset:         64
        .size:           8
        .value_kind:     by_value
      - .address_space:  global
        .offset:         72
        .size:           8
        .value_kind:     global_buffer
      - .offset:         80
        .size:           4
        .value_kind:     by_value
      - .offset:         84
        .size:           1
        .value_kind:     by_value
      - .offset:         88
        .size:           4
        .value_kind:     hidden_block_count_x
      - .offset:         92
        .size:           4
        .value_kind:     hidden_block_count_y
      - .offset:         96
        .size:           4
        .value_kind:     hidden_block_count_z
      - .offset:         100
        .size:           2
        .value_kind:     hidden_group_size_x
      - .offset:         102
        .size:           2
        .value_kind:     hidden_group_size_y
      - .offset:         104
        .size:           2
        .value_kind:     hidden_group_size_z
      - .offset:         106
        .size:           2
        .value_kind:     hidden_remainder_x
      - .offset:         108
        .size:           2
        .value_kind:     hidden_remainder_y
      - .offset:         110
        .size:           2
        .value_kind:     hidden_remainder_z
      - .offset:         128
        .size:           8
        .value_kind:     hidden_global_offset_x
      - .offset:         136
        .size:           8
        .value_kind:     hidden_global_offset_y
      - .offset:         144
        .size:           8
        .value_kind:     hidden_global_offset_z
      - .offset:         152
        .size:           2
        .value_kind:     hidden_grid_dims
    .group_segment_fixed_size: 0
    .kernarg_segment_align: 8
    .kernarg_segment_size: 344
    .language:       OpenCL C
    .language_version:
      - 2
      - 0
    .max_flat_workgroup_size: 256
    .name:           _ZN9rocsparseL21csrmvn_general_kernelILj256ELj2EllddddEEvbT2_NS_24const_host_device_scalarIT6_EEPKT1_S7_PKS1_PKT3_PKT4_S4_PT5_21rocsparse_index_base_b
    .private_segment_fixed_size: 0
    .sgpr_count:     30
    .sgpr_spill_count: 0
    .symbol:         _ZN9rocsparseL21csrmvn_general_kernelILj256ELj2EllddddEEvbT2_NS_24const_host_device_scalarIT6_EEPKT1_S7_PKS1_PKT3_PKT4_S4_PT5_21rocsparse_index_base_b.kd
    .uniform_work_group_size: 1
    .uses_dynamic_stack: false
    .vgpr_count:     28
    .vgpr_spill_count: 0
    .wavefront_size: 64
  - .agpr_count:     0
    .args:
      - .offset:         0
        .size:           1
        .value_kind:     by_value
      - .offset:         8
        .size:           8
        .value_kind:     by_value
      - .offset:         16
        .size:           8
        .value_kind:     by_value
      - .address_space:  global
        .offset:         24
        .size:           8
        .value_kind:     global_buffer
      - .address_space:  global
        .offset:         32
        .size:           8
        .value_kind:     global_buffer
      - .actual_access:  read_only
        .address_space:  global
        .offset:         40
        .size:           8
        .value_kind:     global_buffer
      - .actual_access:  read_only
        .address_space:  global
        .offset:         48
        .size:           8
        .value_kind:     global_buffer
      - .actual_access:  read_only
        .address_space:  global
        .offset:         56
        .size:           8
        .value_kind:     global_buffer
      - .offset:         64
        .size:           8
        .value_kind:     by_value
      - .address_space:  global
        .offset:         72
        .size:           8
        .value_kind:     global_buffer
      - .offset:         80
        .size:           4
        .value_kind:     by_value
      - .offset:         84
        .size:           1
        .value_kind:     by_value
      - .offset:         88
        .size:           4
        .value_kind:     hidden_block_count_x
      - .offset:         92
        .size:           4
        .value_kind:     hidden_block_count_y
      - .offset:         96
        .size:           4
        .value_kind:     hidden_block_count_z
      - .offset:         100
        .size:           2
        .value_kind:     hidden_group_size_x
      - .offset:         102
        .size:           2
        .value_kind:     hidden_group_size_y
      - .offset:         104
        .size:           2
        .value_kind:     hidden_group_size_z
      - .offset:         106
        .size:           2
        .value_kind:     hidden_remainder_x
      - .offset:         108
        .size:           2
        .value_kind:     hidden_remainder_y
      - .offset:         110
        .size:           2
        .value_kind:     hidden_remainder_z
      - .offset:         128
        .size:           8
        .value_kind:     hidden_global_offset_x
      - .offset:         136
        .size:           8
        .value_kind:     hidden_global_offset_y
      - .offset:         144
        .size:           8
        .value_kind:     hidden_global_offset_z
      - .offset:         152
        .size:           2
        .value_kind:     hidden_grid_dims
    .group_segment_fixed_size: 0
    .kernarg_segment_align: 8
    .kernarg_segment_size: 344
    .language:       OpenCL C
    .language_version:
      - 2
      - 0
    .max_flat_workgroup_size: 256
    .name:           _ZN9rocsparseL21csrmvn_general_kernelILj256ELj4EllddddEEvbT2_NS_24const_host_device_scalarIT6_EEPKT1_S7_PKS1_PKT3_PKT4_S4_PT5_21rocsparse_index_base_b
    .private_segment_fixed_size: 0
    .sgpr_count:     30
    .sgpr_spill_count: 0
    .symbol:         _ZN9rocsparseL21csrmvn_general_kernelILj256ELj4EllddddEEvbT2_NS_24const_host_device_scalarIT6_EEPKT1_S7_PKS1_PKT3_PKT4_S4_PT5_21rocsparse_index_base_b.kd
    .uniform_work_group_size: 1
    .uses_dynamic_stack: false
    .vgpr_count:     28
    .vgpr_spill_count: 0
    .wavefront_size: 64
  - .agpr_count:     0
    .args:
      - .offset:         0
        .size:           1
        .value_kind:     by_value
      - .offset:         8
        .size:           8
        .value_kind:     by_value
      - .offset:         16
        .size:           8
        .value_kind:     by_value
      - .address_space:  global
        .offset:         24
        .size:           8
        .value_kind:     global_buffer
      - .address_space:  global
        .offset:         32
        .size:           8
        .value_kind:     global_buffer
      - .actual_access:  read_only
        .address_space:  global
        .offset:         40
        .size:           8
        .value_kind:     global_buffer
      - .actual_access:  read_only
        .address_space:  global
        .offset:         48
        .size:           8
        .value_kind:     global_buffer
      - .actual_access:  read_only
        .address_space:  global
        .offset:         56
        .size:           8
        .value_kind:     global_buffer
      - .offset:         64
        .size:           8
        .value_kind:     by_value
      - .address_space:  global
        .offset:         72
        .size:           8
        .value_kind:     global_buffer
      - .offset:         80
        .size:           4
        .value_kind:     by_value
      - .offset:         84
        .size:           1
        .value_kind:     by_value
      - .offset:         88
        .size:           4
        .value_kind:     hidden_block_count_x
      - .offset:         92
        .size:           4
        .value_kind:     hidden_block_count_y
      - .offset:         96
        .size:           4
        .value_kind:     hidden_block_count_z
      - .offset:         100
        .size:           2
        .value_kind:     hidden_group_size_x
      - .offset:         102
        .size:           2
        .value_kind:     hidden_group_size_y
      - .offset:         104
        .size:           2
        .value_kind:     hidden_group_size_z
      - .offset:         106
        .size:           2
        .value_kind:     hidden_remainder_x
      - .offset:         108
        .size:           2
        .value_kind:     hidden_remainder_y
      - .offset:         110
        .size:           2
        .value_kind:     hidden_remainder_z
      - .offset:         128
        .size:           8
        .value_kind:     hidden_global_offset_x
      - .offset:         136
        .size:           8
        .value_kind:     hidden_global_offset_y
      - .offset:         144
        .size:           8
        .value_kind:     hidden_global_offset_z
      - .offset:         152
        .size:           2
        .value_kind:     hidden_grid_dims
    .group_segment_fixed_size: 0
    .kernarg_segment_align: 8
    .kernarg_segment_size: 344
    .language:       OpenCL C
    .language_version:
      - 2
      - 0
    .max_flat_workgroup_size: 256
    .name:           _ZN9rocsparseL21csrmvn_general_kernelILj256ELj8EllddddEEvbT2_NS_24const_host_device_scalarIT6_EEPKT1_S7_PKS1_PKT3_PKT4_S4_PT5_21rocsparse_index_base_b
    .private_segment_fixed_size: 0
    .sgpr_count:     30
    .sgpr_spill_count: 0
    .symbol:         _ZN9rocsparseL21csrmvn_general_kernelILj256ELj8EllddddEEvbT2_NS_24const_host_device_scalarIT6_EEPKT1_S7_PKS1_PKT3_PKT4_S4_PT5_21rocsparse_index_base_b.kd
    .uniform_work_group_size: 1
    .uses_dynamic_stack: false
    .vgpr_count:     28
    .vgpr_spill_count: 0
    .wavefront_size: 64
  - .agpr_count:     0
    .args:
      - .offset:         0
        .size:           1
        .value_kind:     by_value
      - .offset:         8
        .size:           8
        .value_kind:     by_value
      - .offset:         16
        .size:           8
        .value_kind:     by_value
      - .address_space:  global
        .offset:         24
        .size:           8
        .value_kind:     global_buffer
      - .address_space:  global
        .offset:         32
        .size:           8
        .value_kind:     global_buffer
      - .actual_access:  read_only
        .address_space:  global
        .offset:         40
        .size:           8
        .value_kind:     global_buffer
      - .actual_access:  read_only
        .address_space:  global
        .offset:         48
        .size:           8
        .value_kind:     global_buffer
      - .actual_access:  read_only
        .address_space:  global
        .offset:         56
        .size:           8
        .value_kind:     global_buffer
      - .offset:         64
        .size:           8
        .value_kind:     by_value
      - .address_space:  global
        .offset:         72
        .size:           8
        .value_kind:     global_buffer
      - .offset:         80
        .size:           4
        .value_kind:     by_value
      - .offset:         84
        .size:           1
        .value_kind:     by_value
      - .offset:         88
        .size:           4
        .value_kind:     hidden_block_count_x
      - .offset:         92
        .size:           4
        .value_kind:     hidden_block_count_y
      - .offset:         96
        .size:           4
        .value_kind:     hidden_block_count_z
      - .offset:         100
        .size:           2
        .value_kind:     hidden_group_size_x
      - .offset:         102
        .size:           2
        .value_kind:     hidden_group_size_y
      - .offset:         104
        .size:           2
        .value_kind:     hidden_group_size_z
      - .offset:         106
        .size:           2
        .value_kind:     hidden_remainder_x
      - .offset:         108
        .size:           2
        .value_kind:     hidden_remainder_y
      - .offset:         110
        .size:           2
        .value_kind:     hidden_remainder_z
      - .offset:         128
        .size:           8
        .value_kind:     hidden_global_offset_x
      - .offset:         136
        .size:           8
        .value_kind:     hidden_global_offset_y
      - .offset:         144
        .size:           8
        .value_kind:     hidden_global_offset_z
      - .offset:         152
        .size:           2
        .value_kind:     hidden_grid_dims
    .group_segment_fixed_size: 0
    .kernarg_segment_align: 8
    .kernarg_segment_size: 344
    .language:       OpenCL C
    .language_version:
      - 2
      - 0
    .max_flat_workgroup_size: 256
    .name:           _ZN9rocsparseL21csrmvn_general_kernelILj256ELj16EllddddEEvbT2_NS_24const_host_device_scalarIT6_EEPKT1_S7_PKS1_PKT3_PKT4_S4_PT5_21rocsparse_index_base_b
    .private_segment_fixed_size: 0
    .sgpr_count:     32
    .sgpr_spill_count: 0
    .symbol:         _ZN9rocsparseL21csrmvn_general_kernelILj256ELj16EllddddEEvbT2_NS_24const_host_device_scalarIT6_EEPKT1_S7_PKS1_PKT3_PKT4_S4_PT5_21rocsparse_index_base_b.kd
    .uniform_work_group_size: 1
    .uses_dynamic_stack: false
    .vgpr_count:     28
    .vgpr_spill_count: 0
    .wavefront_size: 64
  - .agpr_count:     0
    .args:
      - .offset:         0
        .size:           1
        .value_kind:     by_value
      - .offset:         8
        .size:           8
        .value_kind:     by_value
      - .offset:         16
        .size:           8
        .value_kind:     by_value
      - .address_space:  global
        .offset:         24
        .size:           8
        .value_kind:     global_buffer
      - .address_space:  global
        .offset:         32
        .size:           8
        .value_kind:     global_buffer
      - .actual_access:  read_only
        .address_space:  global
        .offset:         40
        .size:           8
        .value_kind:     global_buffer
      - .actual_access:  read_only
        .address_space:  global
        .offset:         48
        .size:           8
        .value_kind:     global_buffer
      - .actual_access:  read_only
        .address_space:  global
        .offset:         56
        .size:           8
        .value_kind:     global_buffer
      - .offset:         64
        .size:           8
        .value_kind:     by_value
      - .address_space:  global
        .offset:         72
        .size:           8
        .value_kind:     global_buffer
      - .offset:         80
        .size:           4
        .value_kind:     by_value
      - .offset:         84
        .size:           1
        .value_kind:     by_value
      - .offset:         88
        .size:           4
        .value_kind:     hidden_block_count_x
      - .offset:         92
        .size:           4
        .value_kind:     hidden_block_count_y
      - .offset:         96
        .size:           4
        .value_kind:     hidden_block_count_z
      - .offset:         100
        .size:           2
        .value_kind:     hidden_group_size_x
      - .offset:         102
        .size:           2
        .value_kind:     hidden_group_size_y
      - .offset:         104
        .size:           2
        .value_kind:     hidden_group_size_z
      - .offset:         106
        .size:           2
        .value_kind:     hidden_remainder_x
      - .offset:         108
        .size:           2
        .value_kind:     hidden_remainder_y
      - .offset:         110
        .size:           2
        .value_kind:     hidden_remainder_z
      - .offset:         128
        .size:           8
        .value_kind:     hidden_global_offset_x
      - .offset:         136
        .size:           8
        .value_kind:     hidden_global_offset_y
      - .offset:         144
        .size:           8
        .value_kind:     hidden_global_offset_z
      - .offset:         152
        .size:           2
        .value_kind:     hidden_grid_dims
    .group_segment_fixed_size: 0
    .kernarg_segment_align: 8
    .kernarg_segment_size: 344
    .language:       OpenCL C
    .language_version:
      - 2
      - 0
    .max_flat_workgroup_size: 256
    .name:           _ZN9rocsparseL21csrmvn_general_kernelILj256ELj32EllddddEEvbT2_NS_24const_host_device_scalarIT6_EEPKT1_S7_PKS1_PKT3_PKT4_S4_PT5_21rocsparse_index_base_b
    .private_segment_fixed_size: 0
    .sgpr_count:     32
    .sgpr_spill_count: 0
    .symbol:         _ZN9rocsparseL21csrmvn_general_kernelILj256ELj32EllddddEEvbT2_NS_24const_host_device_scalarIT6_EEPKT1_S7_PKS1_PKT3_PKT4_S4_PT5_21rocsparse_index_base_b.kd
    .uniform_work_group_size: 1
    .uses_dynamic_stack: false
    .vgpr_count:     28
    .vgpr_spill_count: 0
    .wavefront_size: 64
  - .agpr_count:     0
    .args:
      - .offset:         0
        .size:           1
        .value_kind:     by_value
      - .offset:         8
        .size:           8
        .value_kind:     by_value
      - .offset:         16
        .size:           8
        .value_kind:     by_value
      - .address_space:  global
        .offset:         24
        .size:           8
        .value_kind:     global_buffer
      - .address_space:  global
        .offset:         32
        .size:           8
        .value_kind:     global_buffer
      - .actual_access:  read_only
        .address_space:  global
        .offset:         40
        .size:           8
        .value_kind:     global_buffer
      - .actual_access:  read_only
        .address_space:  global
        .offset:         48
        .size:           8
        .value_kind:     global_buffer
      - .actual_access:  read_only
        .address_space:  global
        .offset:         56
        .size:           8
        .value_kind:     global_buffer
      - .offset:         64
        .size:           8
        .value_kind:     by_value
      - .address_space:  global
        .offset:         72
        .size:           8
        .value_kind:     global_buffer
      - .offset:         80
        .size:           4
        .value_kind:     by_value
      - .offset:         84
        .size:           1
        .value_kind:     by_value
      - .offset:         88
        .size:           4
        .value_kind:     hidden_block_count_x
      - .offset:         92
        .size:           4
        .value_kind:     hidden_block_count_y
      - .offset:         96
        .size:           4
        .value_kind:     hidden_block_count_z
      - .offset:         100
        .size:           2
        .value_kind:     hidden_group_size_x
      - .offset:         102
        .size:           2
        .value_kind:     hidden_group_size_y
      - .offset:         104
        .size:           2
        .value_kind:     hidden_group_size_z
      - .offset:         106
        .size:           2
        .value_kind:     hidden_remainder_x
      - .offset:         108
        .size:           2
        .value_kind:     hidden_remainder_y
      - .offset:         110
        .size:           2
        .value_kind:     hidden_remainder_z
      - .offset:         128
        .size:           8
        .value_kind:     hidden_global_offset_x
      - .offset:         136
        .size:           8
        .value_kind:     hidden_global_offset_y
      - .offset:         144
        .size:           8
        .value_kind:     hidden_global_offset_z
      - .offset:         152
        .size:           2
        .value_kind:     hidden_grid_dims
    .group_segment_fixed_size: 0
    .kernarg_segment_align: 8
    .kernarg_segment_size: 344
    .language:       OpenCL C
    .language_version:
      - 2
      - 0
    .max_flat_workgroup_size: 256
    .name:           _ZN9rocsparseL21csrmvn_general_kernelILj256ELj64EllddddEEvbT2_NS_24const_host_device_scalarIT6_EEPKT1_S7_PKS1_PKT3_PKT4_S4_PT5_21rocsparse_index_base_b
    .private_segment_fixed_size: 0
    .sgpr_count:     32
    .sgpr_spill_count: 0
    .symbol:         _ZN9rocsparseL21csrmvn_general_kernelILj256ELj64EllddddEEvbT2_NS_24const_host_device_scalarIT6_EEPKT1_S7_PKS1_PKT3_PKT4_S4_PT5_21rocsparse_index_base_b.kd
    .uniform_work_group_size: 1
    .uses_dynamic_stack: false
    .vgpr_count:     28
    .vgpr_spill_count: 0
    .wavefront_size: 64
  - .agpr_count:     0
    .args:
      - .offset:         0
        .size:           1
        .value_kind:     by_value
      - .offset:         1
        .size:           1
        .value_kind:     by_value
      - .offset:         8
        .size:           8
        .value_kind:     by_value
      - .offset:         16
        .size:           8
        .value_kind:     by_value
      - .address_space:  global
        .offset:         24
        .size:           8
        .value_kind:     global_buffer
      - .address_space:  global
        .offset:         32
        .size:           8
        .value_kind:     global_buffer
      - .actual_access:  read_only
        .address_space:  global
        .offset:         40
        .size:           8
        .value_kind:     global_buffer
      - .actual_access:  read_only
        .address_space:  global
        .offset:         48
        .size:           8
        .value_kind:     global_buffer
      - .actual_access:  read_only
        .address_space:  global
        .offset:         56
        .size:           8
        .value_kind:     global_buffer
      - .address_space:  global
        .offset:         64
        .size:           8
        .value_kind:     global_buffer
      - .offset:         72
        .size:           4
        .value_kind:     by_value
      - .offset:         76
        .size:           1
        .value_kind:     by_value
      - .offset:         80
        .size:           4
        .value_kind:     hidden_block_count_x
      - .offset:         84
        .size:           4
        .value_kind:     hidden_block_count_y
      - .offset:         88
        .size:           4
        .value_kind:     hidden_block_count_z
      - .offset:         92
        .size:           2
        .value_kind:     hidden_group_size_x
      - .offset:         94
        .size:           2
        .value_kind:     hidden_group_size_y
      - .offset:         96
        .size:           2
        .value_kind:     hidden_group_size_z
      - .offset:         98
        .size:           2
        .value_kind:     hidden_remainder_x
      - .offset:         100
        .size:           2
        .value_kind:     hidden_remainder_y
      - .offset:         102
        .size:           2
        .value_kind:     hidden_remainder_z
      - .offset:         120
        .size:           8
        .value_kind:     hidden_global_offset_x
      - .offset:         128
        .size:           8
        .value_kind:     hidden_global_offset_y
      - .offset:         136
        .size:           8
        .value_kind:     hidden_global_offset_z
      - .offset:         144
        .size:           2
        .value_kind:     hidden_grid_dims
    .group_segment_fixed_size: 0
    .kernarg_segment_align: 8
    .kernarg_segment_size: 336
    .language:       OpenCL C
    .language_version:
      - 2
      - 0
    .max_flat_workgroup_size: 256
    .name:           _ZN9rocsparseL21csrmvt_general_kernelILj256ELj4EllddddEEvbbT2_NS_24const_host_device_scalarIT6_EEPKT1_S7_PKS1_PKT3_PKT4_PT5_21rocsparse_index_base_b
    .private_segment_fixed_size: 0
    .sgpr_count:     32
    .sgpr_spill_count: 0
    .symbol:         _ZN9rocsparseL21csrmvt_general_kernelILj256ELj4EllddddEEvbbT2_NS_24const_host_device_scalarIT6_EEPKT1_S7_PKS1_PKT3_PKT4_PT5_21rocsparse_index_base_b.kd
    .uniform_work_group_size: 1
    .uses_dynamic_stack: false
    .vgpr_count:     26
    .vgpr_spill_count: 0
    .wavefront_size: 64
  - .agpr_count:     0
    .args:
      - .offset:         0
        .size:           1
        .value_kind:     by_value
      - .offset:         1
        .size:           1
        .value_kind:     by_value
      - .offset:         8
        .size:           8
        .value_kind:     by_value
      - .offset:         16
        .size:           8
        .value_kind:     by_value
      - .address_space:  global
        .offset:         24
        .size:           8
        .value_kind:     global_buffer
      - .address_space:  global
        .offset:         32
        .size:           8
        .value_kind:     global_buffer
      - .actual_access:  read_only
        .address_space:  global
        .offset:         40
        .size:           8
        .value_kind:     global_buffer
      - .actual_access:  read_only
        .address_space:  global
        .offset:         48
        .size:           8
        .value_kind:     global_buffer
      - .actual_access:  read_only
        .address_space:  global
        .offset:         56
        .size:           8
        .value_kind:     global_buffer
      - .address_space:  global
        .offset:         64
        .size:           8
        .value_kind:     global_buffer
      - .offset:         72
        .size:           4
        .value_kind:     by_value
      - .offset:         76
        .size:           1
        .value_kind:     by_value
      - .offset:         80
        .size:           4
        .value_kind:     hidden_block_count_x
      - .offset:         84
        .size:           4
        .value_kind:     hidden_block_count_y
      - .offset:         88
        .size:           4
        .value_kind:     hidden_block_count_z
      - .offset:         92
        .size:           2
        .value_kind:     hidden_group_size_x
      - .offset:         94
        .size:           2
        .value_kind:     hidden_group_size_y
      - .offset:         96
        .size:           2
        .value_kind:     hidden_group_size_z
      - .offset:         98
        .size:           2
        .value_kind:     hidden_remainder_x
      - .offset:         100
        .size:           2
        .value_kind:     hidden_remainder_y
      - .offset:         102
        .size:           2
        .value_kind:     hidden_remainder_z
      - .offset:         120
        .size:           8
        .value_kind:     hidden_global_offset_x
      - .offset:         128
        .size:           8
        .value_kind:     hidden_global_offset_y
      - .offset:         136
        .size:           8
        .value_kind:     hidden_global_offset_z
      - .offset:         144
        .size:           2
        .value_kind:     hidden_grid_dims
    .group_segment_fixed_size: 0
    .kernarg_segment_align: 8
    .kernarg_segment_size: 336
    .language:       OpenCL C
    .language_version:
      - 2
      - 0
    .max_flat_workgroup_size: 256
    .name:           _ZN9rocsparseL21csrmvt_general_kernelILj256ELj8EllddddEEvbbT2_NS_24const_host_device_scalarIT6_EEPKT1_S7_PKS1_PKT3_PKT4_PT5_21rocsparse_index_base_b
    .private_segment_fixed_size: 0
    .sgpr_count:     32
    .sgpr_spill_count: 0
    .symbol:         _ZN9rocsparseL21csrmvt_general_kernelILj256ELj8EllddddEEvbbT2_NS_24const_host_device_scalarIT6_EEPKT1_S7_PKS1_PKT3_PKT4_PT5_21rocsparse_index_base_b.kd
    .uniform_work_group_size: 1
    .uses_dynamic_stack: false
    .vgpr_count:     26
    .vgpr_spill_count: 0
    .wavefront_size: 64
  - .agpr_count:     0
    .args:
      - .offset:         0
        .size:           1
        .value_kind:     by_value
      - .offset:         1
        .size:           1
        .value_kind:     by_value
      - .offset:         8
        .size:           8
        .value_kind:     by_value
      - .offset:         16
        .size:           8
        .value_kind:     by_value
      - .address_space:  global
        .offset:         24
        .size:           8
        .value_kind:     global_buffer
      - .address_space:  global
        .offset:         32
        .size:           8
        .value_kind:     global_buffer
      - .actual_access:  read_only
        .address_space:  global
        .offset:         40
        .size:           8
        .value_kind:     global_buffer
      - .actual_access:  read_only
        .address_space:  global
        .offset:         48
        .size:           8
        .value_kind:     global_buffer
      - .actual_access:  read_only
        .address_space:  global
        .offset:         56
        .size:           8
        .value_kind:     global_buffer
      - .address_space:  global
        .offset:         64
        .size:           8
        .value_kind:     global_buffer
      - .offset:         72
        .size:           4
        .value_kind:     by_value
      - .offset:         76
        .size:           1
        .value_kind:     by_value
      - .offset:         80
        .size:           4
        .value_kind:     hidden_block_count_x
      - .offset:         84
        .size:           4
        .value_kind:     hidden_block_count_y
      - .offset:         88
        .size:           4
        .value_kind:     hidden_block_count_z
      - .offset:         92
        .size:           2
        .value_kind:     hidden_group_size_x
      - .offset:         94
        .size:           2
        .value_kind:     hidden_group_size_y
      - .offset:         96
        .size:           2
        .value_kind:     hidden_group_size_z
      - .offset:         98
        .size:           2
        .value_kind:     hidden_remainder_x
      - .offset:         100
        .size:           2
        .value_kind:     hidden_remainder_y
      - .offset:         102
        .size:           2
        .value_kind:     hidden_remainder_z
      - .offset:         120
        .size:           8
        .value_kind:     hidden_global_offset_x
      - .offset:         128
        .size:           8
        .value_kind:     hidden_global_offset_y
      - .offset:         136
        .size:           8
        .value_kind:     hidden_global_offset_z
      - .offset:         144
        .size:           2
        .value_kind:     hidden_grid_dims
    .group_segment_fixed_size: 0
    .kernarg_segment_align: 8
    .kernarg_segment_size: 336
    .language:       OpenCL C
    .language_version:
      - 2
      - 0
    .max_flat_workgroup_size: 256
    .name:           _ZN9rocsparseL21csrmvt_general_kernelILj256ELj16EllddddEEvbbT2_NS_24const_host_device_scalarIT6_EEPKT1_S7_PKS1_PKT3_PKT4_PT5_21rocsparse_index_base_b
    .private_segment_fixed_size: 0
    .sgpr_count:     32
    .sgpr_spill_count: 0
    .symbol:         _ZN9rocsparseL21csrmvt_general_kernelILj256ELj16EllddddEEvbbT2_NS_24const_host_device_scalarIT6_EEPKT1_S7_PKS1_PKT3_PKT4_PT5_21rocsparse_index_base_b.kd
    .uniform_work_group_size: 1
    .uses_dynamic_stack: false
    .vgpr_count:     26
    .vgpr_spill_count: 0
    .wavefront_size: 64
  - .agpr_count:     0
    .args:
      - .offset:         0
        .size:           1
        .value_kind:     by_value
      - .offset:         1
        .size:           1
        .value_kind:     by_value
      - .offset:         8
        .size:           8
        .value_kind:     by_value
      - .offset:         16
        .size:           8
        .value_kind:     by_value
      - .address_space:  global
        .offset:         24
        .size:           8
        .value_kind:     global_buffer
      - .address_space:  global
        .offset:         32
        .size:           8
        .value_kind:     global_buffer
      - .actual_access:  read_only
        .address_space:  global
        .offset:         40
        .size:           8
        .value_kind:     global_buffer
      - .actual_access:  read_only
        .address_space:  global
        .offset:         48
        .size:           8
        .value_kind:     global_buffer
      - .actual_access:  read_only
        .address_space:  global
        .offset:         56
        .size:           8
        .value_kind:     global_buffer
      - .address_space:  global
        .offset:         64
        .size:           8
        .value_kind:     global_buffer
      - .offset:         72
        .size:           4
        .value_kind:     by_value
      - .offset:         76
        .size:           1
        .value_kind:     by_value
      - .offset:         80
        .size:           4
        .value_kind:     hidden_block_count_x
      - .offset:         84
        .size:           4
        .value_kind:     hidden_block_count_y
      - .offset:         88
        .size:           4
        .value_kind:     hidden_block_count_z
      - .offset:         92
        .size:           2
        .value_kind:     hidden_group_size_x
      - .offset:         94
        .size:           2
        .value_kind:     hidden_group_size_y
      - .offset:         96
        .size:           2
        .value_kind:     hidden_group_size_z
      - .offset:         98
        .size:           2
        .value_kind:     hidden_remainder_x
      - .offset:         100
        .size:           2
        .value_kind:     hidden_remainder_y
      - .offset:         102
        .size:           2
        .value_kind:     hidden_remainder_z
      - .offset:         120
        .size:           8
        .value_kind:     hidden_global_offset_x
      - .offset:         128
        .size:           8
        .value_kind:     hidden_global_offset_y
      - .offset:         136
        .size:           8
        .value_kind:     hidden_global_offset_z
      - .offset:         144
        .size:           2
        .value_kind:     hidden_grid_dims
    .group_segment_fixed_size: 0
    .kernarg_segment_align: 8
    .kernarg_segment_size: 336
    .language:       OpenCL C
    .language_version:
      - 2
      - 0
    .max_flat_workgroup_size: 256
    .name:           _ZN9rocsparseL21csrmvt_general_kernelILj256ELj32EllddddEEvbbT2_NS_24const_host_device_scalarIT6_EEPKT1_S7_PKS1_PKT3_PKT4_PT5_21rocsparse_index_base_b
    .private_segment_fixed_size: 0
    .sgpr_count:     32
    .sgpr_spill_count: 0
    .symbol:         _ZN9rocsparseL21csrmvt_general_kernelILj256ELj32EllddddEEvbbT2_NS_24const_host_device_scalarIT6_EEPKT1_S7_PKS1_PKT3_PKT4_PT5_21rocsparse_index_base_b.kd
    .uniform_work_group_size: 1
    .uses_dynamic_stack: false
    .vgpr_count:     26
    .vgpr_spill_count: 0
    .wavefront_size: 64
  - .agpr_count:     0
    .args:
      - .offset:         0
        .size:           1
        .value_kind:     by_value
      - .offset:         1
        .size:           1
        .value_kind:     by_value
      - .offset:         8
        .size:           8
        .value_kind:     by_value
      - .offset:         16
        .size:           8
        .value_kind:     by_value
      - .address_space:  global
        .offset:         24
        .size:           8
        .value_kind:     global_buffer
      - .address_space:  global
        .offset:         32
        .size:           8
        .value_kind:     global_buffer
      - .actual_access:  read_only
        .address_space:  global
        .offset:         40
        .size:           8
        .value_kind:     global_buffer
      - .actual_access:  read_only
        .address_space:  global
        .offset:         48
        .size:           8
        .value_kind:     global_buffer
      - .actual_access:  read_only
        .address_space:  global
        .offset:         56
        .size:           8
        .value_kind:     global_buffer
      - .address_space:  global
        .offset:         64
        .size:           8
        .value_kind:     global_buffer
      - .offset:         72
        .size:           4
        .value_kind:     by_value
      - .offset:         76
        .size:           1
        .value_kind:     by_value
      - .offset:         80
        .size:           4
        .value_kind:     hidden_block_count_x
      - .offset:         84
        .size:           4
        .value_kind:     hidden_block_count_y
      - .offset:         88
        .size:           4
        .value_kind:     hidden_block_count_z
      - .offset:         92
        .size:           2
        .value_kind:     hidden_group_size_x
      - .offset:         94
        .size:           2
        .value_kind:     hidden_group_size_y
      - .offset:         96
        .size:           2
        .value_kind:     hidden_group_size_z
      - .offset:         98
        .size:           2
        .value_kind:     hidden_remainder_x
      - .offset:         100
        .size:           2
        .value_kind:     hidden_remainder_y
      - .offset:         102
        .size:           2
        .value_kind:     hidden_remainder_z
      - .offset:         120
        .size:           8
        .value_kind:     hidden_global_offset_x
      - .offset:         128
        .size:           8
        .value_kind:     hidden_global_offset_y
      - .offset:         136
        .size:           8
        .value_kind:     hidden_global_offset_z
      - .offset:         144
        .size:           2
        .value_kind:     hidden_grid_dims
    .group_segment_fixed_size: 0
    .kernarg_segment_align: 8
    .kernarg_segment_size: 336
    .language:       OpenCL C
    .language_version:
      - 2
      - 0
    .max_flat_workgroup_size: 256
    .name:           _ZN9rocsparseL21csrmvt_general_kernelILj256ELj64EllddddEEvbbT2_NS_24const_host_device_scalarIT6_EEPKT1_S7_PKS1_PKT3_PKT4_PT5_21rocsparse_index_base_b
    .private_segment_fixed_size: 0
    .sgpr_count:     32
    .sgpr_spill_count: 0
    .symbol:         _ZN9rocsparseL21csrmvt_general_kernelILj256ELj64EllddddEEvbbT2_NS_24const_host_device_scalarIT6_EEPKT1_S7_PKS1_PKT3_PKT4_PT5_21rocsparse_index_base_b.kd
    .uniform_work_group_size: 1
    .uses_dynamic_stack: false
    .vgpr_count:     26
    .vgpr_spill_count: 0
    .wavefront_size: 64
  - .agpr_count:     0
    .args:
      - .offset:         0
        .size:           1
        .value_kind:     by_value
      - .offset:         4
        .size:           4
        .value_kind:     by_value
      - .offset:         8
        .size:           8
        .value_kind:     by_value
      - .address_space:  global
        .offset:         16
        .size:           8
        .value_kind:     global_buffer
      - .address_space:  global
        .offset:         24
        .size:           8
        .value_kind:     global_buffer
      - .actual_access:  read_only
        .address_space:  global
        .offset:         32
        .size:           8
        .value_kind:     global_buffer
      - .actual_access:  read_only
        .address_space:  global
        .offset:         40
        .size:           8
        .value_kind:     global_buffer
      - .actual_access:  read_only
        .address_space:  global
        .offset:         48
        .size:           8
        .value_kind:     global_buffer
      - .offset:         56
        .size:           8
        .value_kind:     by_value
      - .address_space:  global
        .offset:         64
        .size:           8
        .value_kind:     global_buffer
      - .offset:         72
        .size:           4
        .value_kind:     by_value
      - .offset:         76
        .size:           1
        .value_kind:     by_value
      - .offset:         80
        .size:           4
        .value_kind:     hidden_block_count_x
      - .offset:         84
        .size:           4
        .value_kind:     hidden_block_count_y
      - .offset:         88
        .size:           4
        .value_kind:     hidden_block_count_z
      - .offset:         92
        .size:           2
        .value_kind:     hidden_group_size_x
      - .offset:         94
        .size:           2
        .value_kind:     hidden_group_size_y
      - .offset:         96
        .size:           2
        .value_kind:     hidden_group_size_z
      - .offset:         98
        .size:           2
        .value_kind:     hidden_remainder_x
      - .offset:         100
        .size:           2
        .value_kind:     hidden_remainder_y
      - .offset:         102
        .size:           2
        .value_kind:     hidden_remainder_z
      - .offset:         120
        .size:           8
        .value_kind:     hidden_global_offset_x
      - .offset:         128
        .size:           8
        .value_kind:     hidden_global_offset_y
      - .offset:         136
        .size:           8
        .value_kind:     hidden_global_offset_z
      - .offset:         144
        .size:           2
        .value_kind:     hidden_grid_dims
    .group_segment_fixed_size: 0
    .kernarg_segment_align: 8
    .kernarg_segment_size: 336
    .language:       OpenCL C
    .language_version:
      - 2
      - 0
    .max_flat_workgroup_size: 256
    .name:           _ZN9rocsparseL21csrmvn_general_kernelILj256ELj2Eii21rocsparse_complex_numIfES2_S2_S2_EEvbT2_NS_24const_host_device_scalarIT6_EEPKT1_S9_PKS3_PKT3_PKT4_S6_PT5_21rocsparse_index_base_b
    .private_segment_fixed_size: 0
    .sgpr_count:     31
    .sgpr_spill_count: 0
    .symbol:         _ZN9rocsparseL21csrmvn_general_kernelILj256ELj2Eii21rocsparse_complex_numIfES2_S2_S2_EEvbT2_NS_24const_host_device_scalarIT6_EEPKT1_S9_PKS3_PKT3_PKT4_S6_PT5_21rocsparse_index_base_b.kd
    .uniform_work_group_size: 1
    .uses_dynamic_stack: false
    .vgpr_count:     24
    .vgpr_spill_count: 0
    .wavefront_size: 64
  - .agpr_count:     0
    .args:
      - .offset:         0
        .size:           1
        .value_kind:     by_value
      - .offset:         4
        .size:           4
        .value_kind:     by_value
      - .offset:         8
        .size:           8
        .value_kind:     by_value
      - .address_space:  global
        .offset:         16
        .size:           8
        .value_kind:     global_buffer
      - .address_space:  global
        .offset:         24
        .size:           8
        .value_kind:     global_buffer
      - .actual_access:  read_only
        .address_space:  global
        .offset:         32
        .size:           8
        .value_kind:     global_buffer
      - .actual_access:  read_only
        .address_space:  global
        .offset:         40
        .size:           8
        .value_kind:     global_buffer
      - .actual_access:  read_only
        .address_space:  global
        .offset:         48
        .size:           8
        .value_kind:     global_buffer
      - .offset:         56
        .size:           8
        .value_kind:     by_value
      - .address_space:  global
        .offset:         64
        .size:           8
        .value_kind:     global_buffer
      - .offset:         72
        .size:           4
        .value_kind:     by_value
      - .offset:         76
        .size:           1
        .value_kind:     by_value
      - .offset:         80
        .size:           4
        .value_kind:     hidden_block_count_x
      - .offset:         84
        .size:           4
        .value_kind:     hidden_block_count_y
      - .offset:         88
        .size:           4
        .value_kind:     hidden_block_count_z
      - .offset:         92
        .size:           2
        .value_kind:     hidden_group_size_x
      - .offset:         94
        .size:           2
        .value_kind:     hidden_group_size_y
      - .offset:         96
        .size:           2
        .value_kind:     hidden_group_size_z
      - .offset:         98
        .size:           2
        .value_kind:     hidden_remainder_x
      - .offset:         100
        .size:           2
        .value_kind:     hidden_remainder_y
      - .offset:         102
        .size:           2
        .value_kind:     hidden_remainder_z
      - .offset:         120
        .size:           8
        .value_kind:     hidden_global_offset_x
      - .offset:         128
        .size:           8
        .value_kind:     hidden_global_offset_y
      - .offset:         136
        .size:           8
        .value_kind:     hidden_global_offset_z
      - .offset:         144
        .size:           2
        .value_kind:     hidden_grid_dims
    .group_segment_fixed_size: 0
    .kernarg_segment_align: 8
    .kernarg_segment_size: 336
    .language:       OpenCL C
    .language_version:
      - 2
      - 0
    .max_flat_workgroup_size: 256
    .name:           _ZN9rocsparseL21csrmvn_general_kernelILj256ELj4Eii21rocsparse_complex_numIfES2_S2_S2_EEvbT2_NS_24const_host_device_scalarIT6_EEPKT1_S9_PKS3_PKT3_PKT4_S6_PT5_21rocsparse_index_base_b
    .private_segment_fixed_size: 0
    .sgpr_count:     31
    .sgpr_spill_count: 0
    .symbol:         _ZN9rocsparseL21csrmvn_general_kernelILj256ELj4Eii21rocsparse_complex_numIfES2_S2_S2_EEvbT2_NS_24const_host_device_scalarIT6_EEPKT1_S9_PKS3_PKT3_PKT4_S6_PT5_21rocsparse_index_base_b.kd
    .uniform_work_group_size: 1
    .uses_dynamic_stack: false
    .vgpr_count:     24
    .vgpr_spill_count: 0
    .wavefront_size: 64
  - .agpr_count:     0
    .args:
      - .offset:         0
        .size:           1
        .value_kind:     by_value
      - .offset:         4
        .size:           4
        .value_kind:     by_value
      - .offset:         8
        .size:           8
        .value_kind:     by_value
      - .address_space:  global
        .offset:         16
        .size:           8
        .value_kind:     global_buffer
      - .address_space:  global
        .offset:         24
        .size:           8
        .value_kind:     global_buffer
      - .actual_access:  read_only
        .address_space:  global
        .offset:         32
        .size:           8
        .value_kind:     global_buffer
      - .actual_access:  read_only
        .address_space:  global
        .offset:         40
        .size:           8
        .value_kind:     global_buffer
      - .actual_access:  read_only
        .address_space:  global
        .offset:         48
        .size:           8
        .value_kind:     global_buffer
      - .offset:         56
        .size:           8
        .value_kind:     by_value
      - .address_space:  global
        .offset:         64
        .size:           8
        .value_kind:     global_buffer
      - .offset:         72
        .size:           4
        .value_kind:     by_value
      - .offset:         76
        .size:           1
        .value_kind:     by_value
      - .offset:         80
        .size:           4
        .value_kind:     hidden_block_count_x
      - .offset:         84
        .size:           4
        .value_kind:     hidden_block_count_y
      - .offset:         88
        .size:           4
        .value_kind:     hidden_block_count_z
      - .offset:         92
        .size:           2
        .value_kind:     hidden_group_size_x
      - .offset:         94
        .size:           2
        .value_kind:     hidden_group_size_y
      - .offset:         96
        .size:           2
        .value_kind:     hidden_group_size_z
      - .offset:         98
        .size:           2
        .value_kind:     hidden_remainder_x
      - .offset:         100
        .size:           2
        .value_kind:     hidden_remainder_y
      - .offset:         102
        .size:           2
        .value_kind:     hidden_remainder_z
      - .offset:         120
        .size:           8
        .value_kind:     hidden_global_offset_x
      - .offset:         128
        .size:           8
        .value_kind:     hidden_global_offset_y
      - .offset:         136
        .size:           8
        .value_kind:     hidden_global_offset_z
      - .offset:         144
        .size:           2
        .value_kind:     hidden_grid_dims
    .group_segment_fixed_size: 0
    .kernarg_segment_align: 8
    .kernarg_segment_size: 336
    .language:       OpenCL C
    .language_version:
      - 2
      - 0
    .max_flat_workgroup_size: 256
    .name:           _ZN9rocsparseL21csrmvn_general_kernelILj256ELj8Eii21rocsparse_complex_numIfES2_S2_S2_EEvbT2_NS_24const_host_device_scalarIT6_EEPKT1_S9_PKS3_PKT3_PKT4_S6_PT5_21rocsparse_index_base_b
    .private_segment_fixed_size: 0
    .sgpr_count:     31
    .sgpr_spill_count: 0
    .symbol:         _ZN9rocsparseL21csrmvn_general_kernelILj256ELj8Eii21rocsparse_complex_numIfES2_S2_S2_EEvbT2_NS_24const_host_device_scalarIT6_EEPKT1_S9_PKS3_PKT3_PKT4_S6_PT5_21rocsparse_index_base_b.kd
    .uniform_work_group_size: 1
    .uses_dynamic_stack: false
    .vgpr_count:     24
    .vgpr_spill_count: 0
    .wavefront_size: 64
  - .agpr_count:     0
    .args:
      - .offset:         0
        .size:           1
        .value_kind:     by_value
      - .offset:         4
        .size:           4
        .value_kind:     by_value
      - .offset:         8
        .size:           8
        .value_kind:     by_value
      - .address_space:  global
        .offset:         16
        .size:           8
        .value_kind:     global_buffer
      - .address_space:  global
        .offset:         24
        .size:           8
        .value_kind:     global_buffer
      - .actual_access:  read_only
        .address_space:  global
        .offset:         32
        .size:           8
        .value_kind:     global_buffer
      - .actual_access:  read_only
        .address_space:  global
        .offset:         40
        .size:           8
        .value_kind:     global_buffer
      - .actual_access:  read_only
        .address_space:  global
        .offset:         48
        .size:           8
        .value_kind:     global_buffer
      - .offset:         56
        .size:           8
        .value_kind:     by_value
      - .address_space:  global
        .offset:         64
        .size:           8
        .value_kind:     global_buffer
      - .offset:         72
        .size:           4
        .value_kind:     by_value
      - .offset:         76
        .size:           1
        .value_kind:     by_value
      - .offset:         80
        .size:           4
        .value_kind:     hidden_block_count_x
      - .offset:         84
        .size:           4
        .value_kind:     hidden_block_count_y
      - .offset:         88
        .size:           4
        .value_kind:     hidden_block_count_z
      - .offset:         92
        .size:           2
        .value_kind:     hidden_group_size_x
      - .offset:         94
        .size:           2
        .value_kind:     hidden_group_size_y
      - .offset:         96
        .size:           2
        .value_kind:     hidden_group_size_z
      - .offset:         98
        .size:           2
        .value_kind:     hidden_remainder_x
      - .offset:         100
        .size:           2
        .value_kind:     hidden_remainder_y
      - .offset:         102
        .size:           2
        .value_kind:     hidden_remainder_z
      - .offset:         120
        .size:           8
        .value_kind:     hidden_global_offset_x
      - .offset:         128
        .size:           8
        .value_kind:     hidden_global_offset_y
      - .offset:         136
        .size:           8
        .value_kind:     hidden_global_offset_z
      - .offset:         144
        .size:           2
        .value_kind:     hidden_grid_dims
    .group_segment_fixed_size: 0
    .kernarg_segment_align: 8
    .kernarg_segment_size: 336
    .language:       OpenCL C
    .language_version:
      - 2
      - 0
    .max_flat_workgroup_size: 256
    .name:           _ZN9rocsparseL21csrmvn_general_kernelILj256ELj16Eii21rocsparse_complex_numIfES2_S2_S2_EEvbT2_NS_24const_host_device_scalarIT6_EEPKT1_S9_PKS3_PKT3_PKT4_S6_PT5_21rocsparse_index_base_b
    .private_segment_fixed_size: 0
    .sgpr_count:     31
    .sgpr_spill_count: 0
    .symbol:         _ZN9rocsparseL21csrmvn_general_kernelILj256ELj16Eii21rocsparse_complex_numIfES2_S2_S2_EEvbT2_NS_24const_host_device_scalarIT6_EEPKT1_S9_PKS3_PKT3_PKT4_S6_PT5_21rocsparse_index_base_b.kd
    .uniform_work_group_size: 1
    .uses_dynamic_stack: false
    .vgpr_count:     24
    .vgpr_spill_count: 0
    .wavefront_size: 64
  - .agpr_count:     0
    .args:
      - .offset:         0
        .size:           1
        .value_kind:     by_value
      - .offset:         4
        .size:           4
        .value_kind:     by_value
      - .offset:         8
        .size:           8
        .value_kind:     by_value
      - .address_space:  global
        .offset:         16
        .size:           8
        .value_kind:     global_buffer
      - .address_space:  global
        .offset:         24
        .size:           8
        .value_kind:     global_buffer
      - .actual_access:  read_only
        .address_space:  global
        .offset:         32
        .size:           8
        .value_kind:     global_buffer
      - .actual_access:  read_only
        .address_space:  global
        .offset:         40
        .size:           8
        .value_kind:     global_buffer
      - .actual_access:  read_only
        .address_space:  global
        .offset:         48
        .size:           8
        .value_kind:     global_buffer
      - .offset:         56
        .size:           8
        .value_kind:     by_value
      - .address_space:  global
        .offset:         64
        .size:           8
        .value_kind:     global_buffer
      - .offset:         72
        .size:           4
        .value_kind:     by_value
      - .offset:         76
        .size:           1
        .value_kind:     by_value
      - .offset:         80
        .size:           4
        .value_kind:     hidden_block_count_x
      - .offset:         84
        .size:           4
        .value_kind:     hidden_block_count_y
      - .offset:         88
        .size:           4
        .value_kind:     hidden_block_count_z
      - .offset:         92
        .size:           2
        .value_kind:     hidden_group_size_x
      - .offset:         94
        .size:           2
        .value_kind:     hidden_group_size_y
      - .offset:         96
        .size:           2
        .value_kind:     hidden_group_size_z
      - .offset:         98
        .size:           2
        .value_kind:     hidden_remainder_x
      - .offset:         100
        .size:           2
        .value_kind:     hidden_remainder_y
      - .offset:         102
        .size:           2
        .value_kind:     hidden_remainder_z
      - .offset:         120
        .size:           8
        .value_kind:     hidden_global_offset_x
      - .offset:         128
        .size:           8
        .value_kind:     hidden_global_offset_y
      - .offset:         136
        .size:           8
        .value_kind:     hidden_global_offset_z
      - .offset:         144
        .size:           2
        .value_kind:     hidden_grid_dims
    .group_segment_fixed_size: 0
    .kernarg_segment_align: 8
    .kernarg_segment_size: 336
    .language:       OpenCL C
    .language_version:
      - 2
      - 0
    .max_flat_workgroup_size: 256
    .name:           _ZN9rocsparseL21csrmvn_general_kernelILj256ELj32Eii21rocsparse_complex_numIfES2_S2_S2_EEvbT2_NS_24const_host_device_scalarIT6_EEPKT1_S9_PKS3_PKT3_PKT4_S6_PT5_21rocsparse_index_base_b
    .private_segment_fixed_size: 0
    .sgpr_count:     31
    .sgpr_spill_count: 0
    .symbol:         _ZN9rocsparseL21csrmvn_general_kernelILj256ELj32Eii21rocsparse_complex_numIfES2_S2_S2_EEvbT2_NS_24const_host_device_scalarIT6_EEPKT1_S9_PKS3_PKT3_PKT4_S6_PT5_21rocsparse_index_base_b.kd
    .uniform_work_group_size: 1
    .uses_dynamic_stack: false
    .vgpr_count:     24
    .vgpr_spill_count: 0
    .wavefront_size: 64
  - .agpr_count:     0
    .args:
      - .offset:         0
        .size:           1
        .value_kind:     by_value
      - .offset:         4
        .size:           4
        .value_kind:     by_value
      - .offset:         8
        .size:           8
        .value_kind:     by_value
      - .address_space:  global
        .offset:         16
        .size:           8
        .value_kind:     global_buffer
      - .address_space:  global
        .offset:         24
        .size:           8
        .value_kind:     global_buffer
      - .actual_access:  read_only
        .address_space:  global
        .offset:         32
        .size:           8
        .value_kind:     global_buffer
      - .actual_access:  read_only
        .address_space:  global
        .offset:         40
        .size:           8
        .value_kind:     global_buffer
      - .actual_access:  read_only
        .address_space:  global
        .offset:         48
        .size:           8
        .value_kind:     global_buffer
      - .offset:         56
        .size:           8
        .value_kind:     by_value
      - .address_space:  global
        .offset:         64
        .size:           8
        .value_kind:     global_buffer
      - .offset:         72
        .size:           4
        .value_kind:     by_value
      - .offset:         76
        .size:           1
        .value_kind:     by_value
      - .offset:         80
        .size:           4
        .value_kind:     hidden_block_count_x
      - .offset:         84
        .size:           4
        .value_kind:     hidden_block_count_y
      - .offset:         88
        .size:           4
        .value_kind:     hidden_block_count_z
      - .offset:         92
        .size:           2
        .value_kind:     hidden_group_size_x
      - .offset:         94
        .size:           2
        .value_kind:     hidden_group_size_y
      - .offset:         96
        .size:           2
        .value_kind:     hidden_group_size_z
      - .offset:         98
        .size:           2
        .value_kind:     hidden_remainder_x
      - .offset:         100
        .size:           2
        .value_kind:     hidden_remainder_y
      - .offset:         102
        .size:           2
        .value_kind:     hidden_remainder_z
      - .offset:         120
        .size:           8
        .value_kind:     hidden_global_offset_x
      - .offset:         128
        .size:           8
        .value_kind:     hidden_global_offset_y
      - .offset:         136
        .size:           8
        .value_kind:     hidden_global_offset_z
      - .offset:         144
        .size:           2
        .value_kind:     hidden_grid_dims
    .group_segment_fixed_size: 0
    .kernarg_segment_align: 8
    .kernarg_segment_size: 336
    .language:       OpenCL C
    .language_version:
      - 2
      - 0
    .max_flat_workgroup_size: 256
    .name:           _ZN9rocsparseL21csrmvn_general_kernelILj256ELj64Eii21rocsparse_complex_numIfES2_S2_S2_EEvbT2_NS_24const_host_device_scalarIT6_EEPKT1_S9_PKS3_PKT3_PKT4_S6_PT5_21rocsparse_index_base_b
    .private_segment_fixed_size: 0
    .sgpr_count:     31
    .sgpr_spill_count: 0
    .symbol:         _ZN9rocsparseL21csrmvn_general_kernelILj256ELj64Eii21rocsparse_complex_numIfES2_S2_S2_EEvbT2_NS_24const_host_device_scalarIT6_EEPKT1_S9_PKS3_PKT3_PKT4_S6_PT5_21rocsparse_index_base_b.kd
    .uniform_work_group_size: 1
    .uses_dynamic_stack: false
    .vgpr_count:     24
    .vgpr_spill_count: 0
    .wavefront_size: 64
  - .agpr_count:     0
    .args:
      - .offset:         0
        .size:           1
        .value_kind:     by_value
      - .offset:         1
        .size:           1
        .value_kind:     by_value
      - .offset:         4
        .size:           4
        .value_kind:     by_value
      - .offset:         8
        .size:           8
        .value_kind:     by_value
      - .address_space:  global
        .offset:         16
        .size:           8
        .value_kind:     global_buffer
      - .address_space:  global
        .offset:         24
        .size:           8
        .value_kind:     global_buffer
      - .actual_access:  read_only
        .address_space:  global
        .offset:         32
        .size:           8
        .value_kind:     global_buffer
      - .actual_access:  read_only
        .address_space:  global
        .offset:         40
        .size:           8
        .value_kind:     global_buffer
      - .actual_access:  read_only
        .address_space:  global
        .offset:         48
        .size:           8
        .value_kind:     global_buffer
      - .address_space:  global
        .offset:         56
        .size:           8
        .value_kind:     global_buffer
      - .offset:         64
        .size:           4
        .value_kind:     by_value
      - .offset:         68
        .size:           1
        .value_kind:     by_value
      - .offset:         72
        .size:           4
        .value_kind:     hidden_block_count_x
      - .offset:         76
        .size:           4
        .value_kind:     hidden_block_count_y
      - .offset:         80
        .size:           4
        .value_kind:     hidden_block_count_z
      - .offset:         84
        .size:           2
        .value_kind:     hidden_group_size_x
      - .offset:         86
        .size:           2
        .value_kind:     hidden_group_size_y
      - .offset:         88
        .size:           2
        .value_kind:     hidden_group_size_z
      - .offset:         90
        .size:           2
        .value_kind:     hidden_remainder_x
      - .offset:         92
        .size:           2
        .value_kind:     hidden_remainder_y
      - .offset:         94
        .size:           2
        .value_kind:     hidden_remainder_z
      - .offset:         112
        .size:           8
        .value_kind:     hidden_global_offset_x
      - .offset:         120
        .size:           8
        .value_kind:     hidden_global_offset_y
      - .offset:         128
        .size:           8
        .value_kind:     hidden_global_offset_z
      - .offset:         136
        .size:           2
        .value_kind:     hidden_grid_dims
    .group_segment_fixed_size: 0
    .kernarg_segment_align: 8
    .kernarg_segment_size: 328
    .language:       OpenCL C
    .language_version:
      - 2
      - 0
    .max_flat_workgroup_size: 256
    .name:           _ZN9rocsparseL21csrmvt_general_kernelILj256ELj4Eii21rocsparse_complex_numIfES2_S2_S2_EEvbbT2_NS_24const_host_device_scalarIT6_EEPKT1_S9_PKS3_PKT3_PKT4_PT5_21rocsparse_index_base_b
    .private_segment_fixed_size: 0
    .sgpr_count:     34
    .sgpr_spill_count: 0
    .symbol:         _ZN9rocsparseL21csrmvt_general_kernelILj256ELj4Eii21rocsparse_complex_numIfES2_S2_S2_EEvbbT2_NS_24const_host_device_scalarIT6_EEPKT1_S9_PKS3_PKT3_PKT4_PT5_21rocsparse_index_base_b.kd
    .uniform_work_group_size: 1
    .uses_dynamic_stack: false
    .vgpr_count:     19
    .vgpr_spill_count: 0
    .wavefront_size: 64
  - .agpr_count:     0
    .args:
      - .offset:         0
        .size:           1
        .value_kind:     by_value
      - .offset:         1
        .size:           1
        .value_kind:     by_value
      - .offset:         4
        .size:           4
        .value_kind:     by_value
      - .offset:         8
        .size:           8
        .value_kind:     by_value
      - .address_space:  global
        .offset:         16
        .size:           8
        .value_kind:     global_buffer
      - .address_space:  global
        .offset:         24
        .size:           8
        .value_kind:     global_buffer
      - .actual_access:  read_only
        .address_space:  global
        .offset:         32
        .size:           8
        .value_kind:     global_buffer
      - .actual_access:  read_only
        .address_space:  global
        .offset:         40
        .size:           8
        .value_kind:     global_buffer
      - .actual_access:  read_only
        .address_space:  global
        .offset:         48
        .size:           8
        .value_kind:     global_buffer
      - .address_space:  global
        .offset:         56
        .size:           8
        .value_kind:     global_buffer
      - .offset:         64
        .size:           4
        .value_kind:     by_value
      - .offset:         68
        .size:           1
        .value_kind:     by_value
      - .offset:         72
        .size:           4
        .value_kind:     hidden_block_count_x
      - .offset:         76
        .size:           4
        .value_kind:     hidden_block_count_y
      - .offset:         80
        .size:           4
        .value_kind:     hidden_block_count_z
      - .offset:         84
        .size:           2
        .value_kind:     hidden_group_size_x
      - .offset:         86
        .size:           2
        .value_kind:     hidden_group_size_y
      - .offset:         88
        .size:           2
        .value_kind:     hidden_group_size_z
      - .offset:         90
        .size:           2
        .value_kind:     hidden_remainder_x
      - .offset:         92
        .size:           2
        .value_kind:     hidden_remainder_y
      - .offset:         94
        .size:           2
        .value_kind:     hidden_remainder_z
      - .offset:         112
        .size:           8
        .value_kind:     hidden_global_offset_x
      - .offset:         120
        .size:           8
        .value_kind:     hidden_global_offset_y
      - .offset:         128
        .size:           8
        .value_kind:     hidden_global_offset_z
      - .offset:         136
        .size:           2
        .value_kind:     hidden_grid_dims
    .group_segment_fixed_size: 0
    .kernarg_segment_align: 8
    .kernarg_segment_size: 328
    .language:       OpenCL C
    .language_version:
      - 2
      - 0
    .max_flat_workgroup_size: 256
    .name:           _ZN9rocsparseL21csrmvt_general_kernelILj256ELj8Eii21rocsparse_complex_numIfES2_S2_S2_EEvbbT2_NS_24const_host_device_scalarIT6_EEPKT1_S9_PKS3_PKT3_PKT4_PT5_21rocsparse_index_base_b
    .private_segment_fixed_size: 0
    .sgpr_count:     34
    .sgpr_spill_count: 0
    .symbol:         _ZN9rocsparseL21csrmvt_general_kernelILj256ELj8Eii21rocsparse_complex_numIfES2_S2_S2_EEvbbT2_NS_24const_host_device_scalarIT6_EEPKT1_S9_PKS3_PKT3_PKT4_PT5_21rocsparse_index_base_b.kd
    .uniform_work_group_size: 1
    .uses_dynamic_stack: false
    .vgpr_count:     19
    .vgpr_spill_count: 0
    .wavefront_size: 64
  - .agpr_count:     0
    .args:
      - .offset:         0
        .size:           1
        .value_kind:     by_value
      - .offset:         1
        .size:           1
        .value_kind:     by_value
      - .offset:         4
        .size:           4
        .value_kind:     by_value
      - .offset:         8
        .size:           8
        .value_kind:     by_value
      - .address_space:  global
        .offset:         16
        .size:           8
        .value_kind:     global_buffer
      - .address_space:  global
        .offset:         24
        .size:           8
        .value_kind:     global_buffer
      - .actual_access:  read_only
        .address_space:  global
        .offset:         32
        .size:           8
        .value_kind:     global_buffer
      - .actual_access:  read_only
        .address_space:  global
        .offset:         40
        .size:           8
        .value_kind:     global_buffer
      - .actual_access:  read_only
        .address_space:  global
        .offset:         48
        .size:           8
        .value_kind:     global_buffer
      - .address_space:  global
        .offset:         56
        .size:           8
        .value_kind:     global_buffer
      - .offset:         64
        .size:           4
        .value_kind:     by_value
      - .offset:         68
        .size:           1
        .value_kind:     by_value
      - .offset:         72
        .size:           4
        .value_kind:     hidden_block_count_x
      - .offset:         76
        .size:           4
        .value_kind:     hidden_block_count_y
      - .offset:         80
        .size:           4
        .value_kind:     hidden_block_count_z
      - .offset:         84
        .size:           2
        .value_kind:     hidden_group_size_x
      - .offset:         86
        .size:           2
        .value_kind:     hidden_group_size_y
      - .offset:         88
        .size:           2
        .value_kind:     hidden_group_size_z
      - .offset:         90
        .size:           2
        .value_kind:     hidden_remainder_x
      - .offset:         92
        .size:           2
        .value_kind:     hidden_remainder_y
      - .offset:         94
        .size:           2
        .value_kind:     hidden_remainder_z
      - .offset:         112
        .size:           8
        .value_kind:     hidden_global_offset_x
      - .offset:         120
        .size:           8
        .value_kind:     hidden_global_offset_y
      - .offset:         128
        .size:           8
        .value_kind:     hidden_global_offset_z
      - .offset:         136
        .size:           2
        .value_kind:     hidden_grid_dims
    .group_segment_fixed_size: 0
    .kernarg_segment_align: 8
    .kernarg_segment_size: 328
    .language:       OpenCL C
    .language_version:
      - 2
      - 0
    .max_flat_workgroup_size: 256
    .name:           _ZN9rocsparseL21csrmvt_general_kernelILj256ELj16Eii21rocsparse_complex_numIfES2_S2_S2_EEvbbT2_NS_24const_host_device_scalarIT6_EEPKT1_S9_PKS3_PKT3_PKT4_PT5_21rocsparse_index_base_b
    .private_segment_fixed_size: 0
    .sgpr_count:     34
    .sgpr_spill_count: 0
    .symbol:         _ZN9rocsparseL21csrmvt_general_kernelILj256ELj16Eii21rocsparse_complex_numIfES2_S2_S2_EEvbbT2_NS_24const_host_device_scalarIT6_EEPKT1_S9_PKS3_PKT3_PKT4_PT5_21rocsparse_index_base_b.kd
    .uniform_work_group_size: 1
    .uses_dynamic_stack: false
    .vgpr_count:     19
    .vgpr_spill_count: 0
    .wavefront_size: 64
  - .agpr_count:     0
    .args:
      - .offset:         0
        .size:           1
        .value_kind:     by_value
      - .offset:         1
        .size:           1
        .value_kind:     by_value
      - .offset:         4
        .size:           4
        .value_kind:     by_value
      - .offset:         8
        .size:           8
        .value_kind:     by_value
      - .address_space:  global
        .offset:         16
        .size:           8
        .value_kind:     global_buffer
      - .address_space:  global
        .offset:         24
        .size:           8
        .value_kind:     global_buffer
      - .actual_access:  read_only
        .address_space:  global
        .offset:         32
        .size:           8
        .value_kind:     global_buffer
      - .actual_access:  read_only
        .address_space:  global
        .offset:         40
        .size:           8
        .value_kind:     global_buffer
      - .actual_access:  read_only
        .address_space:  global
        .offset:         48
        .size:           8
        .value_kind:     global_buffer
      - .address_space:  global
        .offset:         56
        .size:           8
        .value_kind:     global_buffer
      - .offset:         64
        .size:           4
        .value_kind:     by_value
      - .offset:         68
        .size:           1
        .value_kind:     by_value
      - .offset:         72
        .size:           4
        .value_kind:     hidden_block_count_x
      - .offset:         76
        .size:           4
        .value_kind:     hidden_block_count_y
      - .offset:         80
        .size:           4
        .value_kind:     hidden_block_count_z
      - .offset:         84
        .size:           2
        .value_kind:     hidden_group_size_x
      - .offset:         86
        .size:           2
        .value_kind:     hidden_group_size_y
      - .offset:         88
        .size:           2
        .value_kind:     hidden_group_size_z
      - .offset:         90
        .size:           2
        .value_kind:     hidden_remainder_x
      - .offset:         92
        .size:           2
        .value_kind:     hidden_remainder_y
      - .offset:         94
        .size:           2
        .value_kind:     hidden_remainder_z
      - .offset:         112
        .size:           8
        .value_kind:     hidden_global_offset_x
      - .offset:         120
        .size:           8
        .value_kind:     hidden_global_offset_y
      - .offset:         128
        .size:           8
        .value_kind:     hidden_global_offset_z
      - .offset:         136
        .size:           2
        .value_kind:     hidden_grid_dims
    .group_segment_fixed_size: 0
    .kernarg_segment_align: 8
    .kernarg_segment_size: 328
    .language:       OpenCL C
    .language_version:
      - 2
      - 0
    .max_flat_workgroup_size: 256
    .name:           _ZN9rocsparseL21csrmvt_general_kernelILj256ELj32Eii21rocsparse_complex_numIfES2_S2_S2_EEvbbT2_NS_24const_host_device_scalarIT6_EEPKT1_S9_PKS3_PKT3_PKT4_PT5_21rocsparse_index_base_b
    .private_segment_fixed_size: 0
    .sgpr_count:     34
    .sgpr_spill_count: 0
    .symbol:         _ZN9rocsparseL21csrmvt_general_kernelILj256ELj32Eii21rocsparse_complex_numIfES2_S2_S2_EEvbbT2_NS_24const_host_device_scalarIT6_EEPKT1_S9_PKS3_PKT3_PKT4_PT5_21rocsparse_index_base_b.kd
    .uniform_work_group_size: 1
    .uses_dynamic_stack: false
    .vgpr_count:     19
    .vgpr_spill_count: 0
    .wavefront_size: 64
  - .agpr_count:     0
    .args:
      - .offset:         0
        .size:           1
        .value_kind:     by_value
      - .offset:         1
        .size:           1
        .value_kind:     by_value
      - .offset:         4
        .size:           4
        .value_kind:     by_value
      - .offset:         8
        .size:           8
        .value_kind:     by_value
      - .address_space:  global
        .offset:         16
        .size:           8
        .value_kind:     global_buffer
      - .address_space:  global
        .offset:         24
        .size:           8
        .value_kind:     global_buffer
      - .actual_access:  read_only
        .address_space:  global
        .offset:         32
        .size:           8
        .value_kind:     global_buffer
      - .actual_access:  read_only
        .address_space:  global
        .offset:         40
        .size:           8
        .value_kind:     global_buffer
      - .actual_access:  read_only
        .address_space:  global
        .offset:         48
        .size:           8
        .value_kind:     global_buffer
      - .address_space:  global
        .offset:         56
        .size:           8
        .value_kind:     global_buffer
      - .offset:         64
        .size:           4
        .value_kind:     by_value
      - .offset:         68
        .size:           1
        .value_kind:     by_value
      - .offset:         72
        .size:           4
        .value_kind:     hidden_block_count_x
      - .offset:         76
        .size:           4
        .value_kind:     hidden_block_count_y
      - .offset:         80
        .size:           4
        .value_kind:     hidden_block_count_z
      - .offset:         84
        .size:           2
        .value_kind:     hidden_group_size_x
      - .offset:         86
        .size:           2
        .value_kind:     hidden_group_size_y
      - .offset:         88
        .size:           2
        .value_kind:     hidden_group_size_z
      - .offset:         90
        .size:           2
        .value_kind:     hidden_remainder_x
      - .offset:         92
        .size:           2
        .value_kind:     hidden_remainder_y
      - .offset:         94
        .size:           2
        .value_kind:     hidden_remainder_z
      - .offset:         112
        .size:           8
        .value_kind:     hidden_global_offset_x
      - .offset:         120
        .size:           8
        .value_kind:     hidden_global_offset_y
      - .offset:         128
        .size:           8
        .value_kind:     hidden_global_offset_z
      - .offset:         136
        .size:           2
        .value_kind:     hidden_grid_dims
    .group_segment_fixed_size: 0
    .kernarg_segment_align: 8
    .kernarg_segment_size: 328
    .language:       OpenCL C
    .language_version:
      - 2
      - 0
    .max_flat_workgroup_size: 256
    .name:           _ZN9rocsparseL21csrmvt_general_kernelILj256ELj64Eii21rocsparse_complex_numIfES2_S2_S2_EEvbbT2_NS_24const_host_device_scalarIT6_EEPKT1_S9_PKS3_PKT3_PKT4_PT5_21rocsparse_index_base_b
    .private_segment_fixed_size: 0
    .sgpr_count:     34
    .sgpr_spill_count: 0
    .symbol:         _ZN9rocsparseL21csrmvt_general_kernelILj256ELj64Eii21rocsparse_complex_numIfES2_S2_S2_EEvbbT2_NS_24const_host_device_scalarIT6_EEPKT1_S9_PKS3_PKT3_PKT4_PT5_21rocsparse_index_base_b.kd
    .uniform_work_group_size: 1
    .uses_dynamic_stack: false
    .vgpr_count:     19
    .vgpr_spill_count: 0
    .wavefront_size: 64
  - .agpr_count:     0
    .args:
      - .offset:         0
        .size:           1
        .value_kind:     by_value
      - .offset:         4
        .size:           4
        .value_kind:     by_value
      - .offset:         8
        .size:           8
        .value_kind:     by_value
      - .address_space:  global
        .offset:         16
        .size:           8
        .value_kind:     global_buffer
      - .address_space:  global
        .offset:         24
        .size:           8
        .value_kind:     global_buffer
      - .actual_access:  read_only
        .address_space:  global
        .offset:         32
        .size:           8
        .value_kind:     global_buffer
      - .actual_access:  read_only
        .address_space:  global
        .offset:         40
        .size:           8
        .value_kind:     global_buffer
      - .actual_access:  read_only
        .address_space:  global
        .offset:         48
        .size:           8
        .value_kind:     global_buffer
      - .offset:         56
        .size:           8
        .value_kind:     by_value
      - .address_space:  global
        .offset:         64
        .size:           8
        .value_kind:     global_buffer
      - .offset:         72
        .size:           4
        .value_kind:     by_value
      - .offset:         76
        .size:           1
        .value_kind:     by_value
      - .offset:         80
        .size:           4
        .value_kind:     hidden_block_count_x
      - .offset:         84
        .size:           4
        .value_kind:     hidden_block_count_y
      - .offset:         88
        .size:           4
        .value_kind:     hidden_block_count_z
      - .offset:         92
        .size:           2
        .value_kind:     hidden_group_size_x
      - .offset:         94
        .size:           2
        .value_kind:     hidden_group_size_y
      - .offset:         96
        .size:           2
        .value_kind:     hidden_group_size_z
      - .offset:         98
        .size:           2
        .value_kind:     hidden_remainder_x
      - .offset:         100
        .size:           2
        .value_kind:     hidden_remainder_y
      - .offset:         102
        .size:           2
        .value_kind:     hidden_remainder_z
      - .offset:         120
        .size:           8
        .value_kind:     hidden_global_offset_x
      - .offset:         128
        .size:           8
        .value_kind:     hidden_global_offset_y
      - .offset:         136
        .size:           8
        .value_kind:     hidden_global_offset_z
      - .offset:         144
        .size:           2
        .value_kind:     hidden_grid_dims
    .group_segment_fixed_size: 0
    .kernarg_segment_align: 8
    .kernarg_segment_size: 336
    .language:       OpenCL C
    .language_version:
      - 2
      - 0
    .max_flat_workgroup_size: 256
    .name:           _ZN9rocsparseL21csrmvn_general_kernelILj256ELj2Eli21rocsparse_complex_numIfES2_S2_S2_EEvbT2_NS_24const_host_device_scalarIT6_EEPKT1_S9_PKS3_PKT3_PKT4_S6_PT5_21rocsparse_index_base_b
    .private_segment_fixed_size: 0
    .sgpr_count:     30
    .sgpr_spill_count: 0
    .symbol:         _ZN9rocsparseL21csrmvn_general_kernelILj256ELj2Eli21rocsparse_complex_numIfES2_S2_S2_EEvbT2_NS_24const_host_device_scalarIT6_EEPKT1_S9_PKS3_PKT3_PKT4_S6_PT5_21rocsparse_index_base_b.kd
    .uniform_work_group_size: 1
    .uses_dynamic_stack: false
    .vgpr_count:     34
    .vgpr_spill_count: 0
    .wavefront_size: 64
  - .agpr_count:     0
    .args:
      - .offset:         0
        .size:           1
        .value_kind:     by_value
      - .offset:         4
        .size:           4
        .value_kind:     by_value
      - .offset:         8
        .size:           8
        .value_kind:     by_value
      - .address_space:  global
        .offset:         16
        .size:           8
        .value_kind:     global_buffer
      - .address_space:  global
        .offset:         24
        .size:           8
        .value_kind:     global_buffer
      - .actual_access:  read_only
        .address_space:  global
        .offset:         32
        .size:           8
        .value_kind:     global_buffer
      - .actual_access:  read_only
        .address_space:  global
        .offset:         40
        .size:           8
        .value_kind:     global_buffer
      - .actual_access:  read_only
        .address_space:  global
        .offset:         48
        .size:           8
        .value_kind:     global_buffer
      - .offset:         56
        .size:           8
        .value_kind:     by_value
      - .address_space:  global
        .offset:         64
        .size:           8
        .value_kind:     global_buffer
      - .offset:         72
        .size:           4
        .value_kind:     by_value
      - .offset:         76
        .size:           1
        .value_kind:     by_value
      - .offset:         80
        .size:           4
        .value_kind:     hidden_block_count_x
      - .offset:         84
        .size:           4
        .value_kind:     hidden_block_count_y
      - .offset:         88
        .size:           4
        .value_kind:     hidden_block_count_z
      - .offset:         92
        .size:           2
        .value_kind:     hidden_group_size_x
      - .offset:         94
        .size:           2
        .value_kind:     hidden_group_size_y
      - .offset:         96
        .size:           2
        .value_kind:     hidden_group_size_z
      - .offset:         98
        .size:           2
        .value_kind:     hidden_remainder_x
      - .offset:         100
        .size:           2
        .value_kind:     hidden_remainder_y
      - .offset:         102
        .size:           2
        .value_kind:     hidden_remainder_z
      - .offset:         120
        .size:           8
        .value_kind:     hidden_global_offset_x
      - .offset:         128
        .size:           8
        .value_kind:     hidden_global_offset_y
      - .offset:         136
        .size:           8
        .value_kind:     hidden_global_offset_z
      - .offset:         144
        .size:           2
        .value_kind:     hidden_grid_dims
    .group_segment_fixed_size: 0
    .kernarg_segment_align: 8
    .kernarg_segment_size: 336
    .language:       OpenCL C
    .language_version:
      - 2
      - 0
    .max_flat_workgroup_size: 256
    .name:           _ZN9rocsparseL21csrmvn_general_kernelILj256ELj4Eli21rocsparse_complex_numIfES2_S2_S2_EEvbT2_NS_24const_host_device_scalarIT6_EEPKT1_S9_PKS3_PKT3_PKT4_S6_PT5_21rocsparse_index_base_b
    .private_segment_fixed_size: 0
    .sgpr_count:     30
    .sgpr_spill_count: 0
    .symbol:         _ZN9rocsparseL21csrmvn_general_kernelILj256ELj4Eli21rocsparse_complex_numIfES2_S2_S2_EEvbT2_NS_24const_host_device_scalarIT6_EEPKT1_S9_PKS3_PKT3_PKT4_S6_PT5_21rocsparse_index_base_b.kd
    .uniform_work_group_size: 1
    .uses_dynamic_stack: false
    .vgpr_count:     34
    .vgpr_spill_count: 0
    .wavefront_size: 64
  - .agpr_count:     0
    .args:
      - .offset:         0
        .size:           1
        .value_kind:     by_value
      - .offset:         4
        .size:           4
        .value_kind:     by_value
      - .offset:         8
        .size:           8
        .value_kind:     by_value
      - .address_space:  global
        .offset:         16
        .size:           8
        .value_kind:     global_buffer
      - .address_space:  global
        .offset:         24
        .size:           8
        .value_kind:     global_buffer
      - .actual_access:  read_only
        .address_space:  global
        .offset:         32
        .size:           8
        .value_kind:     global_buffer
      - .actual_access:  read_only
        .address_space:  global
        .offset:         40
        .size:           8
        .value_kind:     global_buffer
      - .actual_access:  read_only
        .address_space:  global
        .offset:         48
        .size:           8
        .value_kind:     global_buffer
      - .offset:         56
        .size:           8
        .value_kind:     by_value
      - .address_space:  global
        .offset:         64
        .size:           8
        .value_kind:     global_buffer
      - .offset:         72
        .size:           4
        .value_kind:     by_value
      - .offset:         76
        .size:           1
        .value_kind:     by_value
      - .offset:         80
        .size:           4
        .value_kind:     hidden_block_count_x
      - .offset:         84
        .size:           4
        .value_kind:     hidden_block_count_y
      - .offset:         88
        .size:           4
        .value_kind:     hidden_block_count_z
      - .offset:         92
        .size:           2
        .value_kind:     hidden_group_size_x
      - .offset:         94
        .size:           2
        .value_kind:     hidden_group_size_y
      - .offset:         96
        .size:           2
        .value_kind:     hidden_group_size_z
      - .offset:         98
        .size:           2
        .value_kind:     hidden_remainder_x
      - .offset:         100
        .size:           2
        .value_kind:     hidden_remainder_y
      - .offset:         102
        .size:           2
        .value_kind:     hidden_remainder_z
      - .offset:         120
        .size:           8
        .value_kind:     hidden_global_offset_x
      - .offset:         128
        .size:           8
        .value_kind:     hidden_global_offset_y
      - .offset:         136
        .size:           8
        .value_kind:     hidden_global_offset_z
      - .offset:         144
        .size:           2
        .value_kind:     hidden_grid_dims
    .group_segment_fixed_size: 0
    .kernarg_segment_align: 8
    .kernarg_segment_size: 336
    .language:       OpenCL C
    .language_version:
      - 2
      - 0
    .max_flat_workgroup_size: 256
    .name:           _ZN9rocsparseL21csrmvn_general_kernelILj256ELj8Eli21rocsparse_complex_numIfES2_S2_S2_EEvbT2_NS_24const_host_device_scalarIT6_EEPKT1_S9_PKS3_PKT3_PKT4_S6_PT5_21rocsparse_index_base_b
    .private_segment_fixed_size: 0
    .sgpr_count:     30
    .sgpr_spill_count: 0
    .symbol:         _ZN9rocsparseL21csrmvn_general_kernelILj256ELj8Eli21rocsparse_complex_numIfES2_S2_S2_EEvbT2_NS_24const_host_device_scalarIT6_EEPKT1_S9_PKS3_PKT3_PKT4_S6_PT5_21rocsparse_index_base_b.kd
    .uniform_work_group_size: 1
    .uses_dynamic_stack: false
    .vgpr_count:     34
    .vgpr_spill_count: 0
    .wavefront_size: 64
  - .agpr_count:     0
    .args:
      - .offset:         0
        .size:           1
        .value_kind:     by_value
      - .offset:         4
        .size:           4
        .value_kind:     by_value
      - .offset:         8
        .size:           8
        .value_kind:     by_value
      - .address_space:  global
        .offset:         16
        .size:           8
        .value_kind:     global_buffer
      - .address_space:  global
        .offset:         24
        .size:           8
        .value_kind:     global_buffer
      - .actual_access:  read_only
        .address_space:  global
        .offset:         32
        .size:           8
        .value_kind:     global_buffer
      - .actual_access:  read_only
        .address_space:  global
        .offset:         40
        .size:           8
        .value_kind:     global_buffer
      - .actual_access:  read_only
        .address_space:  global
        .offset:         48
        .size:           8
        .value_kind:     global_buffer
      - .offset:         56
        .size:           8
        .value_kind:     by_value
      - .address_space:  global
        .offset:         64
        .size:           8
        .value_kind:     global_buffer
      - .offset:         72
        .size:           4
        .value_kind:     by_value
      - .offset:         76
        .size:           1
        .value_kind:     by_value
      - .offset:         80
        .size:           4
        .value_kind:     hidden_block_count_x
      - .offset:         84
        .size:           4
        .value_kind:     hidden_block_count_y
      - .offset:         88
        .size:           4
        .value_kind:     hidden_block_count_z
      - .offset:         92
        .size:           2
        .value_kind:     hidden_group_size_x
      - .offset:         94
        .size:           2
        .value_kind:     hidden_group_size_y
      - .offset:         96
        .size:           2
        .value_kind:     hidden_group_size_z
      - .offset:         98
        .size:           2
        .value_kind:     hidden_remainder_x
      - .offset:         100
        .size:           2
        .value_kind:     hidden_remainder_y
      - .offset:         102
        .size:           2
        .value_kind:     hidden_remainder_z
      - .offset:         120
        .size:           8
        .value_kind:     hidden_global_offset_x
      - .offset:         128
        .size:           8
        .value_kind:     hidden_global_offset_y
      - .offset:         136
        .size:           8
        .value_kind:     hidden_global_offset_z
      - .offset:         144
        .size:           2
        .value_kind:     hidden_grid_dims
    .group_segment_fixed_size: 0
    .kernarg_segment_align: 8
    .kernarg_segment_size: 336
    .language:       OpenCL C
    .language_version:
      - 2
      - 0
    .max_flat_workgroup_size: 256
    .name:           _ZN9rocsparseL21csrmvn_general_kernelILj256ELj16Eli21rocsparse_complex_numIfES2_S2_S2_EEvbT2_NS_24const_host_device_scalarIT6_EEPKT1_S9_PKS3_PKT3_PKT4_S6_PT5_21rocsparse_index_base_b
    .private_segment_fixed_size: 0
    .sgpr_count:     32
    .sgpr_spill_count: 0
    .symbol:         _ZN9rocsparseL21csrmvn_general_kernelILj256ELj16Eli21rocsparse_complex_numIfES2_S2_S2_EEvbT2_NS_24const_host_device_scalarIT6_EEPKT1_S9_PKS3_PKT3_PKT4_S6_PT5_21rocsparse_index_base_b.kd
    .uniform_work_group_size: 1
    .uses_dynamic_stack: false
    .vgpr_count:     34
    .vgpr_spill_count: 0
    .wavefront_size: 64
  - .agpr_count:     0
    .args:
      - .offset:         0
        .size:           1
        .value_kind:     by_value
      - .offset:         4
        .size:           4
        .value_kind:     by_value
      - .offset:         8
        .size:           8
        .value_kind:     by_value
      - .address_space:  global
        .offset:         16
        .size:           8
        .value_kind:     global_buffer
      - .address_space:  global
        .offset:         24
        .size:           8
        .value_kind:     global_buffer
      - .actual_access:  read_only
        .address_space:  global
        .offset:         32
        .size:           8
        .value_kind:     global_buffer
      - .actual_access:  read_only
        .address_space:  global
        .offset:         40
        .size:           8
        .value_kind:     global_buffer
      - .actual_access:  read_only
        .address_space:  global
        .offset:         48
        .size:           8
        .value_kind:     global_buffer
      - .offset:         56
        .size:           8
        .value_kind:     by_value
      - .address_space:  global
        .offset:         64
        .size:           8
        .value_kind:     global_buffer
      - .offset:         72
        .size:           4
        .value_kind:     by_value
      - .offset:         76
        .size:           1
        .value_kind:     by_value
      - .offset:         80
        .size:           4
        .value_kind:     hidden_block_count_x
      - .offset:         84
        .size:           4
        .value_kind:     hidden_block_count_y
      - .offset:         88
        .size:           4
        .value_kind:     hidden_block_count_z
      - .offset:         92
        .size:           2
        .value_kind:     hidden_group_size_x
      - .offset:         94
        .size:           2
        .value_kind:     hidden_group_size_y
      - .offset:         96
        .size:           2
        .value_kind:     hidden_group_size_z
      - .offset:         98
        .size:           2
        .value_kind:     hidden_remainder_x
      - .offset:         100
        .size:           2
        .value_kind:     hidden_remainder_y
      - .offset:         102
        .size:           2
        .value_kind:     hidden_remainder_z
      - .offset:         120
        .size:           8
        .value_kind:     hidden_global_offset_x
      - .offset:         128
        .size:           8
        .value_kind:     hidden_global_offset_y
      - .offset:         136
        .size:           8
        .value_kind:     hidden_global_offset_z
      - .offset:         144
        .size:           2
        .value_kind:     hidden_grid_dims
    .group_segment_fixed_size: 0
    .kernarg_segment_align: 8
    .kernarg_segment_size: 336
    .language:       OpenCL C
    .language_version:
      - 2
      - 0
    .max_flat_workgroup_size: 256
    .name:           _ZN9rocsparseL21csrmvn_general_kernelILj256ELj32Eli21rocsparse_complex_numIfES2_S2_S2_EEvbT2_NS_24const_host_device_scalarIT6_EEPKT1_S9_PKS3_PKT3_PKT4_S6_PT5_21rocsparse_index_base_b
    .private_segment_fixed_size: 0
    .sgpr_count:     32
    .sgpr_spill_count: 0
    .symbol:         _ZN9rocsparseL21csrmvn_general_kernelILj256ELj32Eli21rocsparse_complex_numIfES2_S2_S2_EEvbT2_NS_24const_host_device_scalarIT6_EEPKT1_S9_PKS3_PKT3_PKT4_S6_PT5_21rocsparse_index_base_b.kd
    .uniform_work_group_size: 1
    .uses_dynamic_stack: false
    .vgpr_count:     34
    .vgpr_spill_count: 0
    .wavefront_size: 64
  - .agpr_count:     0
    .args:
      - .offset:         0
        .size:           1
        .value_kind:     by_value
      - .offset:         4
        .size:           4
        .value_kind:     by_value
      - .offset:         8
        .size:           8
        .value_kind:     by_value
      - .address_space:  global
        .offset:         16
        .size:           8
        .value_kind:     global_buffer
      - .address_space:  global
        .offset:         24
        .size:           8
        .value_kind:     global_buffer
      - .actual_access:  read_only
        .address_space:  global
        .offset:         32
        .size:           8
        .value_kind:     global_buffer
      - .actual_access:  read_only
        .address_space:  global
        .offset:         40
        .size:           8
        .value_kind:     global_buffer
      - .actual_access:  read_only
        .address_space:  global
        .offset:         48
        .size:           8
        .value_kind:     global_buffer
      - .offset:         56
        .size:           8
        .value_kind:     by_value
      - .address_space:  global
        .offset:         64
        .size:           8
        .value_kind:     global_buffer
      - .offset:         72
        .size:           4
        .value_kind:     by_value
      - .offset:         76
        .size:           1
        .value_kind:     by_value
      - .offset:         80
        .size:           4
        .value_kind:     hidden_block_count_x
      - .offset:         84
        .size:           4
        .value_kind:     hidden_block_count_y
      - .offset:         88
        .size:           4
        .value_kind:     hidden_block_count_z
      - .offset:         92
        .size:           2
        .value_kind:     hidden_group_size_x
      - .offset:         94
        .size:           2
        .value_kind:     hidden_group_size_y
      - .offset:         96
        .size:           2
        .value_kind:     hidden_group_size_z
      - .offset:         98
        .size:           2
        .value_kind:     hidden_remainder_x
      - .offset:         100
        .size:           2
        .value_kind:     hidden_remainder_y
      - .offset:         102
        .size:           2
        .value_kind:     hidden_remainder_z
      - .offset:         120
        .size:           8
        .value_kind:     hidden_global_offset_x
      - .offset:         128
        .size:           8
        .value_kind:     hidden_global_offset_y
      - .offset:         136
        .size:           8
        .value_kind:     hidden_global_offset_z
      - .offset:         144
        .size:           2
        .value_kind:     hidden_grid_dims
    .group_segment_fixed_size: 0
    .kernarg_segment_align: 8
    .kernarg_segment_size: 336
    .language:       OpenCL C
    .language_version:
      - 2
      - 0
    .max_flat_workgroup_size: 256
    .name:           _ZN9rocsparseL21csrmvn_general_kernelILj256ELj64Eli21rocsparse_complex_numIfES2_S2_S2_EEvbT2_NS_24const_host_device_scalarIT6_EEPKT1_S9_PKS3_PKT3_PKT4_S6_PT5_21rocsparse_index_base_b
    .private_segment_fixed_size: 0
    .sgpr_count:     32
    .sgpr_spill_count: 0
    .symbol:         _ZN9rocsparseL21csrmvn_general_kernelILj256ELj64Eli21rocsparse_complex_numIfES2_S2_S2_EEvbT2_NS_24const_host_device_scalarIT6_EEPKT1_S9_PKS3_PKT3_PKT4_S6_PT5_21rocsparse_index_base_b.kd
    .uniform_work_group_size: 1
    .uses_dynamic_stack: false
    .vgpr_count:     34
    .vgpr_spill_count: 0
    .wavefront_size: 64
  - .agpr_count:     0
    .args:
      - .offset:         0
        .size:           1
        .value_kind:     by_value
      - .offset:         1
        .size:           1
        .value_kind:     by_value
      - .offset:         4
        .size:           4
        .value_kind:     by_value
      - .offset:         8
        .size:           8
        .value_kind:     by_value
      - .address_space:  global
        .offset:         16
        .size:           8
        .value_kind:     global_buffer
      - .address_space:  global
        .offset:         24
        .size:           8
        .value_kind:     global_buffer
      - .actual_access:  read_only
        .address_space:  global
        .offset:         32
        .size:           8
        .value_kind:     global_buffer
      - .actual_access:  read_only
        .address_space:  global
        .offset:         40
        .size:           8
        .value_kind:     global_buffer
      - .actual_access:  read_only
        .address_space:  global
        .offset:         48
        .size:           8
        .value_kind:     global_buffer
      - .address_space:  global
        .offset:         56
        .size:           8
        .value_kind:     global_buffer
      - .offset:         64
        .size:           4
        .value_kind:     by_value
      - .offset:         68
        .size:           1
        .value_kind:     by_value
      - .offset:         72
        .size:           4
        .value_kind:     hidden_block_count_x
      - .offset:         76
        .size:           4
        .value_kind:     hidden_block_count_y
      - .offset:         80
        .size:           4
        .value_kind:     hidden_block_count_z
      - .offset:         84
        .size:           2
        .value_kind:     hidden_group_size_x
      - .offset:         86
        .size:           2
        .value_kind:     hidden_group_size_y
      - .offset:         88
        .size:           2
        .value_kind:     hidden_group_size_z
      - .offset:         90
        .size:           2
        .value_kind:     hidden_remainder_x
      - .offset:         92
        .size:           2
        .value_kind:     hidden_remainder_y
      - .offset:         94
        .size:           2
        .value_kind:     hidden_remainder_z
      - .offset:         112
        .size:           8
        .value_kind:     hidden_global_offset_x
      - .offset:         120
        .size:           8
        .value_kind:     hidden_global_offset_y
      - .offset:         128
        .size:           8
        .value_kind:     hidden_global_offset_z
      - .offset:         136
        .size:           2
        .value_kind:     hidden_grid_dims
    .group_segment_fixed_size: 0
    .kernarg_segment_align: 8
    .kernarg_segment_size: 328
    .language:       OpenCL C
    .language_version:
      - 2
      - 0
    .max_flat_workgroup_size: 256
    .name:           _ZN9rocsparseL21csrmvt_general_kernelILj256ELj4Eli21rocsparse_complex_numIfES2_S2_S2_EEvbbT2_NS_24const_host_device_scalarIT6_EEPKT1_S9_PKS3_PKT3_PKT4_PT5_21rocsparse_index_base_b
    .private_segment_fixed_size: 0
    .sgpr_count:     34
    .sgpr_spill_count: 0
    .symbol:         _ZN9rocsparseL21csrmvt_general_kernelILj256ELj4Eli21rocsparse_complex_numIfES2_S2_S2_EEvbbT2_NS_24const_host_device_scalarIT6_EEPKT1_S9_PKS3_PKT3_PKT4_PT5_21rocsparse_index_base_b.kd
    .uniform_work_group_size: 1
    .uses_dynamic_stack: false
    .vgpr_count:     23
    .vgpr_spill_count: 0
    .wavefront_size: 64
  - .agpr_count:     0
    .args:
      - .offset:         0
        .size:           1
        .value_kind:     by_value
      - .offset:         1
        .size:           1
        .value_kind:     by_value
      - .offset:         4
        .size:           4
        .value_kind:     by_value
      - .offset:         8
        .size:           8
        .value_kind:     by_value
      - .address_space:  global
        .offset:         16
        .size:           8
        .value_kind:     global_buffer
      - .address_space:  global
        .offset:         24
        .size:           8
        .value_kind:     global_buffer
      - .actual_access:  read_only
        .address_space:  global
        .offset:         32
        .size:           8
        .value_kind:     global_buffer
      - .actual_access:  read_only
        .address_space:  global
        .offset:         40
        .size:           8
        .value_kind:     global_buffer
      - .actual_access:  read_only
        .address_space:  global
        .offset:         48
        .size:           8
        .value_kind:     global_buffer
      - .address_space:  global
        .offset:         56
        .size:           8
        .value_kind:     global_buffer
      - .offset:         64
        .size:           4
        .value_kind:     by_value
      - .offset:         68
        .size:           1
        .value_kind:     by_value
      - .offset:         72
        .size:           4
        .value_kind:     hidden_block_count_x
      - .offset:         76
        .size:           4
        .value_kind:     hidden_block_count_y
      - .offset:         80
        .size:           4
        .value_kind:     hidden_block_count_z
      - .offset:         84
        .size:           2
        .value_kind:     hidden_group_size_x
      - .offset:         86
        .size:           2
        .value_kind:     hidden_group_size_y
      - .offset:         88
        .size:           2
        .value_kind:     hidden_group_size_z
      - .offset:         90
        .size:           2
        .value_kind:     hidden_remainder_x
      - .offset:         92
        .size:           2
        .value_kind:     hidden_remainder_y
      - .offset:         94
        .size:           2
        .value_kind:     hidden_remainder_z
      - .offset:         112
        .size:           8
        .value_kind:     hidden_global_offset_x
      - .offset:         120
        .size:           8
        .value_kind:     hidden_global_offset_y
      - .offset:         128
        .size:           8
        .value_kind:     hidden_global_offset_z
      - .offset:         136
        .size:           2
        .value_kind:     hidden_grid_dims
    .group_segment_fixed_size: 0
    .kernarg_segment_align: 8
    .kernarg_segment_size: 328
    .language:       OpenCL C
    .language_version:
      - 2
      - 0
    .max_flat_workgroup_size: 256
    .name:           _ZN9rocsparseL21csrmvt_general_kernelILj256ELj8Eli21rocsparse_complex_numIfES2_S2_S2_EEvbbT2_NS_24const_host_device_scalarIT6_EEPKT1_S9_PKS3_PKT3_PKT4_PT5_21rocsparse_index_base_b
    .private_segment_fixed_size: 0
    .sgpr_count:     34
    .sgpr_spill_count: 0
    .symbol:         _ZN9rocsparseL21csrmvt_general_kernelILj256ELj8Eli21rocsparse_complex_numIfES2_S2_S2_EEvbbT2_NS_24const_host_device_scalarIT6_EEPKT1_S9_PKS3_PKT3_PKT4_PT5_21rocsparse_index_base_b.kd
    .uniform_work_group_size: 1
    .uses_dynamic_stack: false
    .vgpr_count:     23
    .vgpr_spill_count: 0
    .wavefront_size: 64
  - .agpr_count:     0
    .args:
      - .offset:         0
        .size:           1
        .value_kind:     by_value
      - .offset:         1
        .size:           1
        .value_kind:     by_value
      - .offset:         4
        .size:           4
        .value_kind:     by_value
      - .offset:         8
        .size:           8
        .value_kind:     by_value
      - .address_space:  global
        .offset:         16
        .size:           8
        .value_kind:     global_buffer
      - .address_space:  global
        .offset:         24
        .size:           8
        .value_kind:     global_buffer
      - .actual_access:  read_only
        .address_space:  global
        .offset:         32
        .size:           8
        .value_kind:     global_buffer
      - .actual_access:  read_only
        .address_space:  global
        .offset:         40
        .size:           8
        .value_kind:     global_buffer
      - .actual_access:  read_only
        .address_space:  global
        .offset:         48
        .size:           8
        .value_kind:     global_buffer
      - .address_space:  global
        .offset:         56
        .size:           8
        .value_kind:     global_buffer
      - .offset:         64
        .size:           4
        .value_kind:     by_value
      - .offset:         68
        .size:           1
        .value_kind:     by_value
      - .offset:         72
        .size:           4
        .value_kind:     hidden_block_count_x
      - .offset:         76
        .size:           4
        .value_kind:     hidden_block_count_y
      - .offset:         80
        .size:           4
        .value_kind:     hidden_block_count_z
      - .offset:         84
        .size:           2
        .value_kind:     hidden_group_size_x
      - .offset:         86
        .size:           2
        .value_kind:     hidden_group_size_y
      - .offset:         88
        .size:           2
        .value_kind:     hidden_group_size_z
      - .offset:         90
        .size:           2
        .value_kind:     hidden_remainder_x
      - .offset:         92
        .size:           2
        .value_kind:     hidden_remainder_y
      - .offset:         94
        .size:           2
        .value_kind:     hidden_remainder_z
      - .offset:         112
        .size:           8
        .value_kind:     hidden_global_offset_x
      - .offset:         120
        .size:           8
        .value_kind:     hidden_global_offset_y
      - .offset:         128
        .size:           8
        .value_kind:     hidden_global_offset_z
      - .offset:         136
        .size:           2
        .value_kind:     hidden_grid_dims
    .group_segment_fixed_size: 0
    .kernarg_segment_align: 8
    .kernarg_segment_size: 328
    .language:       OpenCL C
    .language_version:
      - 2
      - 0
    .max_flat_workgroup_size: 256
    .name:           _ZN9rocsparseL21csrmvt_general_kernelILj256ELj16Eli21rocsparse_complex_numIfES2_S2_S2_EEvbbT2_NS_24const_host_device_scalarIT6_EEPKT1_S9_PKS3_PKT3_PKT4_PT5_21rocsparse_index_base_b
    .private_segment_fixed_size: 0
    .sgpr_count:     34
    .sgpr_spill_count: 0
    .symbol:         _ZN9rocsparseL21csrmvt_general_kernelILj256ELj16Eli21rocsparse_complex_numIfES2_S2_S2_EEvbbT2_NS_24const_host_device_scalarIT6_EEPKT1_S9_PKS3_PKT3_PKT4_PT5_21rocsparse_index_base_b.kd
    .uniform_work_group_size: 1
    .uses_dynamic_stack: false
    .vgpr_count:     23
    .vgpr_spill_count: 0
    .wavefront_size: 64
  - .agpr_count:     0
    .args:
      - .offset:         0
        .size:           1
        .value_kind:     by_value
      - .offset:         1
        .size:           1
        .value_kind:     by_value
      - .offset:         4
        .size:           4
        .value_kind:     by_value
      - .offset:         8
        .size:           8
        .value_kind:     by_value
      - .address_space:  global
        .offset:         16
        .size:           8
        .value_kind:     global_buffer
      - .address_space:  global
        .offset:         24
        .size:           8
        .value_kind:     global_buffer
      - .actual_access:  read_only
        .address_space:  global
        .offset:         32
        .size:           8
        .value_kind:     global_buffer
      - .actual_access:  read_only
        .address_space:  global
        .offset:         40
        .size:           8
        .value_kind:     global_buffer
      - .actual_access:  read_only
        .address_space:  global
        .offset:         48
        .size:           8
        .value_kind:     global_buffer
      - .address_space:  global
        .offset:         56
        .size:           8
        .value_kind:     global_buffer
      - .offset:         64
        .size:           4
        .value_kind:     by_value
      - .offset:         68
        .size:           1
        .value_kind:     by_value
      - .offset:         72
        .size:           4
        .value_kind:     hidden_block_count_x
      - .offset:         76
        .size:           4
        .value_kind:     hidden_block_count_y
      - .offset:         80
        .size:           4
        .value_kind:     hidden_block_count_z
      - .offset:         84
        .size:           2
        .value_kind:     hidden_group_size_x
      - .offset:         86
        .size:           2
        .value_kind:     hidden_group_size_y
      - .offset:         88
        .size:           2
        .value_kind:     hidden_group_size_z
      - .offset:         90
        .size:           2
        .value_kind:     hidden_remainder_x
      - .offset:         92
        .size:           2
        .value_kind:     hidden_remainder_y
      - .offset:         94
        .size:           2
        .value_kind:     hidden_remainder_z
      - .offset:         112
        .size:           8
        .value_kind:     hidden_global_offset_x
      - .offset:         120
        .size:           8
        .value_kind:     hidden_global_offset_y
      - .offset:         128
        .size:           8
        .value_kind:     hidden_global_offset_z
      - .offset:         136
        .size:           2
        .value_kind:     hidden_grid_dims
    .group_segment_fixed_size: 0
    .kernarg_segment_align: 8
    .kernarg_segment_size: 328
    .language:       OpenCL C
    .language_version:
      - 2
      - 0
    .max_flat_workgroup_size: 256
    .name:           _ZN9rocsparseL21csrmvt_general_kernelILj256ELj32Eli21rocsparse_complex_numIfES2_S2_S2_EEvbbT2_NS_24const_host_device_scalarIT6_EEPKT1_S9_PKS3_PKT3_PKT4_PT5_21rocsparse_index_base_b
    .private_segment_fixed_size: 0
    .sgpr_count:     34
    .sgpr_spill_count: 0
    .symbol:         _ZN9rocsparseL21csrmvt_general_kernelILj256ELj32Eli21rocsparse_complex_numIfES2_S2_S2_EEvbbT2_NS_24const_host_device_scalarIT6_EEPKT1_S9_PKS3_PKT3_PKT4_PT5_21rocsparse_index_base_b.kd
    .uniform_work_group_size: 1
    .uses_dynamic_stack: false
    .vgpr_count:     23
    .vgpr_spill_count: 0
    .wavefront_size: 64
  - .agpr_count:     0
    .args:
      - .offset:         0
        .size:           1
        .value_kind:     by_value
      - .offset:         1
        .size:           1
        .value_kind:     by_value
      - .offset:         4
        .size:           4
        .value_kind:     by_value
      - .offset:         8
        .size:           8
        .value_kind:     by_value
      - .address_space:  global
        .offset:         16
        .size:           8
        .value_kind:     global_buffer
      - .address_space:  global
        .offset:         24
        .size:           8
        .value_kind:     global_buffer
      - .actual_access:  read_only
        .address_space:  global
        .offset:         32
        .size:           8
        .value_kind:     global_buffer
      - .actual_access:  read_only
        .address_space:  global
        .offset:         40
        .size:           8
        .value_kind:     global_buffer
      - .actual_access:  read_only
        .address_space:  global
        .offset:         48
        .size:           8
        .value_kind:     global_buffer
      - .address_space:  global
        .offset:         56
        .size:           8
        .value_kind:     global_buffer
      - .offset:         64
        .size:           4
        .value_kind:     by_value
      - .offset:         68
        .size:           1
        .value_kind:     by_value
      - .offset:         72
        .size:           4
        .value_kind:     hidden_block_count_x
      - .offset:         76
        .size:           4
        .value_kind:     hidden_block_count_y
      - .offset:         80
        .size:           4
        .value_kind:     hidden_block_count_z
      - .offset:         84
        .size:           2
        .value_kind:     hidden_group_size_x
      - .offset:         86
        .size:           2
        .value_kind:     hidden_group_size_y
      - .offset:         88
        .size:           2
        .value_kind:     hidden_group_size_z
      - .offset:         90
        .size:           2
        .value_kind:     hidden_remainder_x
      - .offset:         92
        .size:           2
        .value_kind:     hidden_remainder_y
      - .offset:         94
        .size:           2
        .value_kind:     hidden_remainder_z
      - .offset:         112
        .size:           8
        .value_kind:     hidden_global_offset_x
      - .offset:         120
        .size:           8
        .value_kind:     hidden_global_offset_y
      - .offset:         128
        .size:           8
        .value_kind:     hidden_global_offset_z
      - .offset:         136
        .size:           2
        .value_kind:     hidden_grid_dims
    .group_segment_fixed_size: 0
    .kernarg_segment_align: 8
    .kernarg_segment_size: 328
    .language:       OpenCL C
    .language_version:
      - 2
      - 0
    .max_flat_workgroup_size: 256
    .name:           _ZN9rocsparseL21csrmvt_general_kernelILj256ELj64Eli21rocsparse_complex_numIfES2_S2_S2_EEvbbT2_NS_24const_host_device_scalarIT6_EEPKT1_S9_PKS3_PKT3_PKT4_PT5_21rocsparse_index_base_b
    .private_segment_fixed_size: 0
    .sgpr_count:     34
    .sgpr_spill_count: 0
    .symbol:         _ZN9rocsparseL21csrmvt_general_kernelILj256ELj64Eli21rocsparse_complex_numIfES2_S2_S2_EEvbbT2_NS_24const_host_device_scalarIT6_EEPKT1_S9_PKS3_PKT3_PKT4_PT5_21rocsparse_index_base_b.kd
    .uniform_work_group_size: 1
    .uses_dynamic_stack: false
    .vgpr_count:     23
    .vgpr_spill_count: 0
    .wavefront_size: 64
  - .agpr_count:     0
    .args:
      - .offset:         0
        .size:           1
        .value_kind:     by_value
      - .offset:         8
        .size:           8
        .value_kind:     by_value
      - .offset:         16
        .size:           8
        .value_kind:     by_value
      - .address_space:  global
        .offset:         24
        .size:           8
        .value_kind:     global_buffer
      - .address_space:  global
        .offset:         32
        .size:           8
        .value_kind:     global_buffer
      - .actual_access:  read_only
        .address_space:  global
        .offset:         40
        .size:           8
        .value_kind:     global_buffer
      - .actual_access:  read_only
        .address_space:  global
        .offset:         48
        .size:           8
        .value_kind:     global_buffer
      - .actual_access:  read_only
        .address_space:  global
        .offset:         56
        .size:           8
        .value_kind:     global_buffer
      - .offset:         64
        .size:           8
        .value_kind:     by_value
      - .address_space:  global
        .offset:         72
        .size:           8
        .value_kind:     global_buffer
      - .offset:         80
        .size:           4
        .value_kind:     by_value
      - .offset:         84
        .size:           1
        .value_kind:     by_value
      - .offset:         88
        .size:           4
        .value_kind:     hidden_block_count_x
      - .offset:         92
        .size:           4
        .value_kind:     hidden_block_count_y
      - .offset:         96
        .size:           4
        .value_kind:     hidden_block_count_z
      - .offset:         100
        .size:           2
        .value_kind:     hidden_group_size_x
      - .offset:         102
        .size:           2
        .value_kind:     hidden_group_size_y
      - .offset:         104
        .size:           2
        .value_kind:     hidden_group_size_z
      - .offset:         106
        .size:           2
        .value_kind:     hidden_remainder_x
      - .offset:         108
        .size:           2
        .value_kind:     hidden_remainder_y
      - .offset:         110
        .size:           2
        .value_kind:     hidden_remainder_z
      - .offset:         128
        .size:           8
        .value_kind:     hidden_global_offset_x
      - .offset:         136
        .size:           8
        .value_kind:     hidden_global_offset_y
      - .offset:         144
        .size:           8
        .value_kind:     hidden_global_offset_z
      - .offset:         152
        .size:           2
        .value_kind:     hidden_grid_dims
    .group_segment_fixed_size: 0
    .kernarg_segment_align: 8
    .kernarg_segment_size: 344
    .language:       OpenCL C
    .language_version:
      - 2
      - 0
    .max_flat_workgroup_size: 256
    .name:           _ZN9rocsparseL21csrmvn_general_kernelILj256ELj2Ell21rocsparse_complex_numIfES2_S2_S2_EEvbT2_NS_24const_host_device_scalarIT6_EEPKT1_S9_PKS3_PKT3_PKT4_S6_PT5_21rocsparse_index_base_b
    .private_segment_fixed_size: 0
    .sgpr_count:     32
    .sgpr_spill_count: 0
    .symbol:         _ZN9rocsparseL21csrmvn_general_kernelILj256ELj2Ell21rocsparse_complex_numIfES2_S2_S2_EEvbT2_NS_24const_host_device_scalarIT6_EEPKT1_S9_PKS3_PKT3_PKT4_S6_PT5_21rocsparse_index_base_b.kd
    .uniform_work_group_size: 1
    .uses_dynamic_stack: false
    .vgpr_count:     34
    .vgpr_spill_count: 0
    .wavefront_size: 64
  - .agpr_count:     0
    .args:
      - .offset:         0
        .size:           1
        .value_kind:     by_value
      - .offset:         8
        .size:           8
        .value_kind:     by_value
      - .offset:         16
        .size:           8
        .value_kind:     by_value
      - .address_space:  global
        .offset:         24
        .size:           8
        .value_kind:     global_buffer
      - .address_space:  global
        .offset:         32
        .size:           8
        .value_kind:     global_buffer
      - .actual_access:  read_only
        .address_space:  global
        .offset:         40
        .size:           8
        .value_kind:     global_buffer
      - .actual_access:  read_only
        .address_space:  global
        .offset:         48
        .size:           8
        .value_kind:     global_buffer
      - .actual_access:  read_only
        .address_space:  global
        .offset:         56
        .size:           8
        .value_kind:     global_buffer
      - .offset:         64
        .size:           8
        .value_kind:     by_value
      - .address_space:  global
        .offset:         72
        .size:           8
        .value_kind:     global_buffer
      - .offset:         80
        .size:           4
        .value_kind:     by_value
      - .offset:         84
        .size:           1
        .value_kind:     by_value
      - .offset:         88
        .size:           4
        .value_kind:     hidden_block_count_x
      - .offset:         92
        .size:           4
        .value_kind:     hidden_block_count_y
      - .offset:         96
        .size:           4
        .value_kind:     hidden_block_count_z
      - .offset:         100
        .size:           2
        .value_kind:     hidden_group_size_x
      - .offset:         102
        .size:           2
        .value_kind:     hidden_group_size_y
      - .offset:         104
        .size:           2
        .value_kind:     hidden_group_size_z
      - .offset:         106
        .size:           2
        .value_kind:     hidden_remainder_x
      - .offset:         108
        .size:           2
        .value_kind:     hidden_remainder_y
      - .offset:         110
        .size:           2
        .value_kind:     hidden_remainder_z
      - .offset:         128
        .size:           8
        .value_kind:     hidden_global_offset_x
      - .offset:         136
        .size:           8
        .value_kind:     hidden_global_offset_y
      - .offset:         144
        .size:           8
        .value_kind:     hidden_global_offset_z
      - .offset:         152
        .size:           2
        .value_kind:     hidden_grid_dims
    .group_segment_fixed_size: 0
    .kernarg_segment_align: 8
    .kernarg_segment_size: 344
    .language:       OpenCL C
    .language_version:
      - 2
      - 0
    .max_flat_workgroup_size: 256
    .name:           _ZN9rocsparseL21csrmvn_general_kernelILj256ELj4Ell21rocsparse_complex_numIfES2_S2_S2_EEvbT2_NS_24const_host_device_scalarIT6_EEPKT1_S9_PKS3_PKT3_PKT4_S6_PT5_21rocsparse_index_base_b
    .private_segment_fixed_size: 0
    .sgpr_count:     32
    .sgpr_spill_count: 0
    .symbol:         _ZN9rocsparseL21csrmvn_general_kernelILj256ELj4Ell21rocsparse_complex_numIfES2_S2_S2_EEvbT2_NS_24const_host_device_scalarIT6_EEPKT1_S9_PKS3_PKT3_PKT4_S6_PT5_21rocsparse_index_base_b.kd
    .uniform_work_group_size: 1
    .uses_dynamic_stack: false
    .vgpr_count:     34
    .vgpr_spill_count: 0
    .wavefront_size: 64
  - .agpr_count:     0
    .args:
      - .offset:         0
        .size:           1
        .value_kind:     by_value
      - .offset:         8
        .size:           8
        .value_kind:     by_value
      - .offset:         16
        .size:           8
        .value_kind:     by_value
      - .address_space:  global
        .offset:         24
        .size:           8
        .value_kind:     global_buffer
      - .address_space:  global
        .offset:         32
        .size:           8
        .value_kind:     global_buffer
      - .actual_access:  read_only
        .address_space:  global
        .offset:         40
        .size:           8
        .value_kind:     global_buffer
      - .actual_access:  read_only
        .address_space:  global
        .offset:         48
        .size:           8
        .value_kind:     global_buffer
      - .actual_access:  read_only
        .address_space:  global
        .offset:         56
        .size:           8
        .value_kind:     global_buffer
      - .offset:         64
        .size:           8
        .value_kind:     by_value
      - .address_space:  global
        .offset:         72
        .size:           8
        .value_kind:     global_buffer
      - .offset:         80
        .size:           4
        .value_kind:     by_value
      - .offset:         84
        .size:           1
        .value_kind:     by_value
      - .offset:         88
        .size:           4
        .value_kind:     hidden_block_count_x
      - .offset:         92
        .size:           4
        .value_kind:     hidden_block_count_y
      - .offset:         96
        .size:           4
        .value_kind:     hidden_block_count_z
      - .offset:         100
        .size:           2
        .value_kind:     hidden_group_size_x
      - .offset:         102
        .size:           2
        .value_kind:     hidden_group_size_y
      - .offset:         104
        .size:           2
        .value_kind:     hidden_group_size_z
      - .offset:         106
        .size:           2
        .value_kind:     hidden_remainder_x
      - .offset:         108
        .size:           2
        .value_kind:     hidden_remainder_y
      - .offset:         110
        .size:           2
        .value_kind:     hidden_remainder_z
      - .offset:         128
        .size:           8
        .value_kind:     hidden_global_offset_x
      - .offset:         136
        .size:           8
        .value_kind:     hidden_global_offset_y
      - .offset:         144
        .size:           8
        .value_kind:     hidden_global_offset_z
      - .offset:         152
        .size:           2
        .value_kind:     hidden_grid_dims
    .group_segment_fixed_size: 0
    .kernarg_segment_align: 8
    .kernarg_segment_size: 344
    .language:       OpenCL C
    .language_version:
      - 2
      - 0
    .max_flat_workgroup_size: 256
    .name:           _ZN9rocsparseL21csrmvn_general_kernelILj256ELj8Ell21rocsparse_complex_numIfES2_S2_S2_EEvbT2_NS_24const_host_device_scalarIT6_EEPKT1_S9_PKS3_PKT3_PKT4_S6_PT5_21rocsparse_index_base_b
    .private_segment_fixed_size: 0
    .sgpr_count:     32
    .sgpr_spill_count: 0
    .symbol:         _ZN9rocsparseL21csrmvn_general_kernelILj256ELj8Ell21rocsparse_complex_numIfES2_S2_S2_EEvbT2_NS_24const_host_device_scalarIT6_EEPKT1_S9_PKS3_PKT3_PKT4_S6_PT5_21rocsparse_index_base_b.kd
    .uniform_work_group_size: 1
    .uses_dynamic_stack: false
    .vgpr_count:     34
    .vgpr_spill_count: 0
    .wavefront_size: 64
  - .agpr_count:     0
    .args:
      - .offset:         0
        .size:           1
        .value_kind:     by_value
      - .offset:         8
        .size:           8
        .value_kind:     by_value
      - .offset:         16
        .size:           8
        .value_kind:     by_value
      - .address_space:  global
        .offset:         24
        .size:           8
        .value_kind:     global_buffer
      - .address_space:  global
        .offset:         32
        .size:           8
        .value_kind:     global_buffer
      - .actual_access:  read_only
        .address_space:  global
        .offset:         40
        .size:           8
        .value_kind:     global_buffer
      - .actual_access:  read_only
        .address_space:  global
        .offset:         48
        .size:           8
        .value_kind:     global_buffer
      - .actual_access:  read_only
        .address_space:  global
        .offset:         56
        .size:           8
        .value_kind:     global_buffer
      - .offset:         64
        .size:           8
        .value_kind:     by_value
      - .address_space:  global
        .offset:         72
        .size:           8
        .value_kind:     global_buffer
      - .offset:         80
        .size:           4
        .value_kind:     by_value
      - .offset:         84
        .size:           1
        .value_kind:     by_value
      - .offset:         88
        .size:           4
        .value_kind:     hidden_block_count_x
      - .offset:         92
        .size:           4
        .value_kind:     hidden_block_count_y
      - .offset:         96
        .size:           4
        .value_kind:     hidden_block_count_z
      - .offset:         100
        .size:           2
        .value_kind:     hidden_group_size_x
      - .offset:         102
        .size:           2
        .value_kind:     hidden_group_size_y
      - .offset:         104
        .size:           2
        .value_kind:     hidden_group_size_z
      - .offset:         106
        .size:           2
        .value_kind:     hidden_remainder_x
      - .offset:         108
        .size:           2
        .value_kind:     hidden_remainder_y
      - .offset:         110
        .size:           2
        .value_kind:     hidden_remainder_z
      - .offset:         128
        .size:           8
        .value_kind:     hidden_global_offset_x
      - .offset:         136
        .size:           8
        .value_kind:     hidden_global_offset_y
      - .offset:         144
        .size:           8
        .value_kind:     hidden_global_offset_z
      - .offset:         152
        .size:           2
        .value_kind:     hidden_grid_dims
    .group_segment_fixed_size: 0
    .kernarg_segment_align: 8
    .kernarg_segment_size: 344
    .language:       OpenCL C
    .language_version:
      - 2
      - 0
    .max_flat_workgroup_size: 256
    .name:           _ZN9rocsparseL21csrmvn_general_kernelILj256ELj16Ell21rocsparse_complex_numIfES2_S2_S2_EEvbT2_NS_24const_host_device_scalarIT6_EEPKT1_S9_PKS3_PKT3_PKT4_S6_PT5_21rocsparse_index_base_b
    .private_segment_fixed_size: 0
    .sgpr_count:     34
    .sgpr_spill_count: 0
    .symbol:         _ZN9rocsparseL21csrmvn_general_kernelILj256ELj16Ell21rocsparse_complex_numIfES2_S2_S2_EEvbT2_NS_24const_host_device_scalarIT6_EEPKT1_S9_PKS3_PKT3_PKT4_S6_PT5_21rocsparse_index_base_b.kd
    .uniform_work_group_size: 1
    .uses_dynamic_stack: false
    .vgpr_count:     34
    .vgpr_spill_count: 0
    .wavefront_size: 64
  - .agpr_count:     0
    .args:
      - .offset:         0
        .size:           1
        .value_kind:     by_value
      - .offset:         8
        .size:           8
        .value_kind:     by_value
      - .offset:         16
        .size:           8
        .value_kind:     by_value
      - .address_space:  global
        .offset:         24
        .size:           8
        .value_kind:     global_buffer
      - .address_space:  global
        .offset:         32
        .size:           8
        .value_kind:     global_buffer
      - .actual_access:  read_only
        .address_space:  global
        .offset:         40
        .size:           8
        .value_kind:     global_buffer
      - .actual_access:  read_only
        .address_space:  global
        .offset:         48
        .size:           8
        .value_kind:     global_buffer
      - .actual_access:  read_only
        .address_space:  global
        .offset:         56
        .size:           8
        .value_kind:     global_buffer
      - .offset:         64
        .size:           8
        .value_kind:     by_value
      - .address_space:  global
        .offset:         72
        .size:           8
        .value_kind:     global_buffer
      - .offset:         80
        .size:           4
        .value_kind:     by_value
      - .offset:         84
        .size:           1
        .value_kind:     by_value
      - .offset:         88
        .size:           4
        .value_kind:     hidden_block_count_x
      - .offset:         92
        .size:           4
        .value_kind:     hidden_block_count_y
      - .offset:         96
        .size:           4
        .value_kind:     hidden_block_count_z
      - .offset:         100
        .size:           2
        .value_kind:     hidden_group_size_x
      - .offset:         102
        .size:           2
        .value_kind:     hidden_group_size_y
      - .offset:         104
        .size:           2
        .value_kind:     hidden_group_size_z
      - .offset:         106
        .size:           2
        .value_kind:     hidden_remainder_x
      - .offset:         108
        .size:           2
        .value_kind:     hidden_remainder_y
      - .offset:         110
        .size:           2
        .value_kind:     hidden_remainder_z
      - .offset:         128
        .size:           8
        .value_kind:     hidden_global_offset_x
      - .offset:         136
        .size:           8
        .value_kind:     hidden_global_offset_y
      - .offset:         144
        .size:           8
        .value_kind:     hidden_global_offset_z
      - .offset:         152
        .size:           2
        .value_kind:     hidden_grid_dims
    .group_segment_fixed_size: 0
    .kernarg_segment_align: 8
    .kernarg_segment_size: 344
    .language:       OpenCL C
    .language_version:
      - 2
      - 0
    .max_flat_workgroup_size: 256
    .name:           _ZN9rocsparseL21csrmvn_general_kernelILj256ELj32Ell21rocsparse_complex_numIfES2_S2_S2_EEvbT2_NS_24const_host_device_scalarIT6_EEPKT1_S9_PKS3_PKT3_PKT4_S6_PT5_21rocsparse_index_base_b
    .private_segment_fixed_size: 0
    .sgpr_count:     34
    .sgpr_spill_count: 0
    .symbol:         _ZN9rocsparseL21csrmvn_general_kernelILj256ELj32Ell21rocsparse_complex_numIfES2_S2_S2_EEvbT2_NS_24const_host_device_scalarIT6_EEPKT1_S9_PKS3_PKT3_PKT4_S6_PT5_21rocsparse_index_base_b.kd
    .uniform_work_group_size: 1
    .uses_dynamic_stack: false
    .vgpr_count:     34
    .vgpr_spill_count: 0
    .wavefront_size: 64
  - .agpr_count:     0
    .args:
      - .offset:         0
        .size:           1
        .value_kind:     by_value
      - .offset:         8
        .size:           8
        .value_kind:     by_value
      - .offset:         16
        .size:           8
        .value_kind:     by_value
      - .address_space:  global
        .offset:         24
        .size:           8
        .value_kind:     global_buffer
      - .address_space:  global
        .offset:         32
        .size:           8
        .value_kind:     global_buffer
      - .actual_access:  read_only
        .address_space:  global
        .offset:         40
        .size:           8
        .value_kind:     global_buffer
      - .actual_access:  read_only
        .address_space:  global
        .offset:         48
        .size:           8
        .value_kind:     global_buffer
      - .actual_access:  read_only
        .address_space:  global
        .offset:         56
        .size:           8
        .value_kind:     global_buffer
      - .offset:         64
        .size:           8
        .value_kind:     by_value
      - .address_space:  global
        .offset:         72
        .size:           8
        .value_kind:     global_buffer
      - .offset:         80
        .size:           4
        .value_kind:     by_value
      - .offset:         84
        .size:           1
        .value_kind:     by_value
      - .offset:         88
        .size:           4
        .value_kind:     hidden_block_count_x
      - .offset:         92
        .size:           4
        .value_kind:     hidden_block_count_y
      - .offset:         96
        .size:           4
        .value_kind:     hidden_block_count_z
      - .offset:         100
        .size:           2
        .value_kind:     hidden_group_size_x
      - .offset:         102
        .size:           2
        .value_kind:     hidden_group_size_y
      - .offset:         104
        .size:           2
        .value_kind:     hidden_group_size_z
      - .offset:         106
        .size:           2
        .value_kind:     hidden_remainder_x
      - .offset:         108
        .size:           2
        .value_kind:     hidden_remainder_y
      - .offset:         110
        .size:           2
        .value_kind:     hidden_remainder_z
      - .offset:         128
        .size:           8
        .value_kind:     hidden_global_offset_x
      - .offset:         136
        .size:           8
        .value_kind:     hidden_global_offset_y
      - .offset:         144
        .size:           8
        .value_kind:     hidden_global_offset_z
      - .offset:         152
        .size:           2
        .value_kind:     hidden_grid_dims
    .group_segment_fixed_size: 0
    .kernarg_segment_align: 8
    .kernarg_segment_size: 344
    .language:       OpenCL C
    .language_version:
      - 2
      - 0
    .max_flat_workgroup_size: 256
    .name:           _ZN9rocsparseL21csrmvn_general_kernelILj256ELj64Ell21rocsparse_complex_numIfES2_S2_S2_EEvbT2_NS_24const_host_device_scalarIT6_EEPKT1_S9_PKS3_PKT3_PKT4_S6_PT5_21rocsparse_index_base_b
    .private_segment_fixed_size: 0
    .sgpr_count:     34
    .sgpr_spill_count: 0
    .symbol:         _ZN9rocsparseL21csrmvn_general_kernelILj256ELj64Ell21rocsparse_complex_numIfES2_S2_S2_EEvbT2_NS_24const_host_device_scalarIT6_EEPKT1_S9_PKS3_PKT3_PKT4_S6_PT5_21rocsparse_index_base_b.kd
    .uniform_work_group_size: 1
    .uses_dynamic_stack: false
    .vgpr_count:     34
    .vgpr_spill_count: 0
    .wavefront_size: 64
  - .agpr_count:     0
    .args:
      - .offset:         0
        .size:           1
        .value_kind:     by_value
      - .offset:         1
        .size:           1
        .value_kind:     by_value
      - .offset:         8
        .size:           8
        .value_kind:     by_value
      - .offset:         16
        .size:           8
        .value_kind:     by_value
      - .address_space:  global
        .offset:         24
        .size:           8
        .value_kind:     global_buffer
      - .address_space:  global
        .offset:         32
        .size:           8
        .value_kind:     global_buffer
      - .actual_access:  read_only
        .address_space:  global
        .offset:         40
        .size:           8
        .value_kind:     global_buffer
      - .actual_access:  read_only
        .address_space:  global
        .offset:         48
        .size:           8
        .value_kind:     global_buffer
      - .actual_access:  read_only
        .address_space:  global
        .offset:         56
        .size:           8
        .value_kind:     global_buffer
      - .address_space:  global
        .offset:         64
        .size:           8
        .value_kind:     global_buffer
      - .offset:         72
        .size:           4
        .value_kind:     by_value
      - .offset:         76
        .size:           1
        .value_kind:     by_value
      - .offset:         80
        .size:           4
        .value_kind:     hidden_block_count_x
      - .offset:         84
        .size:           4
        .value_kind:     hidden_block_count_y
      - .offset:         88
        .size:           4
        .value_kind:     hidden_block_count_z
      - .offset:         92
        .size:           2
        .value_kind:     hidden_group_size_x
      - .offset:         94
        .size:           2
        .value_kind:     hidden_group_size_y
      - .offset:         96
        .size:           2
        .value_kind:     hidden_group_size_z
      - .offset:         98
        .size:           2
        .value_kind:     hidden_remainder_x
      - .offset:         100
        .size:           2
        .value_kind:     hidden_remainder_y
      - .offset:         102
        .size:           2
        .value_kind:     hidden_remainder_z
      - .offset:         120
        .size:           8
        .value_kind:     hidden_global_offset_x
      - .offset:         128
        .size:           8
        .value_kind:     hidden_global_offset_y
      - .offset:         136
        .size:           8
        .value_kind:     hidden_global_offset_z
      - .offset:         144
        .size:           2
        .value_kind:     hidden_grid_dims
    .group_segment_fixed_size: 0
    .kernarg_segment_align: 8
    .kernarg_segment_size: 336
    .language:       OpenCL C
    .language_version:
      - 2
      - 0
    .max_flat_workgroup_size: 256
    .name:           _ZN9rocsparseL21csrmvt_general_kernelILj256ELj4Ell21rocsparse_complex_numIfES2_S2_S2_EEvbbT2_NS_24const_host_device_scalarIT6_EEPKT1_S9_PKS3_PKT3_PKT4_PT5_21rocsparse_index_base_b
    .private_segment_fixed_size: 0
    .sgpr_count:     34
    .sgpr_spill_count: 0
    .symbol:         _ZN9rocsparseL21csrmvt_general_kernelILj256ELj4Ell21rocsparse_complex_numIfES2_S2_S2_EEvbbT2_NS_24const_host_device_scalarIT6_EEPKT1_S9_PKS3_PKT3_PKT4_PT5_21rocsparse_index_base_b.kd
    .uniform_work_group_size: 1
    .uses_dynamic_stack: false
    .vgpr_count:     25
    .vgpr_spill_count: 0
    .wavefront_size: 64
  - .agpr_count:     0
    .args:
      - .offset:         0
        .size:           1
        .value_kind:     by_value
      - .offset:         1
        .size:           1
        .value_kind:     by_value
      - .offset:         8
        .size:           8
        .value_kind:     by_value
      - .offset:         16
        .size:           8
        .value_kind:     by_value
      - .address_space:  global
        .offset:         24
        .size:           8
        .value_kind:     global_buffer
      - .address_space:  global
        .offset:         32
        .size:           8
        .value_kind:     global_buffer
      - .actual_access:  read_only
        .address_space:  global
        .offset:         40
        .size:           8
        .value_kind:     global_buffer
      - .actual_access:  read_only
        .address_space:  global
        .offset:         48
        .size:           8
        .value_kind:     global_buffer
      - .actual_access:  read_only
        .address_space:  global
        .offset:         56
        .size:           8
        .value_kind:     global_buffer
      - .address_space:  global
        .offset:         64
        .size:           8
        .value_kind:     global_buffer
      - .offset:         72
        .size:           4
        .value_kind:     by_value
      - .offset:         76
        .size:           1
        .value_kind:     by_value
      - .offset:         80
        .size:           4
        .value_kind:     hidden_block_count_x
      - .offset:         84
        .size:           4
        .value_kind:     hidden_block_count_y
      - .offset:         88
        .size:           4
        .value_kind:     hidden_block_count_z
      - .offset:         92
        .size:           2
        .value_kind:     hidden_group_size_x
      - .offset:         94
        .size:           2
        .value_kind:     hidden_group_size_y
      - .offset:         96
        .size:           2
        .value_kind:     hidden_group_size_z
      - .offset:         98
        .size:           2
        .value_kind:     hidden_remainder_x
      - .offset:         100
        .size:           2
        .value_kind:     hidden_remainder_y
      - .offset:         102
        .size:           2
        .value_kind:     hidden_remainder_z
      - .offset:         120
        .size:           8
        .value_kind:     hidden_global_offset_x
      - .offset:         128
        .size:           8
        .value_kind:     hidden_global_offset_y
      - .offset:         136
        .size:           8
        .value_kind:     hidden_global_offset_z
      - .offset:         144
        .size:           2
        .value_kind:     hidden_grid_dims
    .group_segment_fixed_size: 0
    .kernarg_segment_align: 8
    .kernarg_segment_size: 336
    .language:       OpenCL C
    .language_version:
      - 2
      - 0
    .max_flat_workgroup_size: 256
    .name:           _ZN9rocsparseL21csrmvt_general_kernelILj256ELj8Ell21rocsparse_complex_numIfES2_S2_S2_EEvbbT2_NS_24const_host_device_scalarIT6_EEPKT1_S9_PKS3_PKT3_PKT4_PT5_21rocsparse_index_base_b
    .private_segment_fixed_size: 0
    .sgpr_count:     34
    .sgpr_spill_count: 0
    .symbol:         _ZN9rocsparseL21csrmvt_general_kernelILj256ELj8Ell21rocsparse_complex_numIfES2_S2_S2_EEvbbT2_NS_24const_host_device_scalarIT6_EEPKT1_S9_PKS3_PKT3_PKT4_PT5_21rocsparse_index_base_b.kd
    .uniform_work_group_size: 1
    .uses_dynamic_stack: false
    .vgpr_count:     25
    .vgpr_spill_count: 0
    .wavefront_size: 64
  - .agpr_count:     0
    .args:
      - .offset:         0
        .size:           1
        .value_kind:     by_value
      - .offset:         1
        .size:           1
        .value_kind:     by_value
      - .offset:         8
        .size:           8
        .value_kind:     by_value
      - .offset:         16
        .size:           8
        .value_kind:     by_value
      - .address_space:  global
        .offset:         24
        .size:           8
        .value_kind:     global_buffer
      - .address_space:  global
        .offset:         32
        .size:           8
        .value_kind:     global_buffer
      - .actual_access:  read_only
        .address_space:  global
        .offset:         40
        .size:           8
        .value_kind:     global_buffer
      - .actual_access:  read_only
        .address_space:  global
        .offset:         48
        .size:           8
        .value_kind:     global_buffer
      - .actual_access:  read_only
        .address_space:  global
        .offset:         56
        .size:           8
        .value_kind:     global_buffer
      - .address_space:  global
        .offset:         64
        .size:           8
        .value_kind:     global_buffer
      - .offset:         72
        .size:           4
        .value_kind:     by_value
      - .offset:         76
        .size:           1
        .value_kind:     by_value
      - .offset:         80
        .size:           4
        .value_kind:     hidden_block_count_x
      - .offset:         84
        .size:           4
        .value_kind:     hidden_block_count_y
      - .offset:         88
        .size:           4
        .value_kind:     hidden_block_count_z
      - .offset:         92
        .size:           2
        .value_kind:     hidden_group_size_x
      - .offset:         94
        .size:           2
        .value_kind:     hidden_group_size_y
      - .offset:         96
        .size:           2
        .value_kind:     hidden_group_size_z
      - .offset:         98
        .size:           2
        .value_kind:     hidden_remainder_x
      - .offset:         100
        .size:           2
        .value_kind:     hidden_remainder_y
      - .offset:         102
        .size:           2
        .value_kind:     hidden_remainder_z
      - .offset:         120
        .size:           8
        .value_kind:     hidden_global_offset_x
      - .offset:         128
        .size:           8
        .value_kind:     hidden_global_offset_y
      - .offset:         136
        .size:           8
        .value_kind:     hidden_global_offset_z
      - .offset:         144
        .size:           2
        .value_kind:     hidden_grid_dims
    .group_segment_fixed_size: 0
    .kernarg_segment_align: 8
    .kernarg_segment_size: 336
    .language:       OpenCL C
    .language_version:
      - 2
      - 0
    .max_flat_workgroup_size: 256
    .name:           _ZN9rocsparseL21csrmvt_general_kernelILj256ELj16Ell21rocsparse_complex_numIfES2_S2_S2_EEvbbT2_NS_24const_host_device_scalarIT6_EEPKT1_S9_PKS3_PKT3_PKT4_PT5_21rocsparse_index_base_b
    .private_segment_fixed_size: 0
    .sgpr_count:     34
    .sgpr_spill_count: 0
    .symbol:         _ZN9rocsparseL21csrmvt_general_kernelILj256ELj16Ell21rocsparse_complex_numIfES2_S2_S2_EEvbbT2_NS_24const_host_device_scalarIT6_EEPKT1_S9_PKS3_PKT3_PKT4_PT5_21rocsparse_index_base_b.kd
    .uniform_work_group_size: 1
    .uses_dynamic_stack: false
    .vgpr_count:     25
    .vgpr_spill_count: 0
    .wavefront_size: 64
  - .agpr_count:     0
    .args:
      - .offset:         0
        .size:           1
        .value_kind:     by_value
      - .offset:         1
        .size:           1
        .value_kind:     by_value
      - .offset:         8
        .size:           8
        .value_kind:     by_value
      - .offset:         16
        .size:           8
        .value_kind:     by_value
      - .address_space:  global
        .offset:         24
        .size:           8
        .value_kind:     global_buffer
      - .address_space:  global
        .offset:         32
        .size:           8
        .value_kind:     global_buffer
      - .actual_access:  read_only
        .address_space:  global
        .offset:         40
        .size:           8
        .value_kind:     global_buffer
      - .actual_access:  read_only
        .address_space:  global
        .offset:         48
        .size:           8
        .value_kind:     global_buffer
      - .actual_access:  read_only
        .address_space:  global
        .offset:         56
        .size:           8
        .value_kind:     global_buffer
      - .address_space:  global
        .offset:         64
        .size:           8
        .value_kind:     global_buffer
      - .offset:         72
        .size:           4
        .value_kind:     by_value
      - .offset:         76
        .size:           1
        .value_kind:     by_value
      - .offset:         80
        .size:           4
        .value_kind:     hidden_block_count_x
      - .offset:         84
        .size:           4
        .value_kind:     hidden_block_count_y
      - .offset:         88
        .size:           4
        .value_kind:     hidden_block_count_z
      - .offset:         92
        .size:           2
        .value_kind:     hidden_group_size_x
      - .offset:         94
        .size:           2
        .value_kind:     hidden_group_size_y
      - .offset:         96
        .size:           2
        .value_kind:     hidden_group_size_z
      - .offset:         98
        .size:           2
        .value_kind:     hidden_remainder_x
      - .offset:         100
        .size:           2
        .value_kind:     hidden_remainder_y
      - .offset:         102
        .size:           2
        .value_kind:     hidden_remainder_z
      - .offset:         120
        .size:           8
        .value_kind:     hidden_global_offset_x
      - .offset:         128
        .size:           8
        .value_kind:     hidden_global_offset_y
      - .offset:         136
        .size:           8
        .value_kind:     hidden_global_offset_z
      - .offset:         144
        .size:           2
        .value_kind:     hidden_grid_dims
    .group_segment_fixed_size: 0
    .kernarg_segment_align: 8
    .kernarg_segment_size: 336
    .language:       OpenCL C
    .language_version:
      - 2
      - 0
    .max_flat_workgroup_size: 256
    .name:           _ZN9rocsparseL21csrmvt_general_kernelILj256ELj32Ell21rocsparse_complex_numIfES2_S2_S2_EEvbbT2_NS_24const_host_device_scalarIT6_EEPKT1_S9_PKS3_PKT3_PKT4_PT5_21rocsparse_index_base_b
    .private_segment_fixed_size: 0
    .sgpr_count:     34
    .sgpr_spill_count: 0
    .symbol:         _ZN9rocsparseL21csrmvt_general_kernelILj256ELj32Ell21rocsparse_complex_numIfES2_S2_S2_EEvbbT2_NS_24const_host_device_scalarIT6_EEPKT1_S9_PKS3_PKT3_PKT4_PT5_21rocsparse_index_base_b.kd
    .uniform_work_group_size: 1
    .uses_dynamic_stack: false
    .vgpr_count:     25
    .vgpr_spill_count: 0
    .wavefront_size: 64
  - .agpr_count:     0
    .args:
      - .offset:         0
        .size:           1
        .value_kind:     by_value
      - .offset:         1
        .size:           1
        .value_kind:     by_value
      - .offset:         8
        .size:           8
        .value_kind:     by_value
      - .offset:         16
        .size:           8
        .value_kind:     by_value
      - .address_space:  global
        .offset:         24
        .size:           8
        .value_kind:     global_buffer
      - .address_space:  global
        .offset:         32
        .size:           8
        .value_kind:     global_buffer
      - .actual_access:  read_only
        .address_space:  global
        .offset:         40
        .size:           8
        .value_kind:     global_buffer
      - .actual_access:  read_only
        .address_space:  global
        .offset:         48
        .size:           8
        .value_kind:     global_buffer
      - .actual_access:  read_only
        .address_space:  global
        .offset:         56
        .size:           8
        .value_kind:     global_buffer
      - .address_space:  global
        .offset:         64
        .size:           8
        .value_kind:     global_buffer
      - .offset:         72
        .size:           4
        .value_kind:     by_value
      - .offset:         76
        .size:           1
        .value_kind:     by_value
      - .offset:         80
        .size:           4
        .value_kind:     hidden_block_count_x
      - .offset:         84
        .size:           4
        .value_kind:     hidden_block_count_y
      - .offset:         88
        .size:           4
        .value_kind:     hidden_block_count_z
      - .offset:         92
        .size:           2
        .value_kind:     hidden_group_size_x
      - .offset:         94
        .size:           2
        .value_kind:     hidden_group_size_y
      - .offset:         96
        .size:           2
        .value_kind:     hidden_group_size_z
      - .offset:         98
        .size:           2
        .value_kind:     hidden_remainder_x
      - .offset:         100
        .size:           2
        .value_kind:     hidden_remainder_y
      - .offset:         102
        .size:           2
        .value_kind:     hidden_remainder_z
      - .offset:         120
        .size:           8
        .value_kind:     hidden_global_offset_x
      - .offset:         128
        .size:           8
        .value_kind:     hidden_global_offset_y
      - .offset:         136
        .size:           8
        .value_kind:     hidden_global_offset_z
      - .offset:         144
        .size:           2
        .value_kind:     hidden_grid_dims
    .group_segment_fixed_size: 0
    .kernarg_segment_align: 8
    .kernarg_segment_size: 336
    .language:       OpenCL C
    .language_version:
      - 2
      - 0
    .max_flat_workgroup_size: 256
    .name:           _ZN9rocsparseL21csrmvt_general_kernelILj256ELj64Ell21rocsparse_complex_numIfES2_S2_S2_EEvbbT2_NS_24const_host_device_scalarIT6_EEPKT1_S9_PKS3_PKT3_PKT4_PT5_21rocsparse_index_base_b
    .private_segment_fixed_size: 0
    .sgpr_count:     34
    .sgpr_spill_count: 0
    .symbol:         _ZN9rocsparseL21csrmvt_general_kernelILj256ELj64Ell21rocsparse_complex_numIfES2_S2_S2_EEvbbT2_NS_24const_host_device_scalarIT6_EEPKT1_S9_PKS3_PKT3_PKT4_PT5_21rocsparse_index_base_b.kd
    .uniform_work_group_size: 1
    .uses_dynamic_stack: false
    .vgpr_count:     25
    .vgpr_spill_count: 0
    .wavefront_size: 64
  - .agpr_count:     0
    .args:
      - .offset:         0
        .size:           1
        .value_kind:     by_value
      - .offset:         4
        .size:           4
        .value_kind:     by_value
      - .offset:         8
        .size:           16
        .value_kind:     by_value
      - .address_space:  global
        .offset:         24
        .size:           8
        .value_kind:     global_buffer
      - .address_space:  global
        .offset:         32
        .size:           8
        .value_kind:     global_buffer
      - .actual_access:  read_only
        .address_space:  global
        .offset:         40
        .size:           8
        .value_kind:     global_buffer
      - .actual_access:  read_only
        .address_space:  global
        .offset:         48
        .size:           8
        .value_kind:     global_buffer
      - .actual_access:  read_only
        .address_space:  global
        .offset:         56
        .size:           8
        .value_kind:     global_buffer
      - .offset:         64
        .size:           16
        .value_kind:     by_value
      - .address_space:  global
        .offset:         80
        .size:           8
        .value_kind:     global_buffer
      - .offset:         88
        .size:           4
        .value_kind:     by_value
      - .offset:         92
        .size:           1
        .value_kind:     by_value
      - .offset:         96
        .size:           4
        .value_kind:     hidden_block_count_x
      - .offset:         100
        .size:           4
        .value_kind:     hidden_block_count_y
      - .offset:         104
        .size:           4
        .value_kind:     hidden_block_count_z
      - .offset:         108
        .size:           2
        .value_kind:     hidden_group_size_x
      - .offset:         110
        .size:           2
        .value_kind:     hidden_group_size_y
      - .offset:         112
        .size:           2
        .value_kind:     hidden_group_size_z
      - .offset:         114
        .size:           2
        .value_kind:     hidden_remainder_x
      - .offset:         116
        .size:           2
        .value_kind:     hidden_remainder_y
      - .offset:         118
        .size:           2
        .value_kind:     hidden_remainder_z
      - .offset:         136
        .size:           8
        .value_kind:     hidden_global_offset_x
      - .offset:         144
        .size:           8
        .value_kind:     hidden_global_offset_y
      - .offset:         152
        .size:           8
        .value_kind:     hidden_global_offset_z
      - .offset:         160
        .size:           2
        .value_kind:     hidden_grid_dims
    .group_segment_fixed_size: 4096
    .kernarg_segment_align: 8
    .kernarg_segment_size: 352
    .language:       OpenCL C
    .language_version:
      - 2
      - 0
    .max_flat_workgroup_size: 256
    .name:           _ZN9rocsparseL21csrmvn_general_kernelILj256ELj2Eii21rocsparse_complex_numIdES2_S2_S2_EEvbT2_NS_24const_host_device_scalarIT6_EEPKT1_S9_PKS3_PKT3_PKT4_S6_PT5_21rocsparse_index_base_b
    .private_segment_fixed_size: 0
    .sgpr_count:     31
    .sgpr_spill_count: 0
    .symbol:         _ZN9rocsparseL21csrmvn_general_kernelILj256ELj2Eii21rocsparse_complex_numIdES2_S2_S2_EEvbT2_NS_24const_host_device_scalarIT6_EEPKT1_S9_PKS3_PKT3_PKT4_S6_PT5_21rocsparse_index_base_b.kd
    .uniform_work_group_size: 1
    .uses_dynamic_stack: false
    .vgpr_count:     32
    .vgpr_spill_count: 0
    .wavefront_size: 64
  - .agpr_count:     0
    .args:
      - .offset:         0
        .size:           1
        .value_kind:     by_value
      - .offset:         4
        .size:           4
        .value_kind:     by_value
      - .offset:         8
        .size:           16
        .value_kind:     by_value
      - .address_space:  global
        .offset:         24
        .size:           8
        .value_kind:     global_buffer
      - .address_space:  global
        .offset:         32
        .size:           8
        .value_kind:     global_buffer
      - .actual_access:  read_only
        .address_space:  global
        .offset:         40
        .size:           8
        .value_kind:     global_buffer
      - .actual_access:  read_only
        .address_space:  global
        .offset:         48
        .size:           8
        .value_kind:     global_buffer
      - .actual_access:  read_only
        .address_space:  global
        .offset:         56
        .size:           8
        .value_kind:     global_buffer
      - .offset:         64
        .size:           16
        .value_kind:     by_value
      - .address_space:  global
        .offset:         80
        .size:           8
        .value_kind:     global_buffer
      - .offset:         88
        .size:           4
        .value_kind:     by_value
      - .offset:         92
        .size:           1
        .value_kind:     by_value
      - .offset:         96
        .size:           4
        .value_kind:     hidden_block_count_x
      - .offset:         100
        .size:           4
        .value_kind:     hidden_block_count_y
      - .offset:         104
        .size:           4
        .value_kind:     hidden_block_count_z
      - .offset:         108
        .size:           2
        .value_kind:     hidden_group_size_x
      - .offset:         110
        .size:           2
        .value_kind:     hidden_group_size_y
      - .offset:         112
        .size:           2
        .value_kind:     hidden_group_size_z
      - .offset:         114
        .size:           2
        .value_kind:     hidden_remainder_x
      - .offset:         116
        .size:           2
        .value_kind:     hidden_remainder_y
      - .offset:         118
        .size:           2
        .value_kind:     hidden_remainder_z
      - .offset:         136
        .size:           8
        .value_kind:     hidden_global_offset_x
      - .offset:         144
        .size:           8
        .value_kind:     hidden_global_offset_y
      - .offset:         152
        .size:           8
        .value_kind:     hidden_global_offset_z
      - .offset:         160
        .size:           2
        .value_kind:     hidden_grid_dims
    .group_segment_fixed_size: 4096
    .kernarg_segment_align: 8
    .kernarg_segment_size: 352
    .language:       OpenCL C
    .language_version:
      - 2
      - 0
    .max_flat_workgroup_size: 256
    .name:           _ZN9rocsparseL21csrmvn_general_kernelILj256ELj4Eii21rocsparse_complex_numIdES2_S2_S2_EEvbT2_NS_24const_host_device_scalarIT6_EEPKT1_S9_PKS3_PKT3_PKT4_S6_PT5_21rocsparse_index_base_b
    .private_segment_fixed_size: 0
    .sgpr_count:     31
    .sgpr_spill_count: 0
    .symbol:         _ZN9rocsparseL21csrmvn_general_kernelILj256ELj4Eii21rocsparse_complex_numIdES2_S2_S2_EEvbT2_NS_24const_host_device_scalarIT6_EEPKT1_S9_PKS3_PKT3_PKT4_S6_PT5_21rocsparse_index_base_b.kd
    .uniform_work_group_size: 1
    .uses_dynamic_stack: false
    .vgpr_count:     32
    .vgpr_spill_count: 0
    .wavefront_size: 64
  - .agpr_count:     0
    .args:
      - .offset:         0
        .size:           1
        .value_kind:     by_value
      - .offset:         4
        .size:           4
        .value_kind:     by_value
      - .offset:         8
        .size:           16
        .value_kind:     by_value
      - .address_space:  global
        .offset:         24
        .size:           8
        .value_kind:     global_buffer
      - .address_space:  global
        .offset:         32
        .size:           8
        .value_kind:     global_buffer
      - .actual_access:  read_only
        .address_space:  global
        .offset:         40
        .size:           8
        .value_kind:     global_buffer
      - .actual_access:  read_only
        .address_space:  global
        .offset:         48
        .size:           8
        .value_kind:     global_buffer
      - .actual_access:  read_only
        .address_space:  global
        .offset:         56
        .size:           8
        .value_kind:     global_buffer
      - .offset:         64
        .size:           16
        .value_kind:     by_value
      - .address_space:  global
        .offset:         80
        .size:           8
        .value_kind:     global_buffer
      - .offset:         88
        .size:           4
        .value_kind:     by_value
      - .offset:         92
        .size:           1
        .value_kind:     by_value
      - .offset:         96
        .size:           4
        .value_kind:     hidden_block_count_x
      - .offset:         100
        .size:           4
        .value_kind:     hidden_block_count_y
      - .offset:         104
        .size:           4
        .value_kind:     hidden_block_count_z
      - .offset:         108
        .size:           2
        .value_kind:     hidden_group_size_x
      - .offset:         110
        .size:           2
        .value_kind:     hidden_group_size_y
      - .offset:         112
        .size:           2
        .value_kind:     hidden_group_size_z
      - .offset:         114
        .size:           2
        .value_kind:     hidden_remainder_x
      - .offset:         116
        .size:           2
        .value_kind:     hidden_remainder_y
      - .offset:         118
        .size:           2
        .value_kind:     hidden_remainder_z
      - .offset:         136
        .size:           8
        .value_kind:     hidden_global_offset_x
      - .offset:         144
        .size:           8
        .value_kind:     hidden_global_offset_y
      - .offset:         152
        .size:           8
        .value_kind:     hidden_global_offset_z
      - .offset:         160
        .size:           2
        .value_kind:     hidden_grid_dims
    .group_segment_fixed_size: 4096
    .kernarg_segment_align: 8
    .kernarg_segment_size: 352
    .language:       OpenCL C
    .language_version:
      - 2
      - 0
    .max_flat_workgroup_size: 256
    .name:           _ZN9rocsparseL21csrmvn_general_kernelILj256ELj8Eii21rocsparse_complex_numIdES2_S2_S2_EEvbT2_NS_24const_host_device_scalarIT6_EEPKT1_S9_PKS3_PKT3_PKT4_S6_PT5_21rocsparse_index_base_b
    .private_segment_fixed_size: 0
    .sgpr_count:     31
    .sgpr_spill_count: 0
    .symbol:         _ZN9rocsparseL21csrmvn_general_kernelILj256ELj8Eii21rocsparse_complex_numIdES2_S2_S2_EEvbT2_NS_24const_host_device_scalarIT6_EEPKT1_S9_PKS3_PKT3_PKT4_S6_PT5_21rocsparse_index_base_b.kd
    .uniform_work_group_size: 1
    .uses_dynamic_stack: false
    .vgpr_count:     32
    .vgpr_spill_count: 0
    .wavefront_size: 64
  - .agpr_count:     0
    .args:
      - .offset:         0
        .size:           1
        .value_kind:     by_value
      - .offset:         4
        .size:           4
        .value_kind:     by_value
      - .offset:         8
        .size:           16
        .value_kind:     by_value
      - .address_space:  global
        .offset:         24
        .size:           8
        .value_kind:     global_buffer
      - .address_space:  global
        .offset:         32
        .size:           8
        .value_kind:     global_buffer
      - .actual_access:  read_only
        .address_space:  global
        .offset:         40
        .size:           8
        .value_kind:     global_buffer
      - .actual_access:  read_only
        .address_space:  global
        .offset:         48
        .size:           8
        .value_kind:     global_buffer
      - .actual_access:  read_only
        .address_space:  global
        .offset:         56
        .size:           8
        .value_kind:     global_buffer
      - .offset:         64
        .size:           16
        .value_kind:     by_value
      - .address_space:  global
        .offset:         80
        .size:           8
        .value_kind:     global_buffer
      - .offset:         88
        .size:           4
        .value_kind:     by_value
      - .offset:         92
        .size:           1
        .value_kind:     by_value
      - .offset:         96
        .size:           4
        .value_kind:     hidden_block_count_x
      - .offset:         100
        .size:           4
        .value_kind:     hidden_block_count_y
      - .offset:         104
        .size:           4
        .value_kind:     hidden_block_count_z
      - .offset:         108
        .size:           2
        .value_kind:     hidden_group_size_x
      - .offset:         110
        .size:           2
        .value_kind:     hidden_group_size_y
      - .offset:         112
        .size:           2
        .value_kind:     hidden_group_size_z
      - .offset:         114
        .size:           2
        .value_kind:     hidden_remainder_x
      - .offset:         116
        .size:           2
        .value_kind:     hidden_remainder_y
      - .offset:         118
        .size:           2
        .value_kind:     hidden_remainder_z
      - .offset:         136
        .size:           8
        .value_kind:     hidden_global_offset_x
      - .offset:         144
        .size:           8
        .value_kind:     hidden_global_offset_y
      - .offset:         152
        .size:           8
        .value_kind:     hidden_global_offset_z
      - .offset:         160
        .size:           2
        .value_kind:     hidden_grid_dims
    .group_segment_fixed_size: 4096
    .kernarg_segment_align: 8
    .kernarg_segment_size: 352
    .language:       OpenCL C
    .language_version:
      - 2
      - 0
    .max_flat_workgroup_size: 256
    .name:           _ZN9rocsparseL21csrmvn_general_kernelILj256ELj16Eii21rocsparse_complex_numIdES2_S2_S2_EEvbT2_NS_24const_host_device_scalarIT6_EEPKT1_S9_PKS3_PKT3_PKT4_S6_PT5_21rocsparse_index_base_b
    .private_segment_fixed_size: 0
    .sgpr_count:     31
    .sgpr_spill_count: 0
    .symbol:         _ZN9rocsparseL21csrmvn_general_kernelILj256ELj16Eii21rocsparse_complex_numIdES2_S2_S2_EEvbT2_NS_24const_host_device_scalarIT6_EEPKT1_S9_PKS3_PKT3_PKT4_S6_PT5_21rocsparse_index_base_b.kd
    .uniform_work_group_size: 1
    .uses_dynamic_stack: false
    .vgpr_count:     32
    .vgpr_spill_count: 0
    .wavefront_size: 64
  - .agpr_count:     0
    .args:
      - .offset:         0
        .size:           1
        .value_kind:     by_value
      - .offset:         4
        .size:           4
        .value_kind:     by_value
      - .offset:         8
        .size:           16
        .value_kind:     by_value
      - .address_space:  global
        .offset:         24
        .size:           8
        .value_kind:     global_buffer
      - .address_space:  global
        .offset:         32
        .size:           8
        .value_kind:     global_buffer
      - .actual_access:  read_only
        .address_space:  global
        .offset:         40
        .size:           8
        .value_kind:     global_buffer
      - .actual_access:  read_only
        .address_space:  global
        .offset:         48
        .size:           8
        .value_kind:     global_buffer
      - .actual_access:  read_only
        .address_space:  global
        .offset:         56
        .size:           8
        .value_kind:     global_buffer
      - .offset:         64
        .size:           16
        .value_kind:     by_value
      - .address_space:  global
        .offset:         80
        .size:           8
        .value_kind:     global_buffer
      - .offset:         88
        .size:           4
        .value_kind:     by_value
      - .offset:         92
        .size:           1
        .value_kind:     by_value
      - .offset:         96
        .size:           4
        .value_kind:     hidden_block_count_x
      - .offset:         100
        .size:           4
        .value_kind:     hidden_block_count_y
      - .offset:         104
        .size:           4
        .value_kind:     hidden_block_count_z
      - .offset:         108
        .size:           2
        .value_kind:     hidden_group_size_x
      - .offset:         110
        .size:           2
        .value_kind:     hidden_group_size_y
      - .offset:         112
        .size:           2
        .value_kind:     hidden_group_size_z
      - .offset:         114
        .size:           2
        .value_kind:     hidden_remainder_x
      - .offset:         116
        .size:           2
        .value_kind:     hidden_remainder_y
      - .offset:         118
        .size:           2
        .value_kind:     hidden_remainder_z
      - .offset:         136
        .size:           8
        .value_kind:     hidden_global_offset_x
      - .offset:         144
        .size:           8
        .value_kind:     hidden_global_offset_y
      - .offset:         152
        .size:           8
        .value_kind:     hidden_global_offset_z
      - .offset:         160
        .size:           2
        .value_kind:     hidden_grid_dims
    .group_segment_fixed_size: 4096
    .kernarg_segment_align: 8
    .kernarg_segment_size: 352
    .language:       OpenCL C
    .language_version:
      - 2
      - 0
    .max_flat_workgroup_size: 256
    .name:           _ZN9rocsparseL21csrmvn_general_kernelILj256ELj32Eii21rocsparse_complex_numIdES2_S2_S2_EEvbT2_NS_24const_host_device_scalarIT6_EEPKT1_S9_PKS3_PKT3_PKT4_S6_PT5_21rocsparse_index_base_b
    .private_segment_fixed_size: 0
    .sgpr_count:     31
    .sgpr_spill_count: 0
    .symbol:         _ZN9rocsparseL21csrmvn_general_kernelILj256ELj32Eii21rocsparse_complex_numIdES2_S2_S2_EEvbT2_NS_24const_host_device_scalarIT6_EEPKT1_S9_PKS3_PKT3_PKT4_S6_PT5_21rocsparse_index_base_b.kd
    .uniform_work_group_size: 1
    .uses_dynamic_stack: false
    .vgpr_count:     32
    .vgpr_spill_count: 0
    .wavefront_size: 64
  - .agpr_count:     0
    .args:
      - .offset:         0
        .size:           1
        .value_kind:     by_value
      - .offset:         4
        .size:           4
        .value_kind:     by_value
      - .offset:         8
        .size:           16
        .value_kind:     by_value
      - .address_space:  global
        .offset:         24
        .size:           8
        .value_kind:     global_buffer
      - .address_space:  global
        .offset:         32
        .size:           8
        .value_kind:     global_buffer
      - .actual_access:  read_only
        .address_space:  global
        .offset:         40
        .size:           8
        .value_kind:     global_buffer
      - .actual_access:  read_only
        .address_space:  global
        .offset:         48
        .size:           8
        .value_kind:     global_buffer
      - .actual_access:  read_only
        .address_space:  global
        .offset:         56
        .size:           8
        .value_kind:     global_buffer
      - .offset:         64
        .size:           16
        .value_kind:     by_value
      - .address_space:  global
        .offset:         80
        .size:           8
        .value_kind:     global_buffer
      - .offset:         88
        .size:           4
        .value_kind:     by_value
      - .offset:         92
        .size:           1
        .value_kind:     by_value
      - .offset:         96
        .size:           4
        .value_kind:     hidden_block_count_x
      - .offset:         100
        .size:           4
        .value_kind:     hidden_block_count_y
      - .offset:         104
        .size:           4
        .value_kind:     hidden_block_count_z
      - .offset:         108
        .size:           2
        .value_kind:     hidden_group_size_x
      - .offset:         110
        .size:           2
        .value_kind:     hidden_group_size_y
      - .offset:         112
        .size:           2
        .value_kind:     hidden_group_size_z
      - .offset:         114
        .size:           2
        .value_kind:     hidden_remainder_x
      - .offset:         116
        .size:           2
        .value_kind:     hidden_remainder_y
      - .offset:         118
        .size:           2
        .value_kind:     hidden_remainder_z
      - .offset:         136
        .size:           8
        .value_kind:     hidden_global_offset_x
      - .offset:         144
        .size:           8
        .value_kind:     hidden_global_offset_y
      - .offset:         152
        .size:           8
        .value_kind:     hidden_global_offset_z
      - .offset:         160
        .size:           2
        .value_kind:     hidden_grid_dims
    .group_segment_fixed_size: 4096
    .kernarg_segment_align: 8
    .kernarg_segment_size: 352
    .language:       OpenCL C
    .language_version:
      - 2
      - 0
    .max_flat_workgroup_size: 256
    .name:           _ZN9rocsparseL21csrmvn_general_kernelILj256ELj64Eii21rocsparse_complex_numIdES2_S2_S2_EEvbT2_NS_24const_host_device_scalarIT6_EEPKT1_S9_PKS3_PKT3_PKT4_S6_PT5_21rocsparse_index_base_b
    .private_segment_fixed_size: 0
    .sgpr_count:     31
    .sgpr_spill_count: 0
    .symbol:         _ZN9rocsparseL21csrmvn_general_kernelILj256ELj64Eii21rocsparse_complex_numIdES2_S2_S2_EEvbT2_NS_24const_host_device_scalarIT6_EEPKT1_S9_PKS3_PKT3_PKT4_S6_PT5_21rocsparse_index_base_b.kd
    .uniform_work_group_size: 1
    .uses_dynamic_stack: false
    .vgpr_count:     32
    .vgpr_spill_count: 0
    .wavefront_size: 64
  - .agpr_count:     0
    .args:
      - .offset:         0
        .size:           1
        .value_kind:     by_value
      - .offset:         1
        .size:           1
        .value_kind:     by_value
      - .offset:         4
        .size:           4
        .value_kind:     by_value
      - .offset:         8
        .size:           16
        .value_kind:     by_value
      - .address_space:  global
        .offset:         24
        .size:           8
        .value_kind:     global_buffer
      - .address_space:  global
        .offset:         32
        .size:           8
        .value_kind:     global_buffer
      - .actual_access:  read_only
        .address_space:  global
        .offset:         40
        .size:           8
        .value_kind:     global_buffer
      - .actual_access:  read_only
        .address_space:  global
        .offset:         48
        .size:           8
        .value_kind:     global_buffer
      - .actual_access:  read_only
        .address_space:  global
        .offset:         56
        .size:           8
        .value_kind:     global_buffer
      - .address_space:  global
        .offset:         64
        .size:           8
        .value_kind:     global_buffer
      - .offset:         72
        .size:           4
        .value_kind:     by_value
      - .offset:         76
        .size:           1
        .value_kind:     by_value
      - .offset:         80
        .size:           4
        .value_kind:     hidden_block_count_x
      - .offset:         84
        .size:           4
        .value_kind:     hidden_block_count_y
      - .offset:         88
        .size:           4
        .value_kind:     hidden_block_count_z
      - .offset:         92
        .size:           2
        .value_kind:     hidden_group_size_x
      - .offset:         94
        .size:           2
        .value_kind:     hidden_group_size_y
      - .offset:         96
        .size:           2
        .value_kind:     hidden_group_size_z
      - .offset:         98
        .size:           2
        .value_kind:     hidden_remainder_x
      - .offset:         100
        .size:           2
        .value_kind:     hidden_remainder_y
      - .offset:         102
        .size:           2
        .value_kind:     hidden_remainder_z
      - .offset:         120
        .size:           8
        .value_kind:     hidden_global_offset_x
      - .offset:         128
        .size:           8
        .value_kind:     hidden_global_offset_y
      - .offset:         136
        .size:           8
        .value_kind:     hidden_global_offset_z
      - .offset:         144
        .size:           2
        .value_kind:     hidden_grid_dims
    .group_segment_fixed_size: 2048
    .kernarg_segment_align: 8
    .kernarg_segment_size: 336
    .language:       OpenCL C
    .language_version:
      - 2
      - 0
    .max_flat_workgroup_size: 256
    .name:           _ZN9rocsparseL21csrmvt_general_kernelILj256ELj4Eii21rocsparse_complex_numIdES2_S2_S2_EEvbbT2_NS_24const_host_device_scalarIT6_EEPKT1_S9_PKS3_PKT3_PKT4_PT5_21rocsparse_index_base_b
    .private_segment_fixed_size: 0
    .sgpr_count:     34
    .sgpr_spill_count: 0
    .symbol:         _ZN9rocsparseL21csrmvt_general_kernelILj256ELj4Eii21rocsparse_complex_numIdES2_S2_S2_EEvbbT2_NS_24const_host_device_scalarIT6_EEPKT1_S9_PKS3_PKT3_PKT4_PT5_21rocsparse_index_base_b.kd
    .uniform_work_group_size: 1
    .uses_dynamic_stack: false
    .vgpr_count:     30
    .vgpr_spill_count: 0
    .wavefront_size: 64
  - .agpr_count:     0
    .args:
      - .offset:         0
        .size:           1
        .value_kind:     by_value
      - .offset:         1
        .size:           1
        .value_kind:     by_value
      - .offset:         4
        .size:           4
        .value_kind:     by_value
      - .offset:         8
        .size:           16
        .value_kind:     by_value
      - .address_space:  global
        .offset:         24
        .size:           8
        .value_kind:     global_buffer
      - .address_space:  global
        .offset:         32
        .size:           8
        .value_kind:     global_buffer
      - .actual_access:  read_only
        .address_space:  global
        .offset:         40
        .size:           8
        .value_kind:     global_buffer
      - .actual_access:  read_only
        .address_space:  global
        .offset:         48
        .size:           8
        .value_kind:     global_buffer
      - .actual_access:  read_only
        .address_space:  global
        .offset:         56
        .size:           8
        .value_kind:     global_buffer
      - .address_space:  global
        .offset:         64
        .size:           8
        .value_kind:     global_buffer
      - .offset:         72
        .size:           4
        .value_kind:     by_value
      - .offset:         76
        .size:           1
        .value_kind:     by_value
      - .offset:         80
        .size:           4
        .value_kind:     hidden_block_count_x
      - .offset:         84
        .size:           4
        .value_kind:     hidden_block_count_y
      - .offset:         88
        .size:           4
        .value_kind:     hidden_block_count_z
      - .offset:         92
        .size:           2
        .value_kind:     hidden_group_size_x
      - .offset:         94
        .size:           2
        .value_kind:     hidden_group_size_y
      - .offset:         96
        .size:           2
        .value_kind:     hidden_group_size_z
      - .offset:         98
        .size:           2
        .value_kind:     hidden_remainder_x
      - .offset:         100
        .size:           2
        .value_kind:     hidden_remainder_y
      - .offset:         102
        .size:           2
        .value_kind:     hidden_remainder_z
      - .offset:         120
        .size:           8
        .value_kind:     hidden_global_offset_x
      - .offset:         128
        .size:           8
        .value_kind:     hidden_global_offset_y
      - .offset:         136
        .size:           8
        .value_kind:     hidden_global_offset_z
      - .offset:         144
        .size:           2
        .value_kind:     hidden_grid_dims
    .group_segment_fixed_size: 2048
    .kernarg_segment_align: 8
    .kernarg_segment_size: 336
    .language:       OpenCL C
    .language_version:
      - 2
      - 0
    .max_flat_workgroup_size: 256
    .name:           _ZN9rocsparseL21csrmvt_general_kernelILj256ELj8Eii21rocsparse_complex_numIdES2_S2_S2_EEvbbT2_NS_24const_host_device_scalarIT6_EEPKT1_S9_PKS3_PKT3_PKT4_PT5_21rocsparse_index_base_b
    .private_segment_fixed_size: 0
    .sgpr_count:     34
    .sgpr_spill_count: 0
    .symbol:         _ZN9rocsparseL21csrmvt_general_kernelILj256ELj8Eii21rocsparse_complex_numIdES2_S2_S2_EEvbbT2_NS_24const_host_device_scalarIT6_EEPKT1_S9_PKS3_PKT3_PKT4_PT5_21rocsparse_index_base_b.kd
    .uniform_work_group_size: 1
    .uses_dynamic_stack: false
    .vgpr_count:     30
    .vgpr_spill_count: 0
    .wavefront_size: 64
  - .agpr_count:     0
    .args:
      - .offset:         0
        .size:           1
        .value_kind:     by_value
      - .offset:         1
        .size:           1
        .value_kind:     by_value
      - .offset:         4
        .size:           4
        .value_kind:     by_value
      - .offset:         8
        .size:           16
        .value_kind:     by_value
      - .address_space:  global
        .offset:         24
        .size:           8
        .value_kind:     global_buffer
      - .address_space:  global
        .offset:         32
        .size:           8
        .value_kind:     global_buffer
      - .actual_access:  read_only
        .address_space:  global
        .offset:         40
        .size:           8
        .value_kind:     global_buffer
      - .actual_access:  read_only
        .address_space:  global
        .offset:         48
        .size:           8
        .value_kind:     global_buffer
      - .actual_access:  read_only
        .address_space:  global
        .offset:         56
        .size:           8
        .value_kind:     global_buffer
      - .address_space:  global
        .offset:         64
        .size:           8
        .value_kind:     global_buffer
      - .offset:         72
        .size:           4
        .value_kind:     by_value
      - .offset:         76
        .size:           1
        .value_kind:     by_value
      - .offset:         80
        .size:           4
        .value_kind:     hidden_block_count_x
      - .offset:         84
        .size:           4
        .value_kind:     hidden_block_count_y
      - .offset:         88
        .size:           4
        .value_kind:     hidden_block_count_z
      - .offset:         92
        .size:           2
        .value_kind:     hidden_group_size_x
      - .offset:         94
        .size:           2
        .value_kind:     hidden_group_size_y
      - .offset:         96
        .size:           2
        .value_kind:     hidden_group_size_z
      - .offset:         98
        .size:           2
        .value_kind:     hidden_remainder_x
      - .offset:         100
        .size:           2
        .value_kind:     hidden_remainder_y
      - .offset:         102
        .size:           2
        .value_kind:     hidden_remainder_z
      - .offset:         120
        .size:           8
        .value_kind:     hidden_global_offset_x
      - .offset:         128
        .size:           8
        .value_kind:     hidden_global_offset_y
      - .offset:         136
        .size:           8
        .value_kind:     hidden_global_offset_z
      - .offset:         144
        .size:           2
        .value_kind:     hidden_grid_dims
    .group_segment_fixed_size: 2048
    .kernarg_segment_align: 8
    .kernarg_segment_size: 336
    .language:       OpenCL C
    .language_version:
      - 2
      - 0
    .max_flat_workgroup_size: 256
    .name:           _ZN9rocsparseL21csrmvt_general_kernelILj256ELj16Eii21rocsparse_complex_numIdES2_S2_S2_EEvbbT2_NS_24const_host_device_scalarIT6_EEPKT1_S9_PKS3_PKT3_PKT4_PT5_21rocsparse_index_base_b
    .private_segment_fixed_size: 0
    .sgpr_count:     34
    .sgpr_spill_count: 0
    .symbol:         _ZN9rocsparseL21csrmvt_general_kernelILj256ELj16Eii21rocsparse_complex_numIdES2_S2_S2_EEvbbT2_NS_24const_host_device_scalarIT6_EEPKT1_S9_PKS3_PKT3_PKT4_PT5_21rocsparse_index_base_b.kd
    .uniform_work_group_size: 1
    .uses_dynamic_stack: false
    .vgpr_count:     30
    .vgpr_spill_count: 0
    .wavefront_size: 64
  - .agpr_count:     0
    .args:
      - .offset:         0
        .size:           1
        .value_kind:     by_value
      - .offset:         1
        .size:           1
        .value_kind:     by_value
      - .offset:         4
        .size:           4
        .value_kind:     by_value
      - .offset:         8
        .size:           16
        .value_kind:     by_value
      - .address_space:  global
        .offset:         24
        .size:           8
        .value_kind:     global_buffer
      - .address_space:  global
        .offset:         32
        .size:           8
        .value_kind:     global_buffer
      - .actual_access:  read_only
        .address_space:  global
        .offset:         40
        .size:           8
        .value_kind:     global_buffer
      - .actual_access:  read_only
        .address_space:  global
        .offset:         48
        .size:           8
        .value_kind:     global_buffer
      - .actual_access:  read_only
        .address_space:  global
        .offset:         56
        .size:           8
        .value_kind:     global_buffer
      - .address_space:  global
        .offset:         64
        .size:           8
        .value_kind:     global_buffer
      - .offset:         72
        .size:           4
        .value_kind:     by_value
      - .offset:         76
        .size:           1
        .value_kind:     by_value
      - .offset:         80
        .size:           4
        .value_kind:     hidden_block_count_x
      - .offset:         84
        .size:           4
        .value_kind:     hidden_block_count_y
      - .offset:         88
        .size:           4
        .value_kind:     hidden_block_count_z
      - .offset:         92
        .size:           2
        .value_kind:     hidden_group_size_x
      - .offset:         94
        .size:           2
        .value_kind:     hidden_group_size_y
      - .offset:         96
        .size:           2
        .value_kind:     hidden_group_size_z
      - .offset:         98
        .size:           2
        .value_kind:     hidden_remainder_x
      - .offset:         100
        .size:           2
        .value_kind:     hidden_remainder_y
      - .offset:         102
        .size:           2
        .value_kind:     hidden_remainder_z
      - .offset:         120
        .size:           8
        .value_kind:     hidden_global_offset_x
      - .offset:         128
        .size:           8
        .value_kind:     hidden_global_offset_y
      - .offset:         136
        .size:           8
        .value_kind:     hidden_global_offset_z
      - .offset:         144
        .size:           2
        .value_kind:     hidden_grid_dims
    .group_segment_fixed_size: 2048
    .kernarg_segment_align: 8
    .kernarg_segment_size: 336
    .language:       OpenCL C
    .language_version:
      - 2
      - 0
    .max_flat_workgroup_size: 256
    .name:           _ZN9rocsparseL21csrmvt_general_kernelILj256ELj32Eii21rocsparse_complex_numIdES2_S2_S2_EEvbbT2_NS_24const_host_device_scalarIT6_EEPKT1_S9_PKS3_PKT3_PKT4_PT5_21rocsparse_index_base_b
    .private_segment_fixed_size: 0
    .sgpr_count:     34
    .sgpr_spill_count: 0
    .symbol:         _ZN9rocsparseL21csrmvt_general_kernelILj256ELj32Eii21rocsparse_complex_numIdES2_S2_S2_EEvbbT2_NS_24const_host_device_scalarIT6_EEPKT1_S9_PKS3_PKT3_PKT4_PT5_21rocsparse_index_base_b.kd
    .uniform_work_group_size: 1
    .uses_dynamic_stack: false
    .vgpr_count:     30
    .vgpr_spill_count: 0
    .wavefront_size: 64
  - .agpr_count:     0
    .args:
      - .offset:         0
        .size:           1
        .value_kind:     by_value
      - .offset:         1
        .size:           1
        .value_kind:     by_value
      - .offset:         4
        .size:           4
        .value_kind:     by_value
      - .offset:         8
        .size:           16
        .value_kind:     by_value
      - .address_space:  global
        .offset:         24
        .size:           8
        .value_kind:     global_buffer
      - .address_space:  global
        .offset:         32
        .size:           8
        .value_kind:     global_buffer
      - .actual_access:  read_only
        .address_space:  global
        .offset:         40
        .size:           8
        .value_kind:     global_buffer
      - .actual_access:  read_only
        .address_space:  global
        .offset:         48
        .size:           8
        .value_kind:     global_buffer
      - .actual_access:  read_only
        .address_space:  global
        .offset:         56
        .size:           8
        .value_kind:     global_buffer
      - .address_space:  global
        .offset:         64
        .size:           8
        .value_kind:     global_buffer
      - .offset:         72
        .size:           4
        .value_kind:     by_value
      - .offset:         76
        .size:           1
        .value_kind:     by_value
      - .offset:         80
        .size:           4
        .value_kind:     hidden_block_count_x
      - .offset:         84
        .size:           4
        .value_kind:     hidden_block_count_y
      - .offset:         88
        .size:           4
        .value_kind:     hidden_block_count_z
      - .offset:         92
        .size:           2
        .value_kind:     hidden_group_size_x
      - .offset:         94
        .size:           2
        .value_kind:     hidden_group_size_y
      - .offset:         96
        .size:           2
        .value_kind:     hidden_group_size_z
      - .offset:         98
        .size:           2
        .value_kind:     hidden_remainder_x
      - .offset:         100
        .size:           2
        .value_kind:     hidden_remainder_y
      - .offset:         102
        .size:           2
        .value_kind:     hidden_remainder_z
      - .offset:         120
        .size:           8
        .value_kind:     hidden_global_offset_x
      - .offset:         128
        .size:           8
        .value_kind:     hidden_global_offset_y
      - .offset:         136
        .size:           8
        .value_kind:     hidden_global_offset_z
      - .offset:         144
        .size:           2
        .value_kind:     hidden_grid_dims
    .group_segment_fixed_size: 2048
    .kernarg_segment_align: 8
    .kernarg_segment_size: 336
    .language:       OpenCL C
    .language_version:
      - 2
      - 0
    .max_flat_workgroup_size: 256
    .name:           _ZN9rocsparseL21csrmvt_general_kernelILj256ELj64Eii21rocsparse_complex_numIdES2_S2_S2_EEvbbT2_NS_24const_host_device_scalarIT6_EEPKT1_S9_PKS3_PKT3_PKT4_PT5_21rocsparse_index_base_b
    .private_segment_fixed_size: 0
    .sgpr_count:     34
    .sgpr_spill_count: 0
    .symbol:         _ZN9rocsparseL21csrmvt_general_kernelILj256ELj64Eii21rocsparse_complex_numIdES2_S2_S2_EEvbbT2_NS_24const_host_device_scalarIT6_EEPKT1_S9_PKS3_PKT3_PKT4_PT5_21rocsparse_index_base_b.kd
    .uniform_work_group_size: 1
    .uses_dynamic_stack: false
    .vgpr_count:     30
    .vgpr_spill_count: 0
    .wavefront_size: 64
  - .agpr_count:     0
    .args:
      - .offset:         0
        .size:           1
        .value_kind:     by_value
      - .offset:         4
        .size:           4
        .value_kind:     by_value
      - .offset:         8
        .size:           16
        .value_kind:     by_value
      - .address_space:  global
        .offset:         24
        .size:           8
        .value_kind:     global_buffer
      - .address_space:  global
        .offset:         32
        .size:           8
        .value_kind:     global_buffer
      - .actual_access:  read_only
        .address_space:  global
        .offset:         40
        .size:           8
        .value_kind:     global_buffer
      - .actual_access:  read_only
        .address_space:  global
        .offset:         48
        .size:           8
        .value_kind:     global_buffer
      - .actual_access:  read_only
        .address_space:  global
        .offset:         56
        .size:           8
        .value_kind:     global_buffer
      - .offset:         64
        .size:           16
        .value_kind:     by_value
      - .address_space:  global
        .offset:         80
        .size:           8
        .value_kind:     global_buffer
      - .offset:         88
        .size:           4
        .value_kind:     by_value
      - .offset:         92
        .size:           1
        .value_kind:     by_value
      - .offset:         96
        .size:           4
        .value_kind:     hidden_block_count_x
      - .offset:         100
        .size:           4
        .value_kind:     hidden_block_count_y
      - .offset:         104
        .size:           4
        .value_kind:     hidden_block_count_z
      - .offset:         108
        .size:           2
        .value_kind:     hidden_group_size_x
      - .offset:         110
        .size:           2
        .value_kind:     hidden_group_size_y
      - .offset:         112
        .size:           2
        .value_kind:     hidden_group_size_z
      - .offset:         114
        .size:           2
        .value_kind:     hidden_remainder_x
      - .offset:         116
        .size:           2
        .value_kind:     hidden_remainder_y
      - .offset:         118
        .size:           2
        .value_kind:     hidden_remainder_z
      - .offset:         136
        .size:           8
        .value_kind:     hidden_global_offset_x
      - .offset:         144
        .size:           8
        .value_kind:     hidden_global_offset_y
      - .offset:         152
        .size:           8
        .value_kind:     hidden_global_offset_z
      - .offset:         160
        .size:           2
        .value_kind:     hidden_grid_dims
    .group_segment_fixed_size: 4096
    .kernarg_segment_align: 8
    .kernarg_segment_size: 352
    .language:       OpenCL C
    .language_version:
      - 2
      - 0
    .max_flat_workgroup_size: 256
    .name:           _ZN9rocsparseL21csrmvn_general_kernelILj256ELj2Eli21rocsparse_complex_numIdES2_S2_S2_EEvbT2_NS_24const_host_device_scalarIT6_EEPKT1_S9_PKS3_PKT3_PKT4_S6_PT5_21rocsparse_index_base_b
    .private_segment_fixed_size: 0
    .sgpr_count:     30
    .sgpr_spill_count: 0
    .symbol:         _ZN9rocsparseL21csrmvn_general_kernelILj256ELj2Eli21rocsparse_complex_numIdES2_S2_S2_EEvbT2_NS_24const_host_device_scalarIT6_EEPKT1_S9_PKS3_PKT3_PKT4_S6_PT5_21rocsparse_index_base_b.kd
    .uniform_work_group_size: 1
    .uses_dynamic_stack: false
    .vgpr_count:     38
    .vgpr_spill_count: 0
    .wavefront_size: 64
  - .agpr_count:     0
    .args:
      - .offset:         0
        .size:           1
        .value_kind:     by_value
      - .offset:         4
        .size:           4
        .value_kind:     by_value
      - .offset:         8
        .size:           16
        .value_kind:     by_value
      - .address_space:  global
        .offset:         24
        .size:           8
        .value_kind:     global_buffer
      - .address_space:  global
        .offset:         32
        .size:           8
        .value_kind:     global_buffer
      - .actual_access:  read_only
        .address_space:  global
        .offset:         40
        .size:           8
        .value_kind:     global_buffer
      - .actual_access:  read_only
        .address_space:  global
        .offset:         48
        .size:           8
        .value_kind:     global_buffer
      - .actual_access:  read_only
        .address_space:  global
        .offset:         56
        .size:           8
        .value_kind:     global_buffer
      - .offset:         64
        .size:           16
        .value_kind:     by_value
      - .address_space:  global
        .offset:         80
        .size:           8
        .value_kind:     global_buffer
      - .offset:         88
        .size:           4
        .value_kind:     by_value
      - .offset:         92
        .size:           1
        .value_kind:     by_value
      - .offset:         96
        .size:           4
        .value_kind:     hidden_block_count_x
      - .offset:         100
        .size:           4
        .value_kind:     hidden_block_count_y
      - .offset:         104
        .size:           4
        .value_kind:     hidden_block_count_z
      - .offset:         108
        .size:           2
        .value_kind:     hidden_group_size_x
      - .offset:         110
        .size:           2
        .value_kind:     hidden_group_size_y
      - .offset:         112
        .size:           2
        .value_kind:     hidden_group_size_z
      - .offset:         114
        .size:           2
        .value_kind:     hidden_remainder_x
      - .offset:         116
        .size:           2
        .value_kind:     hidden_remainder_y
      - .offset:         118
        .size:           2
        .value_kind:     hidden_remainder_z
      - .offset:         136
        .size:           8
        .value_kind:     hidden_global_offset_x
      - .offset:         144
        .size:           8
        .value_kind:     hidden_global_offset_y
      - .offset:         152
        .size:           8
        .value_kind:     hidden_global_offset_z
      - .offset:         160
        .size:           2
        .value_kind:     hidden_grid_dims
    .group_segment_fixed_size: 4096
    .kernarg_segment_align: 8
    .kernarg_segment_size: 352
    .language:       OpenCL C
    .language_version:
      - 2
      - 0
    .max_flat_workgroup_size: 256
    .name:           _ZN9rocsparseL21csrmvn_general_kernelILj256ELj4Eli21rocsparse_complex_numIdES2_S2_S2_EEvbT2_NS_24const_host_device_scalarIT6_EEPKT1_S9_PKS3_PKT3_PKT4_S6_PT5_21rocsparse_index_base_b
    .private_segment_fixed_size: 0
    .sgpr_count:     30
    .sgpr_spill_count: 0
    .symbol:         _ZN9rocsparseL21csrmvn_general_kernelILj256ELj4Eli21rocsparse_complex_numIdES2_S2_S2_EEvbT2_NS_24const_host_device_scalarIT6_EEPKT1_S9_PKS3_PKT3_PKT4_S6_PT5_21rocsparse_index_base_b.kd
    .uniform_work_group_size: 1
    .uses_dynamic_stack: false
    .vgpr_count:     38
    .vgpr_spill_count: 0
    .wavefront_size: 64
  - .agpr_count:     0
    .args:
      - .offset:         0
        .size:           1
        .value_kind:     by_value
      - .offset:         4
        .size:           4
        .value_kind:     by_value
      - .offset:         8
        .size:           16
        .value_kind:     by_value
      - .address_space:  global
        .offset:         24
        .size:           8
        .value_kind:     global_buffer
      - .address_space:  global
        .offset:         32
        .size:           8
        .value_kind:     global_buffer
      - .actual_access:  read_only
        .address_space:  global
        .offset:         40
        .size:           8
        .value_kind:     global_buffer
      - .actual_access:  read_only
        .address_space:  global
        .offset:         48
        .size:           8
        .value_kind:     global_buffer
      - .actual_access:  read_only
        .address_space:  global
        .offset:         56
        .size:           8
        .value_kind:     global_buffer
      - .offset:         64
        .size:           16
        .value_kind:     by_value
      - .address_space:  global
        .offset:         80
        .size:           8
        .value_kind:     global_buffer
      - .offset:         88
        .size:           4
        .value_kind:     by_value
      - .offset:         92
        .size:           1
        .value_kind:     by_value
      - .offset:         96
        .size:           4
        .value_kind:     hidden_block_count_x
      - .offset:         100
        .size:           4
        .value_kind:     hidden_block_count_y
      - .offset:         104
        .size:           4
        .value_kind:     hidden_block_count_z
      - .offset:         108
        .size:           2
        .value_kind:     hidden_group_size_x
      - .offset:         110
        .size:           2
        .value_kind:     hidden_group_size_y
      - .offset:         112
        .size:           2
        .value_kind:     hidden_group_size_z
      - .offset:         114
        .size:           2
        .value_kind:     hidden_remainder_x
      - .offset:         116
        .size:           2
        .value_kind:     hidden_remainder_y
      - .offset:         118
        .size:           2
        .value_kind:     hidden_remainder_z
      - .offset:         136
        .size:           8
        .value_kind:     hidden_global_offset_x
      - .offset:         144
        .size:           8
        .value_kind:     hidden_global_offset_y
      - .offset:         152
        .size:           8
        .value_kind:     hidden_global_offset_z
      - .offset:         160
        .size:           2
        .value_kind:     hidden_grid_dims
    .group_segment_fixed_size: 4096
    .kernarg_segment_align: 8
    .kernarg_segment_size: 352
    .language:       OpenCL C
    .language_version:
      - 2
      - 0
    .max_flat_workgroup_size: 256
    .name:           _ZN9rocsparseL21csrmvn_general_kernelILj256ELj8Eli21rocsparse_complex_numIdES2_S2_S2_EEvbT2_NS_24const_host_device_scalarIT6_EEPKT1_S9_PKS3_PKT3_PKT4_S6_PT5_21rocsparse_index_base_b
    .private_segment_fixed_size: 0
    .sgpr_count:     32
    .sgpr_spill_count: 0
    .symbol:         _ZN9rocsparseL21csrmvn_general_kernelILj256ELj8Eli21rocsparse_complex_numIdES2_S2_S2_EEvbT2_NS_24const_host_device_scalarIT6_EEPKT1_S9_PKS3_PKT3_PKT4_S6_PT5_21rocsparse_index_base_b.kd
    .uniform_work_group_size: 1
    .uses_dynamic_stack: false
    .vgpr_count:     38
    .vgpr_spill_count: 0
    .wavefront_size: 64
  - .agpr_count:     0
    .args:
      - .offset:         0
        .size:           1
        .value_kind:     by_value
      - .offset:         4
        .size:           4
        .value_kind:     by_value
      - .offset:         8
        .size:           16
        .value_kind:     by_value
      - .address_space:  global
        .offset:         24
        .size:           8
        .value_kind:     global_buffer
      - .address_space:  global
        .offset:         32
        .size:           8
        .value_kind:     global_buffer
      - .actual_access:  read_only
        .address_space:  global
        .offset:         40
        .size:           8
        .value_kind:     global_buffer
      - .actual_access:  read_only
        .address_space:  global
        .offset:         48
        .size:           8
        .value_kind:     global_buffer
      - .actual_access:  read_only
        .address_space:  global
        .offset:         56
        .size:           8
        .value_kind:     global_buffer
      - .offset:         64
        .size:           16
        .value_kind:     by_value
      - .address_space:  global
        .offset:         80
        .size:           8
        .value_kind:     global_buffer
      - .offset:         88
        .size:           4
        .value_kind:     by_value
      - .offset:         92
        .size:           1
        .value_kind:     by_value
      - .offset:         96
        .size:           4
        .value_kind:     hidden_block_count_x
      - .offset:         100
        .size:           4
        .value_kind:     hidden_block_count_y
      - .offset:         104
        .size:           4
        .value_kind:     hidden_block_count_z
      - .offset:         108
        .size:           2
        .value_kind:     hidden_group_size_x
      - .offset:         110
        .size:           2
        .value_kind:     hidden_group_size_y
      - .offset:         112
        .size:           2
        .value_kind:     hidden_group_size_z
      - .offset:         114
        .size:           2
        .value_kind:     hidden_remainder_x
      - .offset:         116
        .size:           2
        .value_kind:     hidden_remainder_y
      - .offset:         118
        .size:           2
        .value_kind:     hidden_remainder_z
      - .offset:         136
        .size:           8
        .value_kind:     hidden_global_offset_x
      - .offset:         144
        .size:           8
        .value_kind:     hidden_global_offset_y
      - .offset:         152
        .size:           8
        .value_kind:     hidden_global_offset_z
      - .offset:         160
        .size:           2
        .value_kind:     hidden_grid_dims
    .group_segment_fixed_size: 4096
    .kernarg_segment_align: 8
    .kernarg_segment_size: 352
    .language:       OpenCL C
    .language_version:
      - 2
      - 0
    .max_flat_workgroup_size: 256
    .name:           _ZN9rocsparseL21csrmvn_general_kernelILj256ELj16Eli21rocsparse_complex_numIdES2_S2_S2_EEvbT2_NS_24const_host_device_scalarIT6_EEPKT1_S9_PKS3_PKT3_PKT4_S6_PT5_21rocsparse_index_base_b
    .private_segment_fixed_size: 0
    .sgpr_count:     32
    .sgpr_spill_count: 0
    .symbol:         _ZN9rocsparseL21csrmvn_general_kernelILj256ELj16Eli21rocsparse_complex_numIdES2_S2_S2_EEvbT2_NS_24const_host_device_scalarIT6_EEPKT1_S9_PKS3_PKT3_PKT4_S6_PT5_21rocsparse_index_base_b.kd
    .uniform_work_group_size: 1
    .uses_dynamic_stack: false
    .vgpr_count:     38
    .vgpr_spill_count: 0
    .wavefront_size: 64
  - .agpr_count:     0
    .args:
      - .offset:         0
        .size:           1
        .value_kind:     by_value
      - .offset:         4
        .size:           4
        .value_kind:     by_value
      - .offset:         8
        .size:           16
        .value_kind:     by_value
      - .address_space:  global
        .offset:         24
        .size:           8
        .value_kind:     global_buffer
      - .address_space:  global
        .offset:         32
        .size:           8
        .value_kind:     global_buffer
      - .actual_access:  read_only
        .address_space:  global
        .offset:         40
        .size:           8
        .value_kind:     global_buffer
      - .actual_access:  read_only
        .address_space:  global
        .offset:         48
        .size:           8
        .value_kind:     global_buffer
      - .actual_access:  read_only
        .address_space:  global
        .offset:         56
        .size:           8
        .value_kind:     global_buffer
      - .offset:         64
        .size:           16
        .value_kind:     by_value
      - .address_space:  global
        .offset:         80
        .size:           8
        .value_kind:     global_buffer
      - .offset:         88
        .size:           4
        .value_kind:     by_value
      - .offset:         92
        .size:           1
        .value_kind:     by_value
      - .offset:         96
        .size:           4
        .value_kind:     hidden_block_count_x
      - .offset:         100
        .size:           4
        .value_kind:     hidden_block_count_y
      - .offset:         104
        .size:           4
        .value_kind:     hidden_block_count_z
      - .offset:         108
        .size:           2
        .value_kind:     hidden_group_size_x
      - .offset:         110
        .size:           2
        .value_kind:     hidden_group_size_y
      - .offset:         112
        .size:           2
        .value_kind:     hidden_group_size_z
      - .offset:         114
        .size:           2
        .value_kind:     hidden_remainder_x
      - .offset:         116
        .size:           2
        .value_kind:     hidden_remainder_y
      - .offset:         118
        .size:           2
        .value_kind:     hidden_remainder_z
      - .offset:         136
        .size:           8
        .value_kind:     hidden_global_offset_x
      - .offset:         144
        .size:           8
        .value_kind:     hidden_global_offset_y
      - .offset:         152
        .size:           8
        .value_kind:     hidden_global_offset_z
      - .offset:         160
        .size:           2
        .value_kind:     hidden_grid_dims
    .group_segment_fixed_size: 4096
    .kernarg_segment_align: 8
    .kernarg_segment_size: 352
    .language:       OpenCL C
    .language_version:
      - 2
      - 0
    .max_flat_workgroup_size: 256
    .name:           _ZN9rocsparseL21csrmvn_general_kernelILj256ELj32Eli21rocsparse_complex_numIdES2_S2_S2_EEvbT2_NS_24const_host_device_scalarIT6_EEPKT1_S9_PKS3_PKT3_PKT4_S6_PT5_21rocsparse_index_base_b
    .private_segment_fixed_size: 0
    .sgpr_count:     32
    .sgpr_spill_count: 0
    .symbol:         _ZN9rocsparseL21csrmvn_general_kernelILj256ELj32Eli21rocsparse_complex_numIdES2_S2_S2_EEvbT2_NS_24const_host_device_scalarIT6_EEPKT1_S9_PKS3_PKT3_PKT4_S6_PT5_21rocsparse_index_base_b.kd
    .uniform_work_group_size: 1
    .uses_dynamic_stack: false
    .vgpr_count:     38
    .vgpr_spill_count: 0
    .wavefront_size: 64
  - .agpr_count:     0
    .args:
      - .offset:         0
        .size:           1
        .value_kind:     by_value
      - .offset:         4
        .size:           4
        .value_kind:     by_value
      - .offset:         8
        .size:           16
        .value_kind:     by_value
      - .address_space:  global
        .offset:         24
        .size:           8
        .value_kind:     global_buffer
      - .address_space:  global
        .offset:         32
        .size:           8
        .value_kind:     global_buffer
      - .actual_access:  read_only
        .address_space:  global
        .offset:         40
        .size:           8
        .value_kind:     global_buffer
      - .actual_access:  read_only
        .address_space:  global
        .offset:         48
        .size:           8
        .value_kind:     global_buffer
      - .actual_access:  read_only
        .address_space:  global
        .offset:         56
        .size:           8
        .value_kind:     global_buffer
      - .offset:         64
        .size:           16
        .value_kind:     by_value
      - .address_space:  global
        .offset:         80
        .size:           8
        .value_kind:     global_buffer
      - .offset:         88
        .size:           4
        .value_kind:     by_value
      - .offset:         92
        .size:           1
        .value_kind:     by_value
      - .offset:         96
        .size:           4
        .value_kind:     hidden_block_count_x
      - .offset:         100
        .size:           4
        .value_kind:     hidden_block_count_y
      - .offset:         104
        .size:           4
        .value_kind:     hidden_block_count_z
      - .offset:         108
        .size:           2
        .value_kind:     hidden_group_size_x
      - .offset:         110
        .size:           2
        .value_kind:     hidden_group_size_y
      - .offset:         112
        .size:           2
        .value_kind:     hidden_group_size_z
      - .offset:         114
        .size:           2
        .value_kind:     hidden_remainder_x
      - .offset:         116
        .size:           2
        .value_kind:     hidden_remainder_y
      - .offset:         118
        .size:           2
        .value_kind:     hidden_remainder_z
      - .offset:         136
        .size:           8
        .value_kind:     hidden_global_offset_x
      - .offset:         144
        .size:           8
        .value_kind:     hidden_global_offset_y
      - .offset:         152
        .size:           8
        .value_kind:     hidden_global_offset_z
      - .offset:         160
        .size:           2
        .value_kind:     hidden_grid_dims
    .group_segment_fixed_size: 4096
    .kernarg_segment_align: 8
    .kernarg_segment_size: 352
    .language:       OpenCL C
    .language_version:
      - 2
      - 0
    .max_flat_workgroup_size: 256
    .name:           _ZN9rocsparseL21csrmvn_general_kernelILj256ELj64Eli21rocsparse_complex_numIdES2_S2_S2_EEvbT2_NS_24const_host_device_scalarIT6_EEPKT1_S9_PKS3_PKT3_PKT4_S6_PT5_21rocsparse_index_base_b
    .private_segment_fixed_size: 0
    .sgpr_count:     32
    .sgpr_spill_count: 0
    .symbol:         _ZN9rocsparseL21csrmvn_general_kernelILj256ELj64Eli21rocsparse_complex_numIdES2_S2_S2_EEvbT2_NS_24const_host_device_scalarIT6_EEPKT1_S9_PKS3_PKT3_PKT4_S6_PT5_21rocsparse_index_base_b.kd
    .uniform_work_group_size: 1
    .uses_dynamic_stack: false
    .vgpr_count:     38
    .vgpr_spill_count: 0
    .wavefront_size: 64
  - .agpr_count:     0
    .args:
      - .offset:         0
        .size:           1
        .value_kind:     by_value
      - .offset:         1
        .size:           1
        .value_kind:     by_value
      - .offset:         4
        .size:           4
        .value_kind:     by_value
      - .offset:         8
        .size:           16
        .value_kind:     by_value
      - .address_space:  global
        .offset:         24
        .size:           8
        .value_kind:     global_buffer
      - .address_space:  global
        .offset:         32
        .size:           8
        .value_kind:     global_buffer
      - .actual_access:  read_only
        .address_space:  global
        .offset:         40
        .size:           8
        .value_kind:     global_buffer
      - .actual_access:  read_only
        .address_space:  global
        .offset:         48
        .size:           8
        .value_kind:     global_buffer
      - .actual_access:  read_only
        .address_space:  global
        .offset:         56
        .size:           8
        .value_kind:     global_buffer
      - .address_space:  global
        .offset:         64
        .size:           8
        .value_kind:     global_buffer
      - .offset:         72
        .size:           4
        .value_kind:     by_value
      - .offset:         76
        .size:           1
        .value_kind:     by_value
      - .offset:         80
        .size:           4
        .value_kind:     hidden_block_count_x
      - .offset:         84
        .size:           4
        .value_kind:     hidden_block_count_y
      - .offset:         88
        .size:           4
        .value_kind:     hidden_block_count_z
      - .offset:         92
        .size:           2
        .value_kind:     hidden_group_size_x
      - .offset:         94
        .size:           2
        .value_kind:     hidden_group_size_y
      - .offset:         96
        .size:           2
        .value_kind:     hidden_group_size_z
      - .offset:         98
        .size:           2
        .value_kind:     hidden_remainder_x
      - .offset:         100
        .size:           2
        .value_kind:     hidden_remainder_y
      - .offset:         102
        .size:           2
        .value_kind:     hidden_remainder_z
      - .offset:         120
        .size:           8
        .value_kind:     hidden_global_offset_x
      - .offset:         128
        .size:           8
        .value_kind:     hidden_global_offset_y
      - .offset:         136
        .size:           8
        .value_kind:     hidden_global_offset_z
      - .offset:         144
        .size:           2
        .value_kind:     hidden_grid_dims
    .group_segment_fixed_size: 2048
    .kernarg_segment_align: 8
    .kernarg_segment_size: 336
    .language:       OpenCL C
    .language_version:
      - 2
      - 0
    .max_flat_workgroup_size: 256
    .name:           _ZN9rocsparseL21csrmvt_general_kernelILj256ELj4Eli21rocsparse_complex_numIdES2_S2_S2_EEvbbT2_NS_24const_host_device_scalarIT6_EEPKT1_S9_PKS3_PKT3_PKT4_PT5_21rocsparse_index_base_b
    .private_segment_fixed_size: 0
    .sgpr_count:     34
    .sgpr_spill_count: 0
    .symbol:         _ZN9rocsparseL21csrmvt_general_kernelILj256ELj4Eli21rocsparse_complex_numIdES2_S2_S2_EEvbbT2_NS_24const_host_device_scalarIT6_EEPKT1_S9_PKS3_PKT3_PKT4_PT5_21rocsparse_index_base_b.kd
    .uniform_work_group_size: 1
    .uses_dynamic_stack: false
    .vgpr_count:     33
    .vgpr_spill_count: 0
    .wavefront_size: 64
  - .agpr_count:     0
    .args:
      - .offset:         0
        .size:           1
        .value_kind:     by_value
      - .offset:         1
        .size:           1
        .value_kind:     by_value
      - .offset:         4
        .size:           4
        .value_kind:     by_value
      - .offset:         8
        .size:           16
        .value_kind:     by_value
      - .address_space:  global
        .offset:         24
        .size:           8
        .value_kind:     global_buffer
      - .address_space:  global
        .offset:         32
        .size:           8
        .value_kind:     global_buffer
      - .actual_access:  read_only
        .address_space:  global
        .offset:         40
        .size:           8
        .value_kind:     global_buffer
      - .actual_access:  read_only
        .address_space:  global
        .offset:         48
        .size:           8
        .value_kind:     global_buffer
      - .actual_access:  read_only
        .address_space:  global
        .offset:         56
        .size:           8
        .value_kind:     global_buffer
      - .address_space:  global
        .offset:         64
        .size:           8
        .value_kind:     global_buffer
      - .offset:         72
        .size:           4
        .value_kind:     by_value
      - .offset:         76
        .size:           1
        .value_kind:     by_value
      - .offset:         80
        .size:           4
        .value_kind:     hidden_block_count_x
      - .offset:         84
        .size:           4
        .value_kind:     hidden_block_count_y
      - .offset:         88
        .size:           4
        .value_kind:     hidden_block_count_z
      - .offset:         92
        .size:           2
        .value_kind:     hidden_group_size_x
      - .offset:         94
        .size:           2
        .value_kind:     hidden_group_size_y
      - .offset:         96
        .size:           2
        .value_kind:     hidden_group_size_z
      - .offset:         98
        .size:           2
        .value_kind:     hidden_remainder_x
      - .offset:         100
        .size:           2
        .value_kind:     hidden_remainder_y
      - .offset:         102
        .size:           2
        .value_kind:     hidden_remainder_z
      - .offset:         120
        .size:           8
        .value_kind:     hidden_global_offset_x
      - .offset:         128
        .size:           8
        .value_kind:     hidden_global_offset_y
      - .offset:         136
        .size:           8
        .value_kind:     hidden_global_offset_z
      - .offset:         144
        .size:           2
        .value_kind:     hidden_grid_dims
    .group_segment_fixed_size: 2048
    .kernarg_segment_align: 8
    .kernarg_segment_size: 336
    .language:       OpenCL C
    .language_version:
      - 2
      - 0
    .max_flat_workgroup_size: 256
    .name:           _ZN9rocsparseL21csrmvt_general_kernelILj256ELj8Eli21rocsparse_complex_numIdES2_S2_S2_EEvbbT2_NS_24const_host_device_scalarIT6_EEPKT1_S9_PKS3_PKT3_PKT4_PT5_21rocsparse_index_base_b
    .private_segment_fixed_size: 0
    .sgpr_count:     34
    .sgpr_spill_count: 0
    .symbol:         _ZN9rocsparseL21csrmvt_general_kernelILj256ELj8Eli21rocsparse_complex_numIdES2_S2_S2_EEvbbT2_NS_24const_host_device_scalarIT6_EEPKT1_S9_PKS3_PKT3_PKT4_PT5_21rocsparse_index_base_b.kd
    .uniform_work_group_size: 1
    .uses_dynamic_stack: false
    .vgpr_count:     33
    .vgpr_spill_count: 0
    .wavefront_size: 64
  - .agpr_count:     0
    .args:
      - .offset:         0
        .size:           1
        .value_kind:     by_value
      - .offset:         1
        .size:           1
        .value_kind:     by_value
      - .offset:         4
        .size:           4
        .value_kind:     by_value
      - .offset:         8
        .size:           16
        .value_kind:     by_value
      - .address_space:  global
        .offset:         24
        .size:           8
        .value_kind:     global_buffer
      - .address_space:  global
        .offset:         32
        .size:           8
        .value_kind:     global_buffer
      - .actual_access:  read_only
        .address_space:  global
        .offset:         40
        .size:           8
        .value_kind:     global_buffer
      - .actual_access:  read_only
        .address_space:  global
        .offset:         48
        .size:           8
        .value_kind:     global_buffer
      - .actual_access:  read_only
        .address_space:  global
        .offset:         56
        .size:           8
        .value_kind:     global_buffer
      - .address_space:  global
        .offset:         64
        .size:           8
        .value_kind:     global_buffer
      - .offset:         72
        .size:           4
        .value_kind:     by_value
      - .offset:         76
        .size:           1
        .value_kind:     by_value
      - .offset:         80
        .size:           4
        .value_kind:     hidden_block_count_x
      - .offset:         84
        .size:           4
        .value_kind:     hidden_block_count_y
      - .offset:         88
        .size:           4
        .value_kind:     hidden_block_count_z
      - .offset:         92
        .size:           2
        .value_kind:     hidden_group_size_x
      - .offset:         94
        .size:           2
        .value_kind:     hidden_group_size_y
      - .offset:         96
        .size:           2
        .value_kind:     hidden_group_size_z
      - .offset:         98
        .size:           2
        .value_kind:     hidden_remainder_x
      - .offset:         100
        .size:           2
        .value_kind:     hidden_remainder_y
      - .offset:         102
        .size:           2
        .value_kind:     hidden_remainder_z
      - .offset:         120
        .size:           8
        .value_kind:     hidden_global_offset_x
      - .offset:         128
        .size:           8
        .value_kind:     hidden_global_offset_y
      - .offset:         136
        .size:           8
        .value_kind:     hidden_global_offset_z
      - .offset:         144
        .size:           2
        .value_kind:     hidden_grid_dims
    .group_segment_fixed_size: 2048
    .kernarg_segment_align: 8
    .kernarg_segment_size: 336
    .language:       OpenCL C
    .language_version:
      - 2
      - 0
    .max_flat_workgroup_size: 256
    .name:           _ZN9rocsparseL21csrmvt_general_kernelILj256ELj16Eli21rocsparse_complex_numIdES2_S2_S2_EEvbbT2_NS_24const_host_device_scalarIT6_EEPKT1_S9_PKS3_PKT3_PKT4_PT5_21rocsparse_index_base_b
    .private_segment_fixed_size: 0
    .sgpr_count:     34
    .sgpr_spill_count: 0
    .symbol:         _ZN9rocsparseL21csrmvt_general_kernelILj256ELj16Eli21rocsparse_complex_numIdES2_S2_S2_EEvbbT2_NS_24const_host_device_scalarIT6_EEPKT1_S9_PKS3_PKT3_PKT4_PT5_21rocsparse_index_base_b.kd
    .uniform_work_group_size: 1
    .uses_dynamic_stack: false
    .vgpr_count:     33
    .vgpr_spill_count: 0
    .wavefront_size: 64
  - .agpr_count:     0
    .args:
      - .offset:         0
        .size:           1
        .value_kind:     by_value
      - .offset:         1
        .size:           1
        .value_kind:     by_value
      - .offset:         4
        .size:           4
        .value_kind:     by_value
      - .offset:         8
        .size:           16
        .value_kind:     by_value
      - .address_space:  global
        .offset:         24
        .size:           8
        .value_kind:     global_buffer
      - .address_space:  global
        .offset:         32
        .size:           8
        .value_kind:     global_buffer
      - .actual_access:  read_only
        .address_space:  global
        .offset:         40
        .size:           8
        .value_kind:     global_buffer
      - .actual_access:  read_only
        .address_space:  global
        .offset:         48
        .size:           8
        .value_kind:     global_buffer
      - .actual_access:  read_only
        .address_space:  global
        .offset:         56
        .size:           8
        .value_kind:     global_buffer
      - .address_space:  global
        .offset:         64
        .size:           8
        .value_kind:     global_buffer
      - .offset:         72
        .size:           4
        .value_kind:     by_value
      - .offset:         76
        .size:           1
        .value_kind:     by_value
      - .offset:         80
        .size:           4
        .value_kind:     hidden_block_count_x
      - .offset:         84
        .size:           4
        .value_kind:     hidden_block_count_y
      - .offset:         88
        .size:           4
        .value_kind:     hidden_block_count_z
      - .offset:         92
        .size:           2
        .value_kind:     hidden_group_size_x
      - .offset:         94
        .size:           2
        .value_kind:     hidden_group_size_y
      - .offset:         96
        .size:           2
        .value_kind:     hidden_group_size_z
      - .offset:         98
        .size:           2
        .value_kind:     hidden_remainder_x
      - .offset:         100
        .size:           2
        .value_kind:     hidden_remainder_y
      - .offset:         102
        .size:           2
        .value_kind:     hidden_remainder_z
      - .offset:         120
        .size:           8
        .value_kind:     hidden_global_offset_x
      - .offset:         128
        .size:           8
        .value_kind:     hidden_global_offset_y
      - .offset:         136
        .size:           8
        .value_kind:     hidden_global_offset_z
      - .offset:         144
        .size:           2
        .value_kind:     hidden_grid_dims
    .group_segment_fixed_size: 2048
    .kernarg_segment_align: 8
    .kernarg_segment_size: 336
    .language:       OpenCL C
    .language_version:
      - 2
      - 0
    .max_flat_workgroup_size: 256
    .name:           _ZN9rocsparseL21csrmvt_general_kernelILj256ELj32Eli21rocsparse_complex_numIdES2_S2_S2_EEvbbT2_NS_24const_host_device_scalarIT6_EEPKT1_S9_PKS3_PKT3_PKT4_PT5_21rocsparse_index_base_b
    .private_segment_fixed_size: 0
    .sgpr_count:     34
    .sgpr_spill_count: 0
    .symbol:         _ZN9rocsparseL21csrmvt_general_kernelILj256ELj32Eli21rocsparse_complex_numIdES2_S2_S2_EEvbbT2_NS_24const_host_device_scalarIT6_EEPKT1_S9_PKS3_PKT3_PKT4_PT5_21rocsparse_index_base_b.kd
    .uniform_work_group_size: 1
    .uses_dynamic_stack: false
    .vgpr_count:     33
    .vgpr_spill_count: 0
    .wavefront_size: 64
  - .agpr_count:     0
    .args:
      - .offset:         0
        .size:           1
        .value_kind:     by_value
      - .offset:         1
        .size:           1
        .value_kind:     by_value
      - .offset:         4
        .size:           4
        .value_kind:     by_value
      - .offset:         8
        .size:           16
        .value_kind:     by_value
      - .address_space:  global
        .offset:         24
        .size:           8
        .value_kind:     global_buffer
      - .address_space:  global
        .offset:         32
        .size:           8
        .value_kind:     global_buffer
      - .actual_access:  read_only
        .address_space:  global
        .offset:         40
        .size:           8
        .value_kind:     global_buffer
      - .actual_access:  read_only
        .address_space:  global
        .offset:         48
        .size:           8
        .value_kind:     global_buffer
      - .actual_access:  read_only
        .address_space:  global
        .offset:         56
        .size:           8
        .value_kind:     global_buffer
      - .address_space:  global
        .offset:         64
        .size:           8
        .value_kind:     global_buffer
      - .offset:         72
        .size:           4
        .value_kind:     by_value
      - .offset:         76
        .size:           1
        .value_kind:     by_value
      - .offset:         80
        .size:           4
        .value_kind:     hidden_block_count_x
      - .offset:         84
        .size:           4
        .value_kind:     hidden_block_count_y
      - .offset:         88
        .size:           4
        .value_kind:     hidden_block_count_z
      - .offset:         92
        .size:           2
        .value_kind:     hidden_group_size_x
      - .offset:         94
        .size:           2
        .value_kind:     hidden_group_size_y
      - .offset:         96
        .size:           2
        .value_kind:     hidden_group_size_z
      - .offset:         98
        .size:           2
        .value_kind:     hidden_remainder_x
      - .offset:         100
        .size:           2
        .value_kind:     hidden_remainder_y
      - .offset:         102
        .size:           2
        .value_kind:     hidden_remainder_z
      - .offset:         120
        .size:           8
        .value_kind:     hidden_global_offset_x
      - .offset:         128
        .size:           8
        .value_kind:     hidden_global_offset_y
      - .offset:         136
        .size:           8
        .value_kind:     hidden_global_offset_z
      - .offset:         144
        .size:           2
        .value_kind:     hidden_grid_dims
    .group_segment_fixed_size: 2048
    .kernarg_segment_align: 8
    .kernarg_segment_size: 336
    .language:       OpenCL C
    .language_version:
      - 2
      - 0
    .max_flat_workgroup_size: 256
    .name:           _ZN9rocsparseL21csrmvt_general_kernelILj256ELj64Eli21rocsparse_complex_numIdES2_S2_S2_EEvbbT2_NS_24const_host_device_scalarIT6_EEPKT1_S9_PKS3_PKT3_PKT4_PT5_21rocsparse_index_base_b
    .private_segment_fixed_size: 0
    .sgpr_count:     34
    .sgpr_spill_count: 0
    .symbol:         _ZN9rocsparseL21csrmvt_general_kernelILj256ELj64Eli21rocsparse_complex_numIdES2_S2_S2_EEvbbT2_NS_24const_host_device_scalarIT6_EEPKT1_S9_PKS3_PKT3_PKT4_PT5_21rocsparse_index_base_b.kd
    .uniform_work_group_size: 1
    .uses_dynamic_stack: false
    .vgpr_count:     33
    .vgpr_spill_count: 0
    .wavefront_size: 64
  - .agpr_count:     0
    .args:
      - .offset:         0
        .size:           1
        .value_kind:     by_value
      - .offset:         8
        .size:           8
        .value_kind:     by_value
      - .offset:         16
        .size:           16
        .value_kind:     by_value
      - .address_space:  global
        .offset:         32
        .size:           8
        .value_kind:     global_buffer
      - .address_space:  global
        .offset:         40
        .size:           8
        .value_kind:     global_buffer
      - .actual_access:  read_only
        .address_space:  global
        .offset:         48
        .size:           8
        .value_kind:     global_buffer
      - .actual_access:  read_only
        .address_space:  global
        .offset:         56
        .size:           8
        .value_kind:     global_buffer
      - .actual_access:  read_only
        .address_space:  global
        .offset:         64
        .size:           8
        .value_kind:     global_buffer
      - .offset:         72
        .size:           16
        .value_kind:     by_value
      - .address_space:  global
        .offset:         88
        .size:           8
        .value_kind:     global_buffer
      - .offset:         96
        .size:           4
        .value_kind:     by_value
      - .offset:         100
        .size:           1
        .value_kind:     by_value
      - .offset:         104
        .size:           4
        .value_kind:     hidden_block_count_x
      - .offset:         108
        .size:           4
        .value_kind:     hidden_block_count_y
      - .offset:         112
        .size:           4
        .value_kind:     hidden_block_count_z
      - .offset:         116
        .size:           2
        .value_kind:     hidden_group_size_x
      - .offset:         118
        .size:           2
        .value_kind:     hidden_group_size_y
      - .offset:         120
        .size:           2
        .value_kind:     hidden_group_size_z
      - .offset:         122
        .size:           2
        .value_kind:     hidden_remainder_x
      - .offset:         124
        .size:           2
        .value_kind:     hidden_remainder_y
      - .offset:         126
        .size:           2
        .value_kind:     hidden_remainder_z
      - .offset:         144
        .size:           8
        .value_kind:     hidden_global_offset_x
      - .offset:         152
        .size:           8
        .value_kind:     hidden_global_offset_y
      - .offset:         160
        .size:           8
        .value_kind:     hidden_global_offset_z
      - .offset:         168
        .size:           2
        .value_kind:     hidden_grid_dims
    .group_segment_fixed_size: 4096
    .kernarg_segment_align: 8
    .kernarg_segment_size: 360
    .language:       OpenCL C
    .language_version:
      - 2
      - 0
    .max_flat_workgroup_size: 256
    .name:           _ZN9rocsparseL21csrmvn_general_kernelILj256ELj2Ell21rocsparse_complex_numIdES2_S2_S2_EEvbT2_NS_24const_host_device_scalarIT6_EEPKT1_S9_PKS3_PKT3_PKT4_S6_PT5_21rocsparse_index_base_b
    .private_segment_fixed_size: 0
    .sgpr_count:     32
    .sgpr_spill_count: 0
    .symbol:         _ZN9rocsparseL21csrmvn_general_kernelILj256ELj2Ell21rocsparse_complex_numIdES2_S2_S2_EEvbT2_NS_24const_host_device_scalarIT6_EEPKT1_S9_PKS3_PKT3_PKT4_S6_PT5_21rocsparse_index_base_b.kd
    .uniform_work_group_size: 1
    .uses_dynamic_stack: false
    .vgpr_count:     38
    .vgpr_spill_count: 0
    .wavefront_size: 64
  - .agpr_count:     0
    .args:
      - .offset:         0
        .size:           1
        .value_kind:     by_value
      - .offset:         8
        .size:           8
        .value_kind:     by_value
      - .offset:         16
        .size:           16
        .value_kind:     by_value
      - .address_space:  global
        .offset:         32
        .size:           8
        .value_kind:     global_buffer
      - .address_space:  global
        .offset:         40
        .size:           8
        .value_kind:     global_buffer
      - .actual_access:  read_only
        .address_space:  global
        .offset:         48
        .size:           8
        .value_kind:     global_buffer
      - .actual_access:  read_only
        .address_space:  global
        .offset:         56
        .size:           8
        .value_kind:     global_buffer
      - .actual_access:  read_only
        .address_space:  global
        .offset:         64
        .size:           8
        .value_kind:     global_buffer
      - .offset:         72
        .size:           16
        .value_kind:     by_value
      - .address_space:  global
        .offset:         88
        .size:           8
        .value_kind:     global_buffer
      - .offset:         96
        .size:           4
        .value_kind:     by_value
      - .offset:         100
        .size:           1
        .value_kind:     by_value
      - .offset:         104
        .size:           4
        .value_kind:     hidden_block_count_x
      - .offset:         108
        .size:           4
        .value_kind:     hidden_block_count_y
      - .offset:         112
        .size:           4
        .value_kind:     hidden_block_count_z
      - .offset:         116
        .size:           2
        .value_kind:     hidden_group_size_x
      - .offset:         118
        .size:           2
        .value_kind:     hidden_group_size_y
      - .offset:         120
        .size:           2
        .value_kind:     hidden_group_size_z
      - .offset:         122
        .size:           2
        .value_kind:     hidden_remainder_x
      - .offset:         124
        .size:           2
        .value_kind:     hidden_remainder_y
      - .offset:         126
        .size:           2
        .value_kind:     hidden_remainder_z
      - .offset:         144
        .size:           8
        .value_kind:     hidden_global_offset_x
      - .offset:         152
        .size:           8
        .value_kind:     hidden_global_offset_y
      - .offset:         160
        .size:           8
        .value_kind:     hidden_global_offset_z
      - .offset:         168
        .size:           2
        .value_kind:     hidden_grid_dims
    .group_segment_fixed_size: 4096
    .kernarg_segment_align: 8
    .kernarg_segment_size: 360
    .language:       OpenCL C
    .language_version:
      - 2
      - 0
    .max_flat_workgroup_size: 256
    .name:           _ZN9rocsparseL21csrmvn_general_kernelILj256ELj4Ell21rocsparse_complex_numIdES2_S2_S2_EEvbT2_NS_24const_host_device_scalarIT6_EEPKT1_S9_PKS3_PKT3_PKT4_S6_PT5_21rocsparse_index_base_b
    .private_segment_fixed_size: 0
    .sgpr_count:     32
    .sgpr_spill_count: 0
    .symbol:         _ZN9rocsparseL21csrmvn_general_kernelILj256ELj4Ell21rocsparse_complex_numIdES2_S2_S2_EEvbT2_NS_24const_host_device_scalarIT6_EEPKT1_S9_PKS3_PKT3_PKT4_S6_PT5_21rocsparse_index_base_b.kd
    .uniform_work_group_size: 1
    .uses_dynamic_stack: false
    .vgpr_count:     38
    .vgpr_spill_count: 0
    .wavefront_size: 64
  - .agpr_count:     0
    .args:
      - .offset:         0
        .size:           1
        .value_kind:     by_value
      - .offset:         8
        .size:           8
        .value_kind:     by_value
      - .offset:         16
        .size:           16
        .value_kind:     by_value
      - .address_space:  global
        .offset:         32
        .size:           8
        .value_kind:     global_buffer
      - .address_space:  global
        .offset:         40
        .size:           8
        .value_kind:     global_buffer
      - .actual_access:  read_only
        .address_space:  global
        .offset:         48
        .size:           8
        .value_kind:     global_buffer
      - .actual_access:  read_only
        .address_space:  global
        .offset:         56
        .size:           8
        .value_kind:     global_buffer
      - .actual_access:  read_only
        .address_space:  global
        .offset:         64
        .size:           8
        .value_kind:     global_buffer
      - .offset:         72
        .size:           16
        .value_kind:     by_value
      - .address_space:  global
        .offset:         88
        .size:           8
        .value_kind:     global_buffer
      - .offset:         96
        .size:           4
        .value_kind:     by_value
      - .offset:         100
        .size:           1
        .value_kind:     by_value
      - .offset:         104
        .size:           4
        .value_kind:     hidden_block_count_x
      - .offset:         108
        .size:           4
        .value_kind:     hidden_block_count_y
      - .offset:         112
        .size:           4
        .value_kind:     hidden_block_count_z
      - .offset:         116
        .size:           2
        .value_kind:     hidden_group_size_x
      - .offset:         118
        .size:           2
        .value_kind:     hidden_group_size_y
      - .offset:         120
        .size:           2
        .value_kind:     hidden_group_size_z
      - .offset:         122
        .size:           2
        .value_kind:     hidden_remainder_x
      - .offset:         124
        .size:           2
        .value_kind:     hidden_remainder_y
      - .offset:         126
        .size:           2
        .value_kind:     hidden_remainder_z
      - .offset:         144
        .size:           8
        .value_kind:     hidden_global_offset_x
      - .offset:         152
        .size:           8
        .value_kind:     hidden_global_offset_y
      - .offset:         160
        .size:           8
        .value_kind:     hidden_global_offset_z
      - .offset:         168
        .size:           2
        .value_kind:     hidden_grid_dims
    .group_segment_fixed_size: 4096
    .kernarg_segment_align: 8
    .kernarg_segment_size: 360
    .language:       OpenCL C
    .language_version:
      - 2
      - 0
    .max_flat_workgroup_size: 256
    .name:           _ZN9rocsparseL21csrmvn_general_kernelILj256ELj8Ell21rocsparse_complex_numIdES2_S2_S2_EEvbT2_NS_24const_host_device_scalarIT6_EEPKT1_S9_PKS3_PKT3_PKT4_S6_PT5_21rocsparse_index_base_b
    .private_segment_fixed_size: 0
    .sgpr_count:     34
    .sgpr_spill_count: 0
    .symbol:         _ZN9rocsparseL21csrmvn_general_kernelILj256ELj8Ell21rocsparse_complex_numIdES2_S2_S2_EEvbT2_NS_24const_host_device_scalarIT6_EEPKT1_S9_PKS3_PKT3_PKT4_S6_PT5_21rocsparse_index_base_b.kd
    .uniform_work_group_size: 1
    .uses_dynamic_stack: false
    .vgpr_count:     38
    .vgpr_spill_count: 0
    .wavefront_size: 64
  - .agpr_count:     0
    .args:
      - .offset:         0
        .size:           1
        .value_kind:     by_value
      - .offset:         8
        .size:           8
        .value_kind:     by_value
      - .offset:         16
        .size:           16
        .value_kind:     by_value
      - .address_space:  global
        .offset:         32
        .size:           8
        .value_kind:     global_buffer
      - .address_space:  global
        .offset:         40
        .size:           8
        .value_kind:     global_buffer
      - .actual_access:  read_only
        .address_space:  global
        .offset:         48
        .size:           8
        .value_kind:     global_buffer
      - .actual_access:  read_only
        .address_space:  global
        .offset:         56
        .size:           8
        .value_kind:     global_buffer
      - .actual_access:  read_only
        .address_space:  global
        .offset:         64
        .size:           8
        .value_kind:     global_buffer
      - .offset:         72
        .size:           16
        .value_kind:     by_value
      - .address_space:  global
        .offset:         88
        .size:           8
        .value_kind:     global_buffer
      - .offset:         96
        .size:           4
        .value_kind:     by_value
      - .offset:         100
        .size:           1
        .value_kind:     by_value
      - .offset:         104
        .size:           4
        .value_kind:     hidden_block_count_x
      - .offset:         108
        .size:           4
        .value_kind:     hidden_block_count_y
      - .offset:         112
        .size:           4
        .value_kind:     hidden_block_count_z
      - .offset:         116
        .size:           2
        .value_kind:     hidden_group_size_x
      - .offset:         118
        .size:           2
        .value_kind:     hidden_group_size_y
      - .offset:         120
        .size:           2
        .value_kind:     hidden_group_size_z
      - .offset:         122
        .size:           2
        .value_kind:     hidden_remainder_x
      - .offset:         124
        .size:           2
        .value_kind:     hidden_remainder_y
      - .offset:         126
        .size:           2
        .value_kind:     hidden_remainder_z
      - .offset:         144
        .size:           8
        .value_kind:     hidden_global_offset_x
      - .offset:         152
        .size:           8
        .value_kind:     hidden_global_offset_y
      - .offset:         160
        .size:           8
        .value_kind:     hidden_global_offset_z
      - .offset:         168
        .size:           2
        .value_kind:     hidden_grid_dims
    .group_segment_fixed_size: 4096
    .kernarg_segment_align: 8
    .kernarg_segment_size: 360
    .language:       OpenCL C
    .language_version:
      - 2
      - 0
    .max_flat_workgroup_size: 256
    .name:           _ZN9rocsparseL21csrmvn_general_kernelILj256ELj16Ell21rocsparse_complex_numIdES2_S2_S2_EEvbT2_NS_24const_host_device_scalarIT6_EEPKT1_S9_PKS3_PKT3_PKT4_S6_PT5_21rocsparse_index_base_b
    .private_segment_fixed_size: 0
    .sgpr_count:     34
    .sgpr_spill_count: 0
    .symbol:         _ZN9rocsparseL21csrmvn_general_kernelILj256ELj16Ell21rocsparse_complex_numIdES2_S2_S2_EEvbT2_NS_24const_host_device_scalarIT6_EEPKT1_S9_PKS3_PKT3_PKT4_S6_PT5_21rocsparse_index_base_b.kd
    .uniform_work_group_size: 1
    .uses_dynamic_stack: false
    .vgpr_count:     38
    .vgpr_spill_count: 0
    .wavefront_size: 64
  - .agpr_count:     0
    .args:
      - .offset:         0
        .size:           1
        .value_kind:     by_value
      - .offset:         8
        .size:           8
        .value_kind:     by_value
      - .offset:         16
        .size:           16
        .value_kind:     by_value
      - .address_space:  global
        .offset:         32
        .size:           8
        .value_kind:     global_buffer
      - .address_space:  global
        .offset:         40
        .size:           8
        .value_kind:     global_buffer
      - .actual_access:  read_only
        .address_space:  global
        .offset:         48
        .size:           8
        .value_kind:     global_buffer
      - .actual_access:  read_only
        .address_space:  global
        .offset:         56
        .size:           8
        .value_kind:     global_buffer
      - .actual_access:  read_only
        .address_space:  global
        .offset:         64
        .size:           8
        .value_kind:     global_buffer
      - .offset:         72
        .size:           16
        .value_kind:     by_value
      - .address_space:  global
        .offset:         88
        .size:           8
        .value_kind:     global_buffer
      - .offset:         96
        .size:           4
        .value_kind:     by_value
      - .offset:         100
        .size:           1
        .value_kind:     by_value
      - .offset:         104
        .size:           4
        .value_kind:     hidden_block_count_x
      - .offset:         108
        .size:           4
        .value_kind:     hidden_block_count_y
      - .offset:         112
        .size:           4
        .value_kind:     hidden_block_count_z
      - .offset:         116
        .size:           2
        .value_kind:     hidden_group_size_x
      - .offset:         118
        .size:           2
        .value_kind:     hidden_group_size_y
      - .offset:         120
        .size:           2
        .value_kind:     hidden_group_size_z
      - .offset:         122
        .size:           2
        .value_kind:     hidden_remainder_x
      - .offset:         124
        .size:           2
        .value_kind:     hidden_remainder_y
      - .offset:         126
        .size:           2
        .value_kind:     hidden_remainder_z
      - .offset:         144
        .size:           8
        .value_kind:     hidden_global_offset_x
      - .offset:         152
        .size:           8
        .value_kind:     hidden_global_offset_y
      - .offset:         160
        .size:           8
        .value_kind:     hidden_global_offset_z
      - .offset:         168
        .size:           2
        .value_kind:     hidden_grid_dims
    .group_segment_fixed_size: 4096
    .kernarg_segment_align: 8
    .kernarg_segment_size: 360
    .language:       OpenCL C
    .language_version:
      - 2
      - 0
    .max_flat_workgroup_size: 256
    .name:           _ZN9rocsparseL21csrmvn_general_kernelILj256ELj32Ell21rocsparse_complex_numIdES2_S2_S2_EEvbT2_NS_24const_host_device_scalarIT6_EEPKT1_S9_PKS3_PKT3_PKT4_S6_PT5_21rocsparse_index_base_b
    .private_segment_fixed_size: 0
    .sgpr_count:     34
    .sgpr_spill_count: 0
    .symbol:         _ZN9rocsparseL21csrmvn_general_kernelILj256ELj32Ell21rocsparse_complex_numIdES2_S2_S2_EEvbT2_NS_24const_host_device_scalarIT6_EEPKT1_S9_PKS3_PKT3_PKT4_S6_PT5_21rocsparse_index_base_b.kd
    .uniform_work_group_size: 1
    .uses_dynamic_stack: false
    .vgpr_count:     38
    .vgpr_spill_count: 0
    .wavefront_size: 64
  - .agpr_count:     0
    .args:
      - .offset:         0
        .size:           1
        .value_kind:     by_value
      - .offset:         8
        .size:           8
        .value_kind:     by_value
      - .offset:         16
        .size:           16
        .value_kind:     by_value
      - .address_space:  global
        .offset:         32
        .size:           8
        .value_kind:     global_buffer
      - .address_space:  global
        .offset:         40
        .size:           8
        .value_kind:     global_buffer
      - .actual_access:  read_only
        .address_space:  global
        .offset:         48
        .size:           8
        .value_kind:     global_buffer
      - .actual_access:  read_only
        .address_space:  global
        .offset:         56
        .size:           8
        .value_kind:     global_buffer
      - .actual_access:  read_only
        .address_space:  global
        .offset:         64
        .size:           8
        .value_kind:     global_buffer
      - .offset:         72
        .size:           16
        .value_kind:     by_value
      - .address_space:  global
        .offset:         88
        .size:           8
        .value_kind:     global_buffer
      - .offset:         96
        .size:           4
        .value_kind:     by_value
      - .offset:         100
        .size:           1
        .value_kind:     by_value
      - .offset:         104
        .size:           4
        .value_kind:     hidden_block_count_x
      - .offset:         108
        .size:           4
        .value_kind:     hidden_block_count_y
      - .offset:         112
        .size:           4
        .value_kind:     hidden_block_count_z
      - .offset:         116
        .size:           2
        .value_kind:     hidden_group_size_x
      - .offset:         118
        .size:           2
        .value_kind:     hidden_group_size_y
      - .offset:         120
        .size:           2
        .value_kind:     hidden_group_size_z
      - .offset:         122
        .size:           2
        .value_kind:     hidden_remainder_x
      - .offset:         124
        .size:           2
        .value_kind:     hidden_remainder_y
      - .offset:         126
        .size:           2
        .value_kind:     hidden_remainder_z
      - .offset:         144
        .size:           8
        .value_kind:     hidden_global_offset_x
      - .offset:         152
        .size:           8
        .value_kind:     hidden_global_offset_y
      - .offset:         160
        .size:           8
        .value_kind:     hidden_global_offset_z
      - .offset:         168
        .size:           2
        .value_kind:     hidden_grid_dims
    .group_segment_fixed_size: 4096
    .kernarg_segment_align: 8
    .kernarg_segment_size: 360
    .language:       OpenCL C
    .language_version:
      - 2
      - 0
    .max_flat_workgroup_size: 256
    .name:           _ZN9rocsparseL21csrmvn_general_kernelILj256ELj64Ell21rocsparse_complex_numIdES2_S2_S2_EEvbT2_NS_24const_host_device_scalarIT6_EEPKT1_S9_PKS3_PKT3_PKT4_S6_PT5_21rocsparse_index_base_b
    .private_segment_fixed_size: 0
    .sgpr_count:     34
    .sgpr_spill_count: 0
    .symbol:         _ZN9rocsparseL21csrmvn_general_kernelILj256ELj64Ell21rocsparse_complex_numIdES2_S2_S2_EEvbT2_NS_24const_host_device_scalarIT6_EEPKT1_S9_PKS3_PKT3_PKT4_S6_PT5_21rocsparse_index_base_b.kd
    .uniform_work_group_size: 1
    .uses_dynamic_stack: false
    .vgpr_count:     38
    .vgpr_spill_count: 0
    .wavefront_size: 64
  - .agpr_count:     0
    .args:
      - .offset:         0
        .size:           1
        .value_kind:     by_value
      - .offset:         1
        .size:           1
        .value_kind:     by_value
      - .offset:         8
        .size:           8
        .value_kind:     by_value
      - .offset:         16
        .size:           16
        .value_kind:     by_value
      - .address_space:  global
        .offset:         32
        .size:           8
        .value_kind:     global_buffer
      - .address_space:  global
        .offset:         40
        .size:           8
        .value_kind:     global_buffer
      - .actual_access:  read_only
        .address_space:  global
        .offset:         48
        .size:           8
        .value_kind:     global_buffer
      - .actual_access:  read_only
        .address_space:  global
        .offset:         56
        .size:           8
        .value_kind:     global_buffer
      - .actual_access:  read_only
        .address_space:  global
        .offset:         64
        .size:           8
        .value_kind:     global_buffer
      - .address_space:  global
        .offset:         72
        .size:           8
        .value_kind:     global_buffer
      - .offset:         80
        .size:           4
        .value_kind:     by_value
      - .offset:         84
        .size:           1
        .value_kind:     by_value
      - .offset:         88
        .size:           4
        .value_kind:     hidden_block_count_x
      - .offset:         92
        .size:           4
        .value_kind:     hidden_block_count_y
      - .offset:         96
        .size:           4
        .value_kind:     hidden_block_count_z
      - .offset:         100
        .size:           2
        .value_kind:     hidden_group_size_x
      - .offset:         102
        .size:           2
        .value_kind:     hidden_group_size_y
      - .offset:         104
        .size:           2
        .value_kind:     hidden_group_size_z
      - .offset:         106
        .size:           2
        .value_kind:     hidden_remainder_x
      - .offset:         108
        .size:           2
        .value_kind:     hidden_remainder_y
      - .offset:         110
        .size:           2
        .value_kind:     hidden_remainder_z
      - .offset:         128
        .size:           8
        .value_kind:     hidden_global_offset_x
      - .offset:         136
        .size:           8
        .value_kind:     hidden_global_offset_y
      - .offset:         144
        .size:           8
        .value_kind:     hidden_global_offset_z
      - .offset:         152
        .size:           2
        .value_kind:     hidden_grid_dims
    .group_segment_fixed_size: 2048
    .kernarg_segment_align: 8
    .kernarg_segment_size: 344
    .language:       OpenCL C
    .language_version:
      - 2
      - 0
    .max_flat_workgroup_size: 256
    .name:           _ZN9rocsparseL21csrmvt_general_kernelILj256ELj4Ell21rocsparse_complex_numIdES2_S2_S2_EEvbbT2_NS_24const_host_device_scalarIT6_EEPKT1_S9_PKS3_PKT3_PKT4_PT5_21rocsparse_index_base_b
    .private_segment_fixed_size: 0
    .sgpr_count:     34
    .sgpr_spill_count: 0
    .symbol:         _ZN9rocsparseL21csrmvt_general_kernelILj256ELj4Ell21rocsparse_complex_numIdES2_S2_S2_EEvbbT2_NS_24const_host_device_scalarIT6_EEPKT1_S9_PKS3_PKT3_PKT4_PT5_21rocsparse_index_base_b.kd
    .uniform_work_group_size: 1
    .uses_dynamic_stack: false
    .vgpr_count:     34
    .vgpr_spill_count: 0
    .wavefront_size: 64
  - .agpr_count:     0
    .args:
      - .offset:         0
        .size:           1
        .value_kind:     by_value
      - .offset:         1
        .size:           1
        .value_kind:     by_value
      - .offset:         8
        .size:           8
        .value_kind:     by_value
      - .offset:         16
        .size:           16
        .value_kind:     by_value
      - .address_space:  global
        .offset:         32
        .size:           8
        .value_kind:     global_buffer
      - .address_space:  global
        .offset:         40
        .size:           8
        .value_kind:     global_buffer
      - .actual_access:  read_only
        .address_space:  global
        .offset:         48
        .size:           8
        .value_kind:     global_buffer
      - .actual_access:  read_only
        .address_space:  global
        .offset:         56
        .size:           8
        .value_kind:     global_buffer
      - .actual_access:  read_only
        .address_space:  global
        .offset:         64
        .size:           8
        .value_kind:     global_buffer
      - .address_space:  global
        .offset:         72
        .size:           8
        .value_kind:     global_buffer
      - .offset:         80
        .size:           4
        .value_kind:     by_value
      - .offset:         84
        .size:           1
        .value_kind:     by_value
      - .offset:         88
        .size:           4
        .value_kind:     hidden_block_count_x
      - .offset:         92
        .size:           4
        .value_kind:     hidden_block_count_y
      - .offset:         96
        .size:           4
        .value_kind:     hidden_block_count_z
      - .offset:         100
        .size:           2
        .value_kind:     hidden_group_size_x
      - .offset:         102
        .size:           2
        .value_kind:     hidden_group_size_y
      - .offset:         104
        .size:           2
        .value_kind:     hidden_group_size_z
      - .offset:         106
        .size:           2
        .value_kind:     hidden_remainder_x
      - .offset:         108
        .size:           2
        .value_kind:     hidden_remainder_y
      - .offset:         110
        .size:           2
        .value_kind:     hidden_remainder_z
      - .offset:         128
        .size:           8
        .value_kind:     hidden_global_offset_x
      - .offset:         136
        .size:           8
        .value_kind:     hidden_global_offset_y
      - .offset:         144
        .size:           8
        .value_kind:     hidden_global_offset_z
      - .offset:         152
        .size:           2
        .value_kind:     hidden_grid_dims
    .group_segment_fixed_size: 2048
    .kernarg_segment_align: 8
    .kernarg_segment_size: 344
    .language:       OpenCL C
    .language_version:
      - 2
      - 0
    .max_flat_workgroup_size: 256
    .name:           _ZN9rocsparseL21csrmvt_general_kernelILj256ELj8Ell21rocsparse_complex_numIdES2_S2_S2_EEvbbT2_NS_24const_host_device_scalarIT6_EEPKT1_S9_PKS3_PKT3_PKT4_PT5_21rocsparse_index_base_b
    .private_segment_fixed_size: 0
    .sgpr_count:     34
    .sgpr_spill_count: 0
    .symbol:         _ZN9rocsparseL21csrmvt_general_kernelILj256ELj8Ell21rocsparse_complex_numIdES2_S2_S2_EEvbbT2_NS_24const_host_device_scalarIT6_EEPKT1_S9_PKS3_PKT3_PKT4_PT5_21rocsparse_index_base_b.kd
    .uniform_work_group_size: 1
    .uses_dynamic_stack: false
    .vgpr_count:     34
    .vgpr_spill_count: 0
    .wavefront_size: 64
  - .agpr_count:     0
    .args:
      - .offset:         0
        .size:           1
        .value_kind:     by_value
      - .offset:         1
        .size:           1
        .value_kind:     by_value
      - .offset:         8
        .size:           8
        .value_kind:     by_value
      - .offset:         16
        .size:           16
        .value_kind:     by_value
      - .address_space:  global
        .offset:         32
        .size:           8
        .value_kind:     global_buffer
      - .address_space:  global
        .offset:         40
        .size:           8
        .value_kind:     global_buffer
      - .actual_access:  read_only
        .address_space:  global
        .offset:         48
        .size:           8
        .value_kind:     global_buffer
      - .actual_access:  read_only
        .address_space:  global
        .offset:         56
        .size:           8
        .value_kind:     global_buffer
      - .actual_access:  read_only
        .address_space:  global
        .offset:         64
        .size:           8
        .value_kind:     global_buffer
      - .address_space:  global
        .offset:         72
        .size:           8
        .value_kind:     global_buffer
      - .offset:         80
        .size:           4
        .value_kind:     by_value
      - .offset:         84
        .size:           1
        .value_kind:     by_value
      - .offset:         88
        .size:           4
        .value_kind:     hidden_block_count_x
      - .offset:         92
        .size:           4
        .value_kind:     hidden_block_count_y
      - .offset:         96
        .size:           4
        .value_kind:     hidden_block_count_z
      - .offset:         100
        .size:           2
        .value_kind:     hidden_group_size_x
      - .offset:         102
        .size:           2
        .value_kind:     hidden_group_size_y
      - .offset:         104
        .size:           2
        .value_kind:     hidden_group_size_z
      - .offset:         106
        .size:           2
        .value_kind:     hidden_remainder_x
      - .offset:         108
        .size:           2
        .value_kind:     hidden_remainder_y
      - .offset:         110
        .size:           2
        .value_kind:     hidden_remainder_z
      - .offset:         128
        .size:           8
        .value_kind:     hidden_global_offset_x
      - .offset:         136
        .size:           8
        .value_kind:     hidden_global_offset_y
      - .offset:         144
        .size:           8
        .value_kind:     hidden_global_offset_z
      - .offset:         152
        .size:           2
        .value_kind:     hidden_grid_dims
    .group_segment_fixed_size: 2048
    .kernarg_segment_align: 8
    .kernarg_segment_size: 344
    .language:       OpenCL C
    .language_version:
      - 2
      - 0
    .max_flat_workgroup_size: 256
    .name:           _ZN9rocsparseL21csrmvt_general_kernelILj256ELj16Ell21rocsparse_complex_numIdES2_S2_S2_EEvbbT2_NS_24const_host_device_scalarIT6_EEPKT1_S9_PKS3_PKT3_PKT4_PT5_21rocsparse_index_base_b
    .private_segment_fixed_size: 0
    .sgpr_count:     34
    .sgpr_spill_count: 0
    .symbol:         _ZN9rocsparseL21csrmvt_general_kernelILj256ELj16Ell21rocsparse_complex_numIdES2_S2_S2_EEvbbT2_NS_24const_host_device_scalarIT6_EEPKT1_S9_PKS3_PKT3_PKT4_PT5_21rocsparse_index_base_b.kd
    .uniform_work_group_size: 1
    .uses_dynamic_stack: false
    .vgpr_count:     34
    .vgpr_spill_count: 0
    .wavefront_size: 64
  - .agpr_count:     0
    .args:
      - .offset:         0
        .size:           1
        .value_kind:     by_value
      - .offset:         1
        .size:           1
        .value_kind:     by_value
      - .offset:         8
        .size:           8
        .value_kind:     by_value
      - .offset:         16
        .size:           16
        .value_kind:     by_value
      - .address_space:  global
        .offset:         32
        .size:           8
        .value_kind:     global_buffer
      - .address_space:  global
        .offset:         40
        .size:           8
        .value_kind:     global_buffer
      - .actual_access:  read_only
        .address_space:  global
        .offset:         48
        .size:           8
        .value_kind:     global_buffer
      - .actual_access:  read_only
        .address_space:  global
        .offset:         56
        .size:           8
        .value_kind:     global_buffer
      - .actual_access:  read_only
        .address_space:  global
        .offset:         64
        .size:           8
        .value_kind:     global_buffer
      - .address_space:  global
        .offset:         72
        .size:           8
        .value_kind:     global_buffer
      - .offset:         80
        .size:           4
        .value_kind:     by_value
      - .offset:         84
        .size:           1
        .value_kind:     by_value
      - .offset:         88
        .size:           4
        .value_kind:     hidden_block_count_x
      - .offset:         92
        .size:           4
        .value_kind:     hidden_block_count_y
      - .offset:         96
        .size:           4
        .value_kind:     hidden_block_count_z
      - .offset:         100
        .size:           2
        .value_kind:     hidden_group_size_x
      - .offset:         102
        .size:           2
        .value_kind:     hidden_group_size_y
      - .offset:         104
        .size:           2
        .value_kind:     hidden_group_size_z
      - .offset:         106
        .size:           2
        .value_kind:     hidden_remainder_x
      - .offset:         108
        .size:           2
        .value_kind:     hidden_remainder_y
      - .offset:         110
        .size:           2
        .value_kind:     hidden_remainder_z
      - .offset:         128
        .size:           8
        .value_kind:     hidden_global_offset_x
      - .offset:         136
        .size:           8
        .value_kind:     hidden_global_offset_y
      - .offset:         144
        .size:           8
        .value_kind:     hidden_global_offset_z
      - .offset:         152
        .size:           2
        .value_kind:     hidden_grid_dims
    .group_segment_fixed_size: 2048
    .kernarg_segment_align: 8
    .kernarg_segment_size: 344
    .language:       OpenCL C
    .language_version:
      - 2
      - 0
    .max_flat_workgroup_size: 256
    .name:           _ZN9rocsparseL21csrmvt_general_kernelILj256ELj32Ell21rocsparse_complex_numIdES2_S2_S2_EEvbbT2_NS_24const_host_device_scalarIT6_EEPKT1_S9_PKS3_PKT3_PKT4_PT5_21rocsparse_index_base_b
    .private_segment_fixed_size: 0
    .sgpr_count:     34
    .sgpr_spill_count: 0
    .symbol:         _ZN9rocsparseL21csrmvt_general_kernelILj256ELj32Ell21rocsparse_complex_numIdES2_S2_S2_EEvbbT2_NS_24const_host_device_scalarIT6_EEPKT1_S9_PKS3_PKT3_PKT4_PT5_21rocsparse_index_base_b.kd
    .uniform_work_group_size: 1
    .uses_dynamic_stack: false
    .vgpr_count:     34
    .vgpr_spill_count: 0
    .wavefront_size: 64
  - .agpr_count:     0
    .args:
      - .offset:         0
        .size:           1
        .value_kind:     by_value
      - .offset:         1
        .size:           1
        .value_kind:     by_value
      - .offset:         8
        .size:           8
        .value_kind:     by_value
      - .offset:         16
        .size:           16
        .value_kind:     by_value
      - .address_space:  global
        .offset:         32
        .size:           8
        .value_kind:     global_buffer
      - .address_space:  global
        .offset:         40
        .size:           8
        .value_kind:     global_buffer
      - .actual_access:  read_only
        .address_space:  global
        .offset:         48
        .size:           8
        .value_kind:     global_buffer
      - .actual_access:  read_only
        .address_space:  global
        .offset:         56
        .size:           8
        .value_kind:     global_buffer
      - .actual_access:  read_only
        .address_space:  global
        .offset:         64
        .size:           8
        .value_kind:     global_buffer
      - .address_space:  global
        .offset:         72
        .size:           8
        .value_kind:     global_buffer
      - .offset:         80
        .size:           4
        .value_kind:     by_value
      - .offset:         84
        .size:           1
        .value_kind:     by_value
      - .offset:         88
        .size:           4
        .value_kind:     hidden_block_count_x
      - .offset:         92
        .size:           4
        .value_kind:     hidden_block_count_y
      - .offset:         96
        .size:           4
        .value_kind:     hidden_block_count_z
      - .offset:         100
        .size:           2
        .value_kind:     hidden_group_size_x
      - .offset:         102
        .size:           2
        .value_kind:     hidden_group_size_y
      - .offset:         104
        .size:           2
        .value_kind:     hidden_group_size_z
      - .offset:         106
        .size:           2
        .value_kind:     hidden_remainder_x
      - .offset:         108
        .size:           2
        .value_kind:     hidden_remainder_y
      - .offset:         110
        .size:           2
        .value_kind:     hidden_remainder_z
      - .offset:         128
        .size:           8
        .value_kind:     hidden_global_offset_x
      - .offset:         136
        .size:           8
        .value_kind:     hidden_global_offset_y
      - .offset:         144
        .size:           8
        .value_kind:     hidden_global_offset_z
      - .offset:         152
        .size:           2
        .value_kind:     hidden_grid_dims
    .group_segment_fixed_size: 2048
    .kernarg_segment_align: 8
    .kernarg_segment_size: 344
    .language:       OpenCL C
    .language_version:
      - 2
      - 0
    .max_flat_workgroup_size: 256
    .name:           _ZN9rocsparseL21csrmvt_general_kernelILj256ELj64Ell21rocsparse_complex_numIdES2_S2_S2_EEvbbT2_NS_24const_host_device_scalarIT6_EEPKT1_S9_PKS3_PKT3_PKT4_PT5_21rocsparse_index_base_b
    .private_segment_fixed_size: 0
    .sgpr_count:     34
    .sgpr_spill_count: 0
    .symbol:         _ZN9rocsparseL21csrmvt_general_kernelILj256ELj64Ell21rocsparse_complex_numIdES2_S2_S2_EEvbbT2_NS_24const_host_device_scalarIT6_EEPKT1_S9_PKS3_PKT3_PKT4_PT5_21rocsparse_index_base_b.kd
    .uniform_work_group_size: 1
    .uses_dynamic_stack: false
    .vgpr_count:     34
    .vgpr_spill_count: 0
    .wavefront_size: 64
  - .agpr_count:     0
    .args:
      - .offset:         0
        .size:           1
        .value_kind:     by_value
      - .offset:         4
        .size:           4
        .value_kind:     by_value
      - .offset:         8
        .size:           8
        .value_kind:     by_value
      - .address_space:  global
        .offset:         16
        .size:           8
        .value_kind:     global_buffer
      - .address_space:  global
        .offset:         24
        .size:           8
        .value_kind:     global_buffer
      - .actual_access:  read_only
        .address_space:  global
        .offset:         32
        .size:           8
        .value_kind:     global_buffer
      - .actual_access:  read_only
        .address_space:  global
        .offset:         40
        .size:           8
        .value_kind:     global_buffer
      - .actual_access:  read_only
        .address_space:  global
        .offset:         48
        .size:           8
        .value_kind:     global_buffer
      - .offset:         56
        .size:           8
        .value_kind:     by_value
      - .address_space:  global
        .offset:         64
        .size:           8
        .value_kind:     global_buffer
      - .offset:         72
        .size:           4
        .value_kind:     by_value
      - .offset:         76
        .size:           1
        .value_kind:     by_value
      - .offset:         80
        .size:           4
        .value_kind:     hidden_block_count_x
      - .offset:         84
        .size:           4
        .value_kind:     hidden_block_count_y
      - .offset:         88
        .size:           4
        .value_kind:     hidden_block_count_z
      - .offset:         92
        .size:           2
        .value_kind:     hidden_group_size_x
      - .offset:         94
        .size:           2
        .value_kind:     hidden_group_size_y
      - .offset:         96
        .size:           2
        .value_kind:     hidden_group_size_z
      - .offset:         98
        .size:           2
        .value_kind:     hidden_remainder_x
      - .offset:         100
        .size:           2
        .value_kind:     hidden_remainder_y
      - .offset:         102
        .size:           2
        .value_kind:     hidden_remainder_z
      - .offset:         120
        .size:           8
        .value_kind:     hidden_global_offset_x
      - .offset:         128
        .size:           8
        .value_kind:     hidden_global_offset_y
      - .offset:         136
        .size:           8
        .value_kind:     hidden_global_offset_z
      - .offset:         144
        .size:           2
        .value_kind:     hidden_grid_dims
    .group_segment_fixed_size: 0
    .kernarg_segment_align: 8
    .kernarg_segment_size: 336
    .language:       OpenCL C
    .language_version:
      - 2
      - 0
    .max_flat_workgroup_size: 256
    .name:           _ZN9rocsparseL21csrmvn_general_kernelILj256ELj2EiiaaiiEEvbT2_NS_24const_host_device_scalarIT6_EEPKT1_S7_PKS1_PKT3_PKT4_S4_PT5_21rocsparse_index_base_b
    .private_segment_fixed_size: 0
    .sgpr_count:     41
    .sgpr_spill_count: 0
    .symbol:         _ZN9rocsparseL21csrmvn_general_kernelILj256ELj2EiiaaiiEEvbT2_NS_24const_host_device_scalarIT6_EEPKT1_S7_PKS1_PKT3_PKT4_S4_PT5_21rocsparse_index_base_b.kd
    .uniform_work_group_size: 1
    .uses_dynamic_stack: false
    .vgpr_count:     28
    .vgpr_spill_count: 0
    .wavefront_size: 64
  - .agpr_count:     0
    .args:
      - .offset:         0
        .size:           1
        .value_kind:     by_value
      - .offset:         4
        .size:           4
        .value_kind:     by_value
      - .offset:         8
        .size:           8
        .value_kind:     by_value
      - .address_space:  global
        .offset:         16
        .size:           8
        .value_kind:     global_buffer
      - .address_space:  global
        .offset:         24
        .size:           8
        .value_kind:     global_buffer
      - .actual_access:  read_only
        .address_space:  global
        .offset:         32
        .size:           8
        .value_kind:     global_buffer
      - .actual_access:  read_only
        .address_space:  global
        .offset:         40
        .size:           8
        .value_kind:     global_buffer
      - .actual_access:  read_only
        .address_space:  global
        .offset:         48
        .size:           8
        .value_kind:     global_buffer
      - .offset:         56
        .size:           8
        .value_kind:     by_value
      - .address_space:  global
        .offset:         64
        .size:           8
        .value_kind:     global_buffer
      - .offset:         72
        .size:           4
        .value_kind:     by_value
      - .offset:         76
        .size:           1
        .value_kind:     by_value
      - .offset:         80
        .size:           4
        .value_kind:     hidden_block_count_x
      - .offset:         84
        .size:           4
        .value_kind:     hidden_block_count_y
      - .offset:         88
        .size:           4
        .value_kind:     hidden_block_count_z
      - .offset:         92
        .size:           2
        .value_kind:     hidden_group_size_x
      - .offset:         94
        .size:           2
        .value_kind:     hidden_group_size_y
      - .offset:         96
        .size:           2
        .value_kind:     hidden_group_size_z
      - .offset:         98
        .size:           2
        .value_kind:     hidden_remainder_x
      - .offset:         100
        .size:           2
        .value_kind:     hidden_remainder_y
      - .offset:         102
        .size:           2
        .value_kind:     hidden_remainder_z
      - .offset:         120
        .size:           8
        .value_kind:     hidden_global_offset_x
      - .offset:         128
        .size:           8
        .value_kind:     hidden_global_offset_y
      - .offset:         136
        .size:           8
        .value_kind:     hidden_global_offset_z
      - .offset:         144
        .size:           2
        .value_kind:     hidden_grid_dims
    .group_segment_fixed_size: 0
    .kernarg_segment_align: 8
    .kernarg_segment_size: 336
    .language:       OpenCL C
    .language_version:
      - 2
      - 0
    .max_flat_workgroup_size: 256
    .name:           _ZN9rocsparseL21csrmvn_general_kernelILj256ELj4EiiaaiiEEvbT2_NS_24const_host_device_scalarIT6_EEPKT1_S7_PKS1_PKT3_PKT4_S4_PT5_21rocsparse_index_base_b
    .private_segment_fixed_size: 0
    .sgpr_count:     41
    .sgpr_spill_count: 0
    .symbol:         _ZN9rocsparseL21csrmvn_general_kernelILj256ELj4EiiaaiiEEvbT2_NS_24const_host_device_scalarIT6_EEPKT1_S7_PKS1_PKT3_PKT4_S4_PT5_21rocsparse_index_base_b.kd
    .uniform_work_group_size: 1
    .uses_dynamic_stack: false
    .vgpr_count:     28
    .vgpr_spill_count: 0
    .wavefront_size: 64
  - .agpr_count:     0
    .args:
      - .offset:         0
        .size:           1
        .value_kind:     by_value
      - .offset:         4
        .size:           4
        .value_kind:     by_value
      - .offset:         8
        .size:           8
        .value_kind:     by_value
      - .address_space:  global
        .offset:         16
        .size:           8
        .value_kind:     global_buffer
      - .address_space:  global
        .offset:         24
        .size:           8
        .value_kind:     global_buffer
      - .actual_access:  read_only
        .address_space:  global
        .offset:         32
        .size:           8
        .value_kind:     global_buffer
      - .actual_access:  read_only
        .address_space:  global
        .offset:         40
        .size:           8
        .value_kind:     global_buffer
      - .actual_access:  read_only
        .address_space:  global
        .offset:         48
        .size:           8
        .value_kind:     global_buffer
      - .offset:         56
        .size:           8
        .value_kind:     by_value
      - .address_space:  global
        .offset:         64
        .size:           8
        .value_kind:     global_buffer
      - .offset:         72
        .size:           4
        .value_kind:     by_value
      - .offset:         76
        .size:           1
        .value_kind:     by_value
      - .offset:         80
        .size:           4
        .value_kind:     hidden_block_count_x
      - .offset:         84
        .size:           4
        .value_kind:     hidden_block_count_y
      - .offset:         88
        .size:           4
        .value_kind:     hidden_block_count_z
      - .offset:         92
        .size:           2
        .value_kind:     hidden_group_size_x
      - .offset:         94
        .size:           2
        .value_kind:     hidden_group_size_y
      - .offset:         96
        .size:           2
        .value_kind:     hidden_group_size_z
      - .offset:         98
        .size:           2
        .value_kind:     hidden_remainder_x
      - .offset:         100
        .size:           2
        .value_kind:     hidden_remainder_y
      - .offset:         102
        .size:           2
        .value_kind:     hidden_remainder_z
      - .offset:         120
        .size:           8
        .value_kind:     hidden_global_offset_x
      - .offset:         128
        .size:           8
        .value_kind:     hidden_global_offset_y
      - .offset:         136
        .size:           8
        .value_kind:     hidden_global_offset_z
      - .offset:         144
        .size:           2
        .value_kind:     hidden_grid_dims
    .group_segment_fixed_size: 0
    .kernarg_segment_align: 8
    .kernarg_segment_size: 336
    .language:       OpenCL C
    .language_version:
      - 2
      - 0
    .max_flat_workgroup_size: 256
    .name:           _ZN9rocsparseL21csrmvn_general_kernelILj256ELj8EiiaaiiEEvbT2_NS_24const_host_device_scalarIT6_EEPKT1_S7_PKS1_PKT3_PKT4_S4_PT5_21rocsparse_index_base_b
    .private_segment_fixed_size: 0
    .sgpr_count:     41
    .sgpr_spill_count: 0
    .symbol:         _ZN9rocsparseL21csrmvn_general_kernelILj256ELj8EiiaaiiEEvbT2_NS_24const_host_device_scalarIT6_EEPKT1_S7_PKS1_PKT3_PKT4_S4_PT5_21rocsparse_index_base_b.kd
    .uniform_work_group_size: 1
    .uses_dynamic_stack: false
    .vgpr_count:     28
    .vgpr_spill_count: 0
    .wavefront_size: 64
  - .agpr_count:     0
    .args:
      - .offset:         0
        .size:           1
        .value_kind:     by_value
      - .offset:         4
        .size:           4
        .value_kind:     by_value
      - .offset:         8
        .size:           8
        .value_kind:     by_value
      - .address_space:  global
        .offset:         16
        .size:           8
        .value_kind:     global_buffer
      - .address_space:  global
        .offset:         24
        .size:           8
        .value_kind:     global_buffer
      - .actual_access:  read_only
        .address_space:  global
        .offset:         32
        .size:           8
        .value_kind:     global_buffer
      - .actual_access:  read_only
        .address_space:  global
        .offset:         40
        .size:           8
        .value_kind:     global_buffer
      - .actual_access:  read_only
        .address_space:  global
        .offset:         48
        .size:           8
        .value_kind:     global_buffer
      - .offset:         56
        .size:           8
        .value_kind:     by_value
      - .address_space:  global
        .offset:         64
        .size:           8
        .value_kind:     global_buffer
      - .offset:         72
        .size:           4
        .value_kind:     by_value
      - .offset:         76
        .size:           1
        .value_kind:     by_value
      - .offset:         80
        .size:           4
        .value_kind:     hidden_block_count_x
      - .offset:         84
        .size:           4
        .value_kind:     hidden_block_count_y
      - .offset:         88
        .size:           4
        .value_kind:     hidden_block_count_z
      - .offset:         92
        .size:           2
        .value_kind:     hidden_group_size_x
      - .offset:         94
        .size:           2
        .value_kind:     hidden_group_size_y
      - .offset:         96
        .size:           2
        .value_kind:     hidden_group_size_z
      - .offset:         98
        .size:           2
        .value_kind:     hidden_remainder_x
      - .offset:         100
        .size:           2
        .value_kind:     hidden_remainder_y
      - .offset:         102
        .size:           2
        .value_kind:     hidden_remainder_z
      - .offset:         120
        .size:           8
        .value_kind:     hidden_global_offset_x
      - .offset:         128
        .size:           8
        .value_kind:     hidden_global_offset_y
      - .offset:         136
        .size:           8
        .value_kind:     hidden_global_offset_z
      - .offset:         144
        .size:           2
        .value_kind:     hidden_grid_dims
    .group_segment_fixed_size: 0
    .kernarg_segment_align: 8
    .kernarg_segment_size: 336
    .language:       OpenCL C
    .language_version:
      - 2
      - 0
    .max_flat_workgroup_size: 256
    .name:           _ZN9rocsparseL21csrmvn_general_kernelILj256ELj16EiiaaiiEEvbT2_NS_24const_host_device_scalarIT6_EEPKT1_S7_PKS1_PKT3_PKT4_S4_PT5_21rocsparse_index_base_b
    .private_segment_fixed_size: 0
    .sgpr_count:     41
    .sgpr_spill_count: 0
    .symbol:         _ZN9rocsparseL21csrmvn_general_kernelILj256ELj16EiiaaiiEEvbT2_NS_24const_host_device_scalarIT6_EEPKT1_S7_PKS1_PKT3_PKT4_S4_PT5_21rocsparse_index_base_b.kd
    .uniform_work_group_size: 1
    .uses_dynamic_stack: false
    .vgpr_count:     28
    .vgpr_spill_count: 0
    .wavefront_size: 64
  - .agpr_count:     0
    .args:
      - .offset:         0
        .size:           1
        .value_kind:     by_value
      - .offset:         4
        .size:           4
        .value_kind:     by_value
      - .offset:         8
        .size:           8
        .value_kind:     by_value
      - .address_space:  global
        .offset:         16
        .size:           8
        .value_kind:     global_buffer
      - .address_space:  global
        .offset:         24
        .size:           8
        .value_kind:     global_buffer
      - .actual_access:  read_only
        .address_space:  global
        .offset:         32
        .size:           8
        .value_kind:     global_buffer
      - .actual_access:  read_only
        .address_space:  global
        .offset:         40
        .size:           8
        .value_kind:     global_buffer
      - .actual_access:  read_only
        .address_space:  global
        .offset:         48
        .size:           8
        .value_kind:     global_buffer
      - .offset:         56
        .size:           8
        .value_kind:     by_value
      - .address_space:  global
        .offset:         64
        .size:           8
        .value_kind:     global_buffer
      - .offset:         72
        .size:           4
        .value_kind:     by_value
      - .offset:         76
        .size:           1
        .value_kind:     by_value
      - .offset:         80
        .size:           4
        .value_kind:     hidden_block_count_x
      - .offset:         84
        .size:           4
        .value_kind:     hidden_block_count_y
      - .offset:         88
        .size:           4
        .value_kind:     hidden_block_count_z
      - .offset:         92
        .size:           2
        .value_kind:     hidden_group_size_x
      - .offset:         94
        .size:           2
        .value_kind:     hidden_group_size_y
      - .offset:         96
        .size:           2
        .value_kind:     hidden_group_size_z
      - .offset:         98
        .size:           2
        .value_kind:     hidden_remainder_x
      - .offset:         100
        .size:           2
        .value_kind:     hidden_remainder_y
      - .offset:         102
        .size:           2
        .value_kind:     hidden_remainder_z
      - .offset:         120
        .size:           8
        .value_kind:     hidden_global_offset_x
      - .offset:         128
        .size:           8
        .value_kind:     hidden_global_offset_y
      - .offset:         136
        .size:           8
        .value_kind:     hidden_global_offset_z
      - .offset:         144
        .size:           2
        .value_kind:     hidden_grid_dims
    .group_segment_fixed_size: 0
    .kernarg_segment_align: 8
    .kernarg_segment_size: 336
    .language:       OpenCL C
    .language_version:
      - 2
      - 0
    .max_flat_workgroup_size: 256
    .name:           _ZN9rocsparseL21csrmvn_general_kernelILj256ELj32EiiaaiiEEvbT2_NS_24const_host_device_scalarIT6_EEPKT1_S7_PKS1_PKT3_PKT4_S4_PT5_21rocsparse_index_base_b
    .private_segment_fixed_size: 0
    .sgpr_count:     41
    .sgpr_spill_count: 0
    .symbol:         _ZN9rocsparseL21csrmvn_general_kernelILj256ELj32EiiaaiiEEvbT2_NS_24const_host_device_scalarIT6_EEPKT1_S7_PKS1_PKT3_PKT4_S4_PT5_21rocsparse_index_base_b.kd
    .uniform_work_group_size: 1
    .uses_dynamic_stack: false
    .vgpr_count:     28
    .vgpr_spill_count: 0
    .wavefront_size: 64
  - .agpr_count:     0
    .args:
      - .offset:         0
        .size:           1
        .value_kind:     by_value
      - .offset:         4
        .size:           4
        .value_kind:     by_value
      - .offset:         8
        .size:           8
        .value_kind:     by_value
      - .address_space:  global
        .offset:         16
        .size:           8
        .value_kind:     global_buffer
      - .address_space:  global
        .offset:         24
        .size:           8
        .value_kind:     global_buffer
      - .actual_access:  read_only
        .address_space:  global
        .offset:         32
        .size:           8
        .value_kind:     global_buffer
      - .actual_access:  read_only
        .address_space:  global
        .offset:         40
        .size:           8
        .value_kind:     global_buffer
      - .actual_access:  read_only
        .address_space:  global
        .offset:         48
        .size:           8
        .value_kind:     global_buffer
      - .offset:         56
        .size:           8
        .value_kind:     by_value
      - .address_space:  global
        .offset:         64
        .size:           8
        .value_kind:     global_buffer
      - .offset:         72
        .size:           4
        .value_kind:     by_value
      - .offset:         76
        .size:           1
        .value_kind:     by_value
      - .offset:         80
        .size:           4
        .value_kind:     hidden_block_count_x
      - .offset:         84
        .size:           4
        .value_kind:     hidden_block_count_y
      - .offset:         88
        .size:           4
        .value_kind:     hidden_block_count_z
      - .offset:         92
        .size:           2
        .value_kind:     hidden_group_size_x
      - .offset:         94
        .size:           2
        .value_kind:     hidden_group_size_y
      - .offset:         96
        .size:           2
        .value_kind:     hidden_group_size_z
      - .offset:         98
        .size:           2
        .value_kind:     hidden_remainder_x
      - .offset:         100
        .size:           2
        .value_kind:     hidden_remainder_y
      - .offset:         102
        .size:           2
        .value_kind:     hidden_remainder_z
      - .offset:         120
        .size:           8
        .value_kind:     hidden_global_offset_x
      - .offset:         128
        .size:           8
        .value_kind:     hidden_global_offset_y
      - .offset:         136
        .size:           8
        .value_kind:     hidden_global_offset_z
      - .offset:         144
        .size:           2
        .value_kind:     hidden_grid_dims
    .group_segment_fixed_size: 0
    .kernarg_segment_align: 8
    .kernarg_segment_size: 336
    .language:       OpenCL C
    .language_version:
      - 2
      - 0
    .max_flat_workgroup_size: 256
    .name:           _ZN9rocsparseL21csrmvn_general_kernelILj256ELj64EiiaaiiEEvbT2_NS_24const_host_device_scalarIT6_EEPKT1_S7_PKS1_PKT3_PKT4_S4_PT5_21rocsparse_index_base_b
    .private_segment_fixed_size: 0
    .sgpr_count:     41
    .sgpr_spill_count: 0
    .symbol:         _ZN9rocsparseL21csrmvn_general_kernelILj256ELj64EiiaaiiEEvbT2_NS_24const_host_device_scalarIT6_EEPKT1_S7_PKS1_PKT3_PKT4_S4_PT5_21rocsparse_index_base_b.kd
    .uniform_work_group_size: 1
    .uses_dynamic_stack: false
    .vgpr_count:     28
    .vgpr_spill_count: 0
    .wavefront_size: 64
  - .agpr_count:     0
    .args:
      - .offset:         0
        .size:           1
        .value_kind:     by_value
      - .offset:         1
        .size:           1
        .value_kind:     by_value
      - .offset:         4
        .size:           4
        .value_kind:     by_value
      - .offset:         8
        .size:           8
        .value_kind:     by_value
      - .address_space:  global
        .offset:         16
        .size:           8
        .value_kind:     global_buffer
      - .address_space:  global
        .offset:         24
        .size:           8
        .value_kind:     global_buffer
      - .actual_access:  read_only
        .address_space:  global
        .offset:         32
        .size:           8
        .value_kind:     global_buffer
      - .actual_access:  read_only
        .address_space:  global
        .offset:         40
        .size:           8
        .value_kind:     global_buffer
      - .actual_access:  read_only
        .address_space:  global
        .offset:         48
        .size:           8
        .value_kind:     global_buffer
      - .address_space:  global
        .offset:         56
        .size:           8
        .value_kind:     global_buffer
      - .offset:         64
        .size:           4
        .value_kind:     by_value
      - .offset:         68
        .size:           1
        .value_kind:     by_value
      - .offset:         72
        .size:           4
        .value_kind:     hidden_block_count_x
      - .offset:         76
        .size:           4
        .value_kind:     hidden_block_count_y
      - .offset:         80
        .size:           4
        .value_kind:     hidden_block_count_z
      - .offset:         84
        .size:           2
        .value_kind:     hidden_group_size_x
      - .offset:         86
        .size:           2
        .value_kind:     hidden_group_size_y
      - .offset:         88
        .size:           2
        .value_kind:     hidden_group_size_z
      - .offset:         90
        .size:           2
        .value_kind:     hidden_remainder_x
      - .offset:         92
        .size:           2
        .value_kind:     hidden_remainder_y
      - .offset:         94
        .size:           2
        .value_kind:     hidden_remainder_z
      - .offset:         112
        .size:           8
        .value_kind:     hidden_global_offset_x
      - .offset:         120
        .size:           8
        .value_kind:     hidden_global_offset_y
      - .offset:         128
        .size:           8
        .value_kind:     hidden_global_offset_z
      - .offset:         136
        .size:           2
        .value_kind:     hidden_grid_dims
    .group_segment_fixed_size: 0
    .kernarg_segment_align: 8
    .kernarg_segment_size: 328
    .language:       OpenCL C
    .language_version:
      - 2
      - 0
    .max_flat_workgroup_size: 256
    .name:           _ZN9rocsparseL21csrmvt_general_kernelILj256ELj4EiiaaiiEEvbbT2_NS_24const_host_device_scalarIT6_EEPKT1_S7_PKS1_PKT3_PKT4_PT5_21rocsparse_index_base_b
    .private_segment_fixed_size: 0
    .sgpr_count:     30
    .sgpr_spill_count: 0
    .symbol:         _ZN9rocsparseL21csrmvt_general_kernelILj256ELj4EiiaaiiEEvbbT2_NS_24const_host_device_scalarIT6_EEPKT1_S7_PKS1_PKT3_PKT4_PT5_21rocsparse_index_base_b.kd
    .uniform_work_group_size: 1
    .uses_dynamic_stack: false
    .vgpr_count:     14
    .vgpr_spill_count: 0
    .wavefront_size: 64
  - .agpr_count:     0
    .args:
      - .offset:         0
        .size:           1
        .value_kind:     by_value
      - .offset:         1
        .size:           1
        .value_kind:     by_value
      - .offset:         4
        .size:           4
        .value_kind:     by_value
      - .offset:         8
        .size:           8
        .value_kind:     by_value
      - .address_space:  global
        .offset:         16
        .size:           8
        .value_kind:     global_buffer
      - .address_space:  global
        .offset:         24
        .size:           8
        .value_kind:     global_buffer
      - .actual_access:  read_only
        .address_space:  global
        .offset:         32
        .size:           8
        .value_kind:     global_buffer
      - .actual_access:  read_only
        .address_space:  global
        .offset:         40
        .size:           8
        .value_kind:     global_buffer
      - .actual_access:  read_only
        .address_space:  global
        .offset:         48
        .size:           8
        .value_kind:     global_buffer
      - .address_space:  global
        .offset:         56
        .size:           8
        .value_kind:     global_buffer
      - .offset:         64
        .size:           4
        .value_kind:     by_value
      - .offset:         68
        .size:           1
        .value_kind:     by_value
      - .offset:         72
        .size:           4
        .value_kind:     hidden_block_count_x
      - .offset:         76
        .size:           4
        .value_kind:     hidden_block_count_y
      - .offset:         80
        .size:           4
        .value_kind:     hidden_block_count_z
      - .offset:         84
        .size:           2
        .value_kind:     hidden_group_size_x
      - .offset:         86
        .size:           2
        .value_kind:     hidden_group_size_y
      - .offset:         88
        .size:           2
        .value_kind:     hidden_group_size_z
      - .offset:         90
        .size:           2
        .value_kind:     hidden_remainder_x
      - .offset:         92
        .size:           2
        .value_kind:     hidden_remainder_y
      - .offset:         94
        .size:           2
        .value_kind:     hidden_remainder_z
      - .offset:         112
        .size:           8
        .value_kind:     hidden_global_offset_x
      - .offset:         120
        .size:           8
        .value_kind:     hidden_global_offset_y
      - .offset:         128
        .size:           8
        .value_kind:     hidden_global_offset_z
      - .offset:         136
        .size:           2
        .value_kind:     hidden_grid_dims
    .group_segment_fixed_size: 0
    .kernarg_segment_align: 8
    .kernarg_segment_size: 328
    .language:       OpenCL C
    .language_version:
      - 2
      - 0
    .max_flat_workgroup_size: 256
    .name:           _ZN9rocsparseL21csrmvt_general_kernelILj256ELj8EiiaaiiEEvbbT2_NS_24const_host_device_scalarIT6_EEPKT1_S7_PKS1_PKT3_PKT4_PT5_21rocsparse_index_base_b
    .private_segment_fixed_size: 0
    .sgpr_count:     30
    .sgpr_spill_count: 0
    .symbol:         _ZN9rocsparseL21csrmvt_general_kernelILj256ELj8EiiaaiiEEvbbT2_NS_24const_host_device_scalarIT6_EEPKT1_S7_PKS1_PKT3_PKT4_PT5_21rocsparse_index_base_b.kd
    .uniform_work_group_size: 1
    .uses_dynamic_stack: false
    .vgpr_count:     14
    .vgpr_spill_count: 0
    .wavefront_size: 64
  - .agpr_count:     0
    .args:
      - .offset:         0
        .size:           1
        .value_kind:     by_value
      - .offset:         1
        .size:           1
        .value_kind:     by_value
      - .offset:         4
        .size:           4
        .value_kind:     by_value
      - .offset:         8
        .size:           8
        .value_kind:     by_value
      - .address_space:  global
        .offset:         16
        .size:           8
        .value_kind:     global_buffer
      - .address_space:  global
        .offset:         24
        .size:           8
        .value_kind:     global_buffer
      - .actual_access:  read_only
        .address_space:  global
        .offset:         32
        .size:           8
        .value_kind:     global_buffer
      - .actual_access:  read_only
        .address_space:  global
        .offset:         40
        .size:           8
        .value_kind:     global_buffer
      - .actual_access:  read_only
        .address_space:  global
        .offset:         48
        .size:           8
        .value_kind:     global_buffer
      - .address_space:  global
        .offset:         56
        .size:           8
        .value_kind:     global_buffer
      - .offset:         64
        .size:           4
        .value_kind:     by_value
      - .offset:         68
        .size:           1
        .value_kind:     by_value
      - .offset:         72
        .size:           4
        .value_kind:     hidden_block_count_x
      - .offset:         76
        .size:           4
        .value_kind:     hidden_block_count_y
      - .offset:         80
        .size:           4
        .value_kind:     hidden_block_count_z
      - .offset:         84
        .size:           2
        .value_kind:     hidden_group_size_x
      - .offset:         86
        .size:           2
        .value_kind:     hidden_group_size_y
      - .offset:         88
        .size:           2
        .value_kind:     hidden_group_size_z
      - .offset:         90
        .size:           2
        .value_kind:     hidden_remainder_x
      - .offset:         92
        .size:           2
        .value_kind:     hidden_remainder_y
      - .offset:         94
        .size:           2
        .value_kind:     hidden_remainder_z
      - .offset:         112
        .size:           8
        .value_kind:     hidden_global_offset_x
      - .offset:         120
        .size:           8
        .value_kind:     hidden_global_offset_y
      - .offset:         128
        .size:           8
        .value_kind:     hidden_global_offset_z
      - .offset:         136
        .size:           2
        .value_kind:     hidden_grid_dims
    .group_segment_fixed_size: 0
    .kernarg_segment_align: 8
    .kernarg_segment_size: 328
    .language:       OpenCL C
    .language_version:
      - 2
      - 0
    .max_flat_workgroup_size: 256
    .name:           _ZN9rocsparseL21csrmvt_general_kernelILj256ELj16EiiaaiiEEvbbT2_NS_24const_host_device_scalarIT6_EEPKT1_S7_PKS1_PKT3_PKT4_PT5_21rocsparse_index_base_b
    .private_segment_fixed_size: 0
    .sgpr_count:     30
    .sgpr_spill_count: 0
    .symbol:         _ZN9rocsparseL21csrmvt_general_kernelILj256ELj16EiiaaiiEEvbbT2_NS_24const_host_device_scalarIT6_EEPKT1_S7_PKS1_PKT3_PKT4_PT5_21rocsparse_index_base_b.kd
    .uniform_work_group_size: 1
    .uses_dynamic_stack: false
    .vgpr_count:     14
    .vgpr_spill_count: 0
    .wavefront_size: 64
  - .agpr_count:     0
    .args:
      - .offset:         0
        .size:           1
        .value_kind:     by_value
      - .offset:         1
        .size:           1
        .value_kind:     by_value
      - .offset:         4
        .size:           4
        .value_kind:     by_value
      - .offset:         8
        .size:           8
        .value_kind:     by_value
      - .address_space:  global
        .offset:         16
        .size:           8
        .value_kind:     global_buffer
      - .address_space:  global
        .offset:         24
        .size:           8
        .value_kind:     global_buffer
      - .actual_access:  read_only
        .address_space:  global
        .offset:         32
        .size:           8
        .value_kind:     global_buffer
      - .actual_access:  read_only
        .address_space:  global
        .offset:         40
        .size:           8
        .value_kind:     global_buffer
      - .actual_access:  read_only
        .address_space:  global
        .offset:         48
        .size:           8
        .value_kind:     global_buffer
      - .address_space:  global
        .offset:         56
        .size:           8
        .value_kind:     global_buffer
      - .offset:         64
        .size:           4
        .value_kind:     by_value
      - .offset:         68
        .size:           1
        .value_kind:     by_value
      - .offset:         72
        .size:           4
        .value_kind:     hidden_block_count_x
      - .offset:         76
        .size:           4
        .value_kind:     hidden_block_count_y
      - .offset:         80
        .size:           4
        .value_kind:     hidden_block_count_z
      - .offset:         84
        .size:           2
        .value_kind:     hidden_group_size_x
      - .offset:         86
        .size:           2
        .value_kind:     hidden_group_size_y
      - .offset:         88
        .size:           2
        .value_kind:     hidden_group_size_z
      - .offset:         90
        .size:           2
        .value_kind:     hidden_remainder_x
      - .offset:         92
        .size:           2
        .value_kind:     hidden_remainder_y
      - .offset:         94
        .size:           2
        .value_kind:     hidden_remainder_z
      - .offset:         112
        .size:           8
        .value_kind:     hidden_global_offset_x
      - .offset:         120
        .size:           8
        .value_kind:     hidden_global_offset_y
      - .offset:         128
        .size:           8
        .value_kind:     hidden_global_offset_z
      - .offset:         136
        .size:           2
        .value_kind:     hidden_grid_dims
    .group_segment_fixed_size: 0
    .kernarg_segment_align: 8
    .kernarg_segment_size: 328
    .language:       OpenCL C
    .language_version:
      - 2
      - 0
    .max_flat_workgroup_size: 256
    .name:           _ZN9rocsparseL21csrmvt_general_kernelILj256ELj32EiiaaiiEEvbbT2_NS_24const_host_device_scalarIT6_EEPKT1_S7_PKS1_PKT3_PKT4_PT5_21rocsparse_index_base_b
    .private_segment_fixed_size: 0
    .sgpr_count:     30
    .sgpr_spill_count: 0
    .symbol:         _ZN9rocsparseL21csrmvt_general_kernelILj256ELj32EiiaaiiEEvbbT2_NS_24const_host_device_scalarIT6_EEPKT1_S7_PKS1_PKT3_PKT4_PT5_21rocsparse_index_base_b.kd
    .uniform_work_group_size: 1
    .uses_dynamic_stack: false
    .vgpr_count:     14
    .vgpr_spill_count: 0
    .wavefront_size: 64
  - .agpr_count:     0
    .args:
      - .offset:         0
        .size:           1
        .value_kind:     by_value
      - .offset:         1
        .size:           1
        .value_kind:     by_value
      - .offset:         4
        .size:           4
        .value_kind:     by_value
      - .offset:         8
        .size:           8
        .value_kind:     by_value
      - .address_space:  global
        .offset:         16
        .size:           8
        .value_kind:     global_buffer
      - .address_space:  global
        .offset:         24
        .size:           8
        .value_kind:     global_buffer
      - .actual_access:  read_only
        .address_space:  global
        .offset:         32
        .size:           8
        .value_kind:     global_buffer
      - .actual_access:  read_only
        .address_space:  global
        .offset:         40
        .size:           8
        .value_kind:     global_buffer
      - .actual_access:  read_only
        .address_space:  global
        .offset:         48
        .size:           8
        .value_kind:     global_buffer
      - .address_space:  global
        .offset:         56
        .size:           8
        .value_kind:     global_buffer
      - .offset:         64
        .size:           4
        .value_kind:     by_value
      - .offset:         68
        .size:           1
        .value_kind:     by_value
      - .offset:         72
        .size:           4
        .value_kind:     hidden_block_count_x
      - .offset:         76
        .size:           4
        .value_kind:     hidden_block_count_y
      - .offset:         80
        .size:           4
        .value_kind:     hidden_block_count_z
      - .offset:         84
        .size:           2
        .value_kind:     hidden_group_size_x
      - .offset:         86
        .size:           2
        .value_kind:     hidden_group_size_y
      - .offset:         88
        .size:           2
        .value_kind:     hidden_group_size_z
      - .offset:         90
        .size:           2
        .value_kind:     hidden_remainder_x
      - .offset:         92
        .size:           2
        .value_kind:     hidden_remainder_y
      - .offset:         94
        .size:           2
        .value_kind:     hidden_remainder_z
      - .offset:         112
        .size:           8
        .value_kind:     hidden_global_offset_x
      - .offset:         120
        .size:           8
        .value_kind:     hidden_global_offset_y
      - .offset:         128
        .size:           8
        .value_kind:     hidden_global_offset_z
      - .offset:         136
        .size:           2
        .value_kind:     hidden_grid_dims
    .group_segment_fixed_size: 0
    .kernarg_segment_align: 8
    .kernarg_segment_size: 328
    .language:       OpenCL C
    .language_version:
      - 2
      - 0
    .max_flat_workgroup_size: 256
    .name:           _ZN9rocsparseL21csrmvt_general_kernelILj256ELj64EiiaaiiEEvbbT2_NS_24const_host_device_scalarIT6_EEPKT1_S7_PKS1_PKT3_PKT4_PT5_21rocsparse_index_base_b
    .private_segment_fixed_size: 0
    .sgpr_count:     30
    .sgpr_spill_count: 0
    .symbol:         _ZN9rocsparseL21csrmvt_general_kernelILj256ELj64EiiaaiiEEvbbT2_NS_24const_host_device_scalarIT6_EEPKT1_S7_PKS1_PKT3_PKT4_PT5_21rocsparse_index_base_b.kd
    .uniform_work_group_size: 1
    .uses_dynamic_stack: false
    .vgpr_count:     14
    .vgpr_spill_count: 0
    .wavefront_size: 64
  - .agpr_count:     0
    .args:
      - .offset:         0
        .size:           1
        .value_kind:     by_value
      - .offset:         4
        .size:           4
        .value_kind:     by_value
      - .offset:         8
        .size:           8
        .value_kind:     by_value
      - .address_space:  global
        .offset:         16
        .size:           8
        .value_kind:     global_buffer
      - .address_space:  global
        .offset:         24
        .size:           8
        .value_kind:     global_buffer
      - .actual_access:  read_only
        .address_space:  global
        .offset:         32
        .size:           8
        .value_kind:     global_buffer
      - .actual_access:  read_only
        .address_space:  global
        .offset:         40
        .size:           8
        .value_kind:     global_buffer
      - .actual_access:  read_only
        .address_space:  global
        .offset:         48
        .size:           8
        .value_kind:     global_buffer
      - .offset:         56
        .size:           8
        .value_kind:     by_value
      - .address_space:  global
        .offset:         64
        .size:           8
        .value_kind:     global_buffer
      - .offset:         72
        .size:           4
        .value_kind:     by_value
      - .offset:         76
        .size:           1
        .value_kind:     by_value
      - .offset:         80
        .size:           4
        .value_kind:     hidden_block_count_x
      - .offset:         84
        .size:           4
        .value_kind:     hidden_block_count_y
      - .offset:         88
        .size:           4
        .value_kind:     hidden_block_count_z
      - .offset:         92
        .size:           2
        .value_kind:     hidden_group_size_x
      - .offset:         94
        .size:           2
        .value_kind:     hidden_group_size_y
      - .offset:         96
        .size:           2
        .value_kind:     hidden_group_size_z
      - .offset:         98
        .size:           2
        .value_kind:     hidden_remainder_x
      - .offset:         100
        .size:           2
        .value_kind:     hidden_remainder_y
      - .offset:         102
        .size:           2
        .value_kind:     hidden_remainder_z
      - .offset:         120
        .size:           8
        .value_kind:     hidden_global_offset_x
      - .offset:         128
        .size:           8
        .value_kind:     hidden_global_offset_y
      - .offset:         136
        .size:           8
        .value_kind:     hidden_global_offset_z
      - .offset:         144
        .size:           2
        .value_kind:     hidden_grid_dims
    .group_segment_fixed_size: 0
    .kernarg_segment_align: 8
    .kernarg_segment_size: 336
    .language:       OpenCL C
    .language_version:
      - 2
      - 0
    .max_flat_workgroup_size: 256
    .name:           _ZN9rocsparseL21csrmvn_general_kernelILj256ELj2EliaaiiEEvbT2_NS_24const_host_device_scalarIT6_EEPKT1_S7_PKS1_PKT3_PKT4_S4_PT5_21rocsparse_index_base_b
    .private_segment_fixed_size: 0
    .sgpr_count:     39
    .sgpr_spill_count: 0
    .symbol:         _ZN9rocsparseL21csrmvn_general_kernelILj256ELj2EliaaiiEEvbT2_NS_24const_host_device_scalarIT6_EEPKT1_S7_PKS1_PKT3_PKT4_S4_PT5_21rocsparse_index_base_b.kd
    .uniform_work_group_size: 1
    .uses_dynamic_stack: false
    .vgpr_count:     39
    .vgpr_spill_count: 0
    .wavefront_size: 64
  - .agpr_count:     0
    .args:
      - .offset:         0
        .size:           1
        .value_kind:     by_value
      - .offset:         4
        .size:           4
        .value_kind:     by_value
      - .offset:         8
        .size:           8
        .value_kind:     by_value
      - .address_space:  global
        .offset:         16
        .size:           8
        .value_kind:     global_buffer
      - .address_space:  global
        .offset:         24
        .size:           8
        .value_kind:     global_buffer
      - .actual_access:  read_only
        .address_space:  global
        .offset:         32
        .size:           8
        .value_kind:     global_buffer
      - .actual_access:  read_only
        .address_space:  global
        .offset:         40
        .size:           8
        .value_kind:     global_buffer
      - .actual_access:  read_only
        .address_space:  global
        .offset:         48
        .size:           8
        .value_kind:     global_buffer
      - .offset:         56
        .size:           8
        .value_kind:     by_value
      - .address_space:  global
        .offset:         64
        .size:           8
        .value_kind:     global_buffer
      - .offset:         72
        .size:           4
        .value_kind:     by_value
      - .offset:         76
        .size:           1
        .value_kind:     by_value
      - .offset:         80
        .size:           4
        .value_kind:     hidden_block_count_x
      - .offset:         84
        .size:           4
        .value_kind:     hidden_block_count_y
      - .offset:         88
        .size:           4
        .value_kind:     hidden_block_count_z
      - .offset:         92
        .size:           2
        .value_kind:     hidden_group_size_x
      - .offset:         94
        .size:           2
        .value_kind:     hidden_group_size_y
      - .offset:         96
        .size:           2
        .value_kind:     hidden_group_size_z
      - .offset:         98
        .size:           2
        .value_kind:     hidden_remainder_x
      - .offset:         100
        .size:           2
        .value_kind:     hidden_remainder_y
      - .offset:         102
        .size:           2
        .value_kind:     hidden_remainder_z
      - .offset:         120
        .size:           8
        .value_kind:     hidden_global_offset_x
      - .offset:         128
        .size:           8
        .value_kind:     hidden_global_offset_y
      - .offset:         136
        .size:           8
        .value_kind:     hidden_global_offset_z
      - .offset:         144
        .size:           2
        .value_kind:     hidden_grid_dims
    .group_segment_fixed_size: 0
    .kernarg_segment_align: 8
    .kernarg_segment_size: 336
    .language:       OpenCL C
    .language_version:
      - 2
      - 0
    .max_flat_workgroup_size: 256
    .name:           _ZN9rocsparseL21csrmvn_general_kernelILj256ELj4EliaaiiEEvbT2_NS_24const_host_device_scalarIT6_EEPKT1_S7_PKS1_PKT3_PKT4_S4_PT5_21rocsparse_index_base_b
    .private_segment_fixed_size: 0
    .sgpr_count:     39
    .sgpr_spill_count: 0
    .symbol:         _ZN9rocsparseL21csrmvn_general_kernelILj256ELj4EliaaiiEEvbT2_NS_24const_host_device_scalarIT6_EEPKT1_S7_PKS1_PKT3_PKT4_S4_PT5_21rocsparse_index_base_b.kd
    .uniform_work_group_size: 1
    .uses_dynamic_stack: false
    .vgpr_count:     39
    .vgpr_spill_count: 0
    .wavefront_size: 64
  - .agpr_count:     0
    .args:
      - .offset:         0
        .size:           1
        .value_kind:     by_value
      - .offset:         4
        .size:           4
        .value_kind:     by_value
      - .offset:         8
        .size:           8
        .value_kind:     by_value
      - .address_space:  global
        .offset:         16
        .size:           8
        .value_kind:     global_buffer
      - .address_space:  global
        .offset:         24
        .size:           8
        .value_kind:     global_buffer
      - .actual_access:  read_only
        .address_space:  global
        .offset:         32
        .size:           8
        .value_kind:     global_buffer
      - .actual_access:  read_only
        .address_space:  global
        .offset:         40
        .size:           8
        .value_kind:     global_buffer
      - .actual_access:  read_only
        .address_space:  global
        .offset:         48
        .size:           8
        .value_kind:     global_buffer
      - .offset:         56
        .size:           8
        .value_kind:     by_value
      - .address_space:  global
        .offset:         64
        .size:           8
        .value_kind:     global_buffer
      - .offset:         72
        .size:           4
        .value_kind:     by_value
      - .offset:         76
        .size:           1
        .value_kind:     by_value
      - .offset:         80
        .size:           4
        .value_kind:     hidden_block_count_x
      - .offset:         84
        .size:           4
        .value_kind:     hidden_block_count_y
      - .offset:         88
        .size:           4
        .value_kind:     hidden_block_count_z
      - .offset:         92
        .size:           2
        .value_kind:     hidden_group_size_x
      - .offset:         94
        .size:           2
        .value_kind:     hidden_group_size_y
      - .offset:         96
        .size:           2
        .value_kind:     hidden_group_size_z
      - .offset:         98
        .size:           2
        .value_kind:     hidden_remainder_x
      - .offset:         100
        .size:           2
        .value_kind:     hidden_remainder_y
      - .offset:         102
        .size:           2
        .value_kind:     hidden_remainder_z
      - .offset:         120
        .size:           8
        .value_kind:     hidden_global_offset_x
      - .offset:         128
        .size:           8
        .value_kind:     hidden_global_offset_y
      - .offset:         136
        .size:           8
        .value_kind:     hidden_global_offset_z
      - .offset:         144
        .size:           2
        .value_kind:     hidden_grid_dims
    .group_segment_fixed_size: 0
    .kernarg_segment_align: 8
    .kernarg_segment_size: 336
    .language:       OpenCL C
    .language_version:
      - 2
      - 0
    .max_flat_workgroup_size: 256
    .name:           _ZN9rocsparseL21csrmvn_general_kernelILj256ELj8EliaaiiEEvbT2_NS_24const_host_device_scalarIT6_EEPKT1_S7_PKS1_PKT3_PKT4_S4_PT5_21rocsparse_index_base_b
    .private_segment_fixed_size: 0
    .sgpr_count:     39
    .sgpr_spill_count: 0
    .symbol:         _ZN9rocsparseL21csrmvn_general_kernelILj256ELj8EliaaiiEEvbT2_NS_24const_host_device_scalarIT6_EEPKT1_S7_PKS1_PKT3_PKT4_S4_PT5_21rocsparse_index_base_b.kd
    .uniform_work_group_size: 1
    .uses_dynamic_stack: false
    .vgpr_count:     39
    .vgpr_spill_count: 0
    .wavefront_size: 64
  - .agpr_count:     0
    .args:
      - .offset:         0
        .size:           1
        .value_kind:     by_value
      - .offset:         4
        .size:           4
        .value_kind:     by_value
      - .offset:         8
        .size:           8
        .value_kind:     by_value
      - .address_space:  global
        .offset:         16
        .size:           8
        .value_kind:     global_buffer
      - .address_space:  global
        .offset:         24
        .size:           8
        .value_kind:     global_buffer
      - .actual_access:  read_only
        .address_space:  global
        .offset:         32
        .size:           8
        .value_kind:     global_buffer
      - .actual_access:  read_only
        .address_space:  global
        .offset:         40
        .size:           8
        .value_kind:     global_buffer
      - .actual_access:  read_only
        .address_space:  global
        .offset:         48
        .size:           8
        .value_kind:     global_buffer
      - .offset:         56
        .size:           8
        .value_kind:     by_value
      - .address_space:  global
        .offset:         64
        .size:           8
        .value_kind:     global_buffer
      - .offset:         72
        .size:           4
        .value_kind:     by_value
      - .offset:         76
        .size:           1
        .value_kind:     by_value
      - .offset:         80
        .size:           4
        .value_kind:     hidden_block_count_x
      - .offset:         84
        .size:           4
        .value_kind:     hidden_block_count_y
      - .offset:         88
        .size:           4
        .value_kind:     hidden_block_count_z
      - .offset:         92
        .size:           2
        .value_kind:     hidden_group_size_x
      - .offset:         94
        .size:           2
        .value_kind:     hidden_group_size_y
      - .offset:         96
        .size:           2
        .value_kind:     hidden_group_size_z
      - .offset:         98
        .size:           2
        .value_kind:     hidden_remainder_x
      - .offset:         100
        .size:           2
        .value_kind:     hidden_remainder_y
      - .offset:         102
        .size:           2
        .value_kind:     hidden_remainder_z
      - .offset:         120
        .size:           8
        .value_kind:     hidden_global_offset_x
      - .offset:         128
        .size:           8
        .value_kind:     hidden_global_offset_y
      - .offset:         136
        .size:           8
        .value_kind:     hidden_global_offset_z
      - .offset:         144
        .size:           2
        .value_kind:     hidden_grid_dims
    .group_segment_fixed_size: 0
    .kernarg_segment_align: 8
    .kernarg_segment_size: 336
    .language:       OpenCL C
    .language_version:
      - 2
      - 0
    .max_flat_workgroup_size: 256
    .name:           _ZN9rocsparseL21csrmvn_general_kernelILj256ELj16EliaaiiEEvbT2_NS_24const_host_device_scalarIT6_EEPKT1_S7_PKS1_PKT3_PKT4_S4_PT5_21rocsparse_index_base_b
    .private_segment_fixed_size: 0
    .sgpr_count:     39
    .sgpr_spill_count: 0
    .symbol:         _ZN9rocsparseL21csrmvn_general_kernelILj256ELj16EliaaiiEEvbT2_NS_24const_host_device_scalarIT6_EEPKT1_S7_PKS1_PKT3_PKT4_S4_PT5_21rocsparse_index_base_b.kd
    .uniform_work_group_size: 1
    .uses_dynamic_stack: false
    .vgpr_count:     39
    .vgpr_spill_count: 0
    .wavefront_size: 64
  - .agpr_count:     0
    .args:
      - .offset:         0
        .size:           1
        .value_kind:     by_value
      - .offset:         4
        .size:           4
        .value_kind:     by_value
      - .offset:         8
        .size:           8
        .value_kind:     by_value
      - .address_space:  global
        .offset:         16
        .size:           8
        .value_kind:     global_buffer
      - .address_space:  global
        .offset:         24
        .size:           8
        .value_kind:     global_buffer
      - .actual_access:  read_only
        .address_space:  global
        .offset:         32
        .size:           8
        .value_kind:     global_buffer
      - .actual_access:  read_only
        .address_space:  global
        .offset:         40
        .size:           8
        .value_kind:     global_buffer
      - .actual_access:  read_only
        .address_space:  global
        .offset:         48
        .size:           8
        .value_kind:     global_buffer
      - .offset:         56
        .size:           8
        .value_kind:     by_value
      - .address_space:  global
        .offset:         64
        .size:           8
        .value_kind:     global_buffer
      - .offset:         72
        .size:           4
        .value_kind:     by_value
      - .offset:         76
        .size:           1
        .value_kind:     by_value
      - .offset:         80
        .size:           4
        .value_kind:     hidden_block_count_x
      - .offset:         84
        .size:           4
        .value_kind:     hidden_block_count_y
      - .offset:         88
        .size:           4
        .value_kind:     hidden_block_count_z
      - .offset:         92
        .size:           2
        .value_kind:     hidden_group_size_x
      - .offset:         94
        .size:           2
        .value_kind:     hidden_group_size_y
      - .offset:         96
        .size:           2
        .value_kind:     hidden_group_size_z
      - .offset:         98
        .size:           2
        .value_kind:     hidden_remainder_x
      - .offset:         100
        .size:           2
        .value_kind:     hidden_remainder_y
      - .offset:         102
        .size:           2
        .value_kind:     hidden_remainder_z
      - .offset:         120
        .size:           8
        .value_kind:     hidden_global_offset_x
      - .offset:         128
        .size:           8
        .value_kind:     hidden_global_offset_y
      - .offset:         136
        .size:           8
        .value_kind:     hidden_global_offset_z
      - .offset:         144
        .size:           2
        .value_kind:     hidden_grid_dims
    .group_segment_fixed_size: 0
    .kernarg_segment_align: 8
    .kernarg_segment_size: 336
    .language:       OpenCL C
    .language_version:
      - 2
      - 0
    .max_flat_workgroup_size: 256
    .name:           _ZN9rocsparseL21csrmvn_general_kernelILj256ELj32EliaaiiEEvbT2_NS_24const_host_device_scalarIT6_EEPKT1_S7_PKS1_PKT3_PKT4_S4_PT5_21rocsparse_index_base_b
    .private_segment_fixed_size: 0
    .sgpr_count:     39
    .sgpr_spill_count: 0
    .symbol:         _ZN9rocsparseL21csrmvn_general_kernelILj256ELj32EliaaiiEEvbT2_NS_24const_host_device_scalarIT6_EEPKT1_S7_PKS1_PKT3_PKT4_S4_PT5_21rocsparse_index_base_b.kd
    .uniform_work_group_size: 1
    .uses_dynamic_stack: false
    .vgpr_count:     39
    .vgpr_spill_count: 0
    .wavefront_size: 64
  - .agpr_count:     0
    .args:
      - .offset:         0
        .size:           1
        .value_kind:     by_value
      - .offset:         4
        .size:           4
        .value_kind:     by_value
      - .offset:         8
        .size:           8
        .value_kind:     by_value
      - .address_space:  global
        .offset:         16
        .size:           8
        .value_kind:     global_buffer
      - .address_space:  global
        .offset:         24
        .size:           8
        .value_kind:     global_buffer
      - .actual_access:  read_only
        .address_space:  global
        .offset:         32
        .size:           8
        .value_kind:     global_buffer
      - .actual_access:  read_only
        .address_space:  global
        .offset:         40
        .size:           8
        .value_kind:     global_buffer
      - .actual_access:  read_only
        .address_space:  global
        .offset:         48
        .size:           8
        .value_kind:     global_buffer
      - .offset:         56
        .size:           8
        .value_kind:     by_value
      - .address_space:  global
        .offset:         64
        .size:           8
        .value_kind:     global_buffer
      - .offset:         72
        .size:           4
        .value_kind:     by_value
      - .offset:         76
        .size:           1
        .value_kind:     by_value
      - .offset:         80
        .size:           4
        .value_kind:     hidden_block_count_x
      - .offset:         84
        .size:           4
        .value_kind:     hidden_block_count_y
      - .offset:         88
        .size:           4
        .value_kind:     hidden_block_count_z
      - .offset:         92
        .size:           2
        .value_kind:     hidden_group_size_x
      - .offset:         94
        .size:           2
        .value_kind:     hidden_group_size_y
      - .offset:         96
        .size:           2
        .value_kind:     hidden_group_size_z
      - .offset:         98
        .size:           2
        .value_kind:     hidden_remainder_x
      - .offset:         100
        .size:           2
        .value_kind:     hidden_remainder_y
      - .offset:         102
        .size:           2
        .value_kind:     hidden_remainder_z
      - .offset:         120
        .size:           8
        .value_kind:     hidden_global_offset_x
      - .offset:         128
        .size:           8
        .value_kind:     hidden_global_offset_y
      - .offset:         136
        .size:           8
        .value_kind:     hidden_global_offset_z
      - .offset:         144
        .size:           2
        .value_kind:     hidden_grid_dims
    .group_segment_fixed_size: 0
    .kernarg_segment_align: 8
    .kernarg_segment_size: 336
    .language:       OpenCL C
    .language_version:
      - 2
      - 0
    .max_flat_workgroup_size: 256
    .name:           _ZN9rocsparseL21csrmvn_general_kernelILj256ELj64EliaaiiEEvbT2_NS_24const_host_device_scalarIT6_EEPKT1_S7_PKS1_PKT3_PKT4_S4_PT5_21rocsparse_index_base_b
    .private_segment_fixed_size: 0
    .sgpr_count:     39
    .sgpr_spill_count: 0
    .symbol:         _ZN9rocsparseL21csrmvn_general_kernelILj256ELj64EliaaiiEEvbT2_NS_24const_host_device_scalarIT6_EEPKT1_S7_PKS1_PKT3_PKT4_S4_PT5_21rocsparse_index_base_b.kd
    .uniform_work_group_size: 1
    .uses_dynamic_stack: false
    .vgpr_count:     39
    .vgpr_spill_count: 0
    .wavefront_size: 64
  - .agpr_count:     0
    .args:
      - .offset:         0
        .size:           1
        .value_kind:     by_value
      - .offset:         1
        .size:           1
        .value_kind:     by_value
      - .offset:         4
        .size:           4
        .value_kind:     by_value
      - .offset:         8
        .size:           8
        .value_kind:     by_value
      - .address_space:  global
        .offset:         16
        .size:           8
        .value_kind:     global_buffer
      - .address_space:  global
        .offset:         24
        .size:           8
        .value_kind:     global_buffer
      - .actual_access:  read_only
        .address_space:  global
        .offset:         32
        .size:           8
        .value_kind:     global_buffer
      - .actual_access:  read_only
        .address_space:  global
        .offset:         40
        .size:           8
        .value_kind:     global_buffer
      - .actual_access:  read_only
        .address_space:  global
        .offset:         48
        .size:           8
        .value_kind:     global_buffer
      - .address_space:  global
        .offset:         56
        .size:           8
        .value_kind:     global_buffer
      - .offset:         64
        .size:           4
        .value_kind:     by_value
      - .offset:         68
        .size:           1
        .value_kind:     by_value
      - .offset:         72
        .size:           4
        .value_kind:     hidden_block_count_x
      - .offset:         76
        .size:           4
        .value_kind:     hidden_block_count_y
      - .offset:         80
        .size:           4
        .value_kind:     hidden_block_count_z
      - .offset:         84
        .size:           2
        .value_kind:     hidden_group_size_x
      - .offset:         86
        .size:           2
        .value_kind:     hidden_group_size_y
      - .offset:         88
        .size:           2
        .value_kind:     hidden_group_size_z
      - .offset:         90
        .size:           2
        .value_kind:     hidden_remainder_x
      - .offset:         92
        .size:           2
        .value_kind:     hidden_remainder_y
      - .offset:         94
        .size:           2
        .value_kind:     hidden_remainder_z
      - .offset:         112
        .size:           8
        .value_kind:     hidden_global_offset_x
      - .offset:         120
        .size:           8
        .value_kind:     hidden_global_offset_y
      - .offset:         128
        .size:           8
        .value_kind:     hidden_global_offset_z
      - .offset:         136
        .size:           2
        .value_kind:     hidden_grid_dims
    .group_segment_fixed_size: 0
    .kernarg_segment_align: 8
    .kernarg_segment_size: 328
    .language:       OpenCL C
    .language_version:
      - 2
      - 0
    .max_flat_workgroup_size: 256
    .name:           _ZN9rocsparseL21csrmvt_general_kernelILj256ELj4EliaaiiEEvbbT2_NS_24const_host_device_scalarIT6_EEPKT1_S7_PKS1_PKT3_PKT4_PT5_21rocsparse_index_base_b
    .private_segment_fixed_size: 0
    .sgpr_count:     32
    .sgpr_spill_count: 0
    .symbol:         _ZN9rocsparseL21csrmvt_general_kernelILj256ELj4EliaaiiEEvbbT2_NS_24const_host_device_scalarIT6_EEPKT1_S7_PKS1_PKT3_PKT4_PT5_21rocsparse_index_base_b.kd
    .uniform_work_group_size: 1
    .uses_dynamic_stack: false
    .vgpr_count:     20
    .vgpr_spill_count: 0
    .wavefront_size: 64
  - .agpr_count:     0
    .args:
      - .offset:         0
        .size:           1
        .value_kind:     by_value
      - .offset:         1
        .size:           1
        .value_kind:     by_value
      - .offset:         4
        .size:           4
        .value_kind:     by_value
      - .offset:         8
        .size:           8
        .value_kind:     by_value
      - .address_space:  global
        .offset:         16
        .size:           8
        .value_kind:     global_buffer
      - .address_space:  global
        .offset:         24
        .size:           8
        .value_kind:     global_buffer
      - .actual_access:  read_only
        .address_space:  global
        .offset:         32
        .size:           8
        .value_kind:     global_buffer
      - .actual_access:  read_only
        .address_space:  global
        .offset:         40
        .size:           8
        .value_kind:     global_buffer
      - .actual_access:  read_only
        .address_space:  global
        .offset:         48
        .size:           8
        .value_kind:     global_buffer
      - .address_space:  global
        .offset:         56
        .size:           8
        .value_kind:     global_buffer
      - .offset:         64
        .size:           4
        .value_kind:     by_value
      - .offset:         68
        .size:           1
        .value_kind:     by_value
      - .offset:         72
        .size:           4
        .value_kind:     hidden_block_count_x
      - .offset:         76
        .size:           4
        .value_kind:     hidden_block_count_y
      - .offset:         80
        .size:           4
        .value_kind:     hidden_block_count_z
      - .offset:         84
        .size:           2
        .value_kind:     hidden_group_size_x
      - .offset:         86
        .size:           2
        .value_kind:     hidden_group_size_y
      - .offset:         88
        .size:           2
        .value_kind:     hidden_group_size_z
      - .offset:         90
        .size:           2
        .value_kind:     hidden_remainder_x
      - .offset:         92
        .size:           2
        .value_kind:     hidden_remainder_y
      - .offset:         94
        .size:           2
        .value_kind:     hidden_remainder_z
      - .offset:         112
        .size:           8
        .value_kind:     hidden_global_offset_x
      - .offset:         120
        .size:           8
        .value_kind:     hidden_global_offset_y
      - .offset:         128
        .size:           8
        .value_kind:     hidden_global_offset_z
      - .offset:         136
        .size:           2
        .value_kind:     hidden_grid_dims
    .group_segment_fixed_size: 0
    .kernarg_segment_align: 8
    .kernarg_segment_size: 328
    .language:       OpenCL C
    .language_version:
      - 2
      - 0
    .max_flat_workgroup_size: 256
    .name:           _ZN9rocsparseL21csrmvt_general_kernelILj256ELj8EliaaiiEEvbbT2_NS_24const_host_device_scalarIT6_EEPKT1_S7_PKS1_PKT3_PKT4_PT5_21rocsparse_index_base_b
    .private_segment_fixed_size: 0
    .sgpr_count:     32
    .sgpr_spill_count: 0
    .symbol:         _ZN9rocsparseL21csrmvt_general_kernelILj256ELj8EliaaiiEEvbbT2_NS_24const_host_device_scalarIT6_EEPKT1_S7_PKS1_PKT3_PKT4_PT5_21rocsparse_index_base_b.kd
    .uniform_work_group_size: 1
    .uses_dynamic_stack: false
    .vgpr_count:     20
    .vgpr_spill_count: 0
    .wavefront_size: 64
  - .agpr_count:     0
    .args:
      - .offset:         0
        .size:           1
        .value_kind:     by_value
      - .offset:         1
        .size:           1
        .value_kind:     by_value
      - .offset:         4
        .size:           4
        .value_kind:     by_value
      - .offset:         8
        .size:           8
        .value_kind:     by_value
      - .address_space:  global
        .offset:         16
        .size:           8
        .value_kind:     global_buffer
      - .address_space:  global
        .offset:         24
        .size:           8
        .value_kind:     global_buffer
      - .actual_access:  read_only
        .address_space:  global
        .offset:         32
        .size:           8
        .value_kind:     global_buffer
      - .actual_access:  read_only
        .address_space:  global
        .offset:         40
        .size:           8
        .value_kind:     global_buffer
      - .actual_access:  read_only
        .address_space:  global
        .offset:         48
        .size:           8
        .value_kind:     global_buffer
      - .address_space:  global
        .offset:         56
        .size:           8
        .value_kind:     global_buffer
      - .offset:         64
        .size:           4
        .value_kind:     by_value
      - .offset:         68
        .size:           1
        .value_kind:     by_value
      - .offset:         72
        .size:           4
        .value_kind:     hidden_block_count_x
      - .offset:         76
        .size:           4
        .value_kind:     hidden_block_count_y
      - .offset:         80
        .size:           4
        .value_kind:     hidden_block_count_z
      - .offset:         84
        .size:           2
        .value_kind:     hidden_group_size_x
      - .offset:         86
        .size:           2
        .value_kind:     hidden_group_size_y
      - .offset:         88
        .size:           2
        .value_kind:     hidden_group_size_z
      - .offset:         90
        .size:           2
        .value_kind:     hidden_remainder_x
      - .offset:         92
        .size:           2
        .value_kind:     hidden_remainder_y
      - .offset:         94
        .size:           2
        .value_kind:     hidden_remainder_z
      - .offset:         112
        .size:           8
        .value_kind:     hidden_global_offset_x
      - .offset:         120
        .size:           8
        .value_kind:     hidden_global_offset_y
      - .offset:         128
        .size:           8
        .value_kind:     hidden_global_offset_z
      - .offset:         136
        .size:           2
        .value_kind:     hidden_grid_dims
    .group_segment_fixed_size: 0
    .kernarg_segment_align: 8
    .kernarg_segment_size: 328
    .language:       OpenCL C
    .language_version:
      - 2
      - 0
    .max_flat_workgroup_size: 256
    .name:           _ZN9rocsparseL21csrmvt_general_kernelILj256ELj16EliaaiiEEvbbT2_NS_24const_host_device_scalarIT6_EEPKT1_S7_PKS1_PKT3_PKT4_PT5_21rocsparse_index_base_b
    .private_segment_fixed_size: 0
    .sgpr_count:     32
    .sgpr_spill_count: 0
    .symbol:         _ZN9rocsparseL21csrmvt_general_kernelILj256ELj16EliaaiiEEvbbT2_NS_24const_host_device_scalarIT6_EEPKT1_S7_PKS1_PKT3_PKT4_PT5_21rocsparse_index_base_b.kd
    .uniform_work_group_size: 1
    .uses_dynamic_stack: false
    .vgpr_count:     20
    .vgpr_spill_count: 0
    .wavefront_size: 64
  - .agpr_count:     0
    .args:
      - .offset:         0
        .size:           1
        .value_kind:     by_value
      - .offset:         1
        .size:           1
        .value_kind:     by_value
      - .offset:         4
        .size:           4
        .value_kind:     by_value
      - .offset:         8
        .size:           8
        .value_kind:     by_value
      - .address_space:  global
        .offset:         16
        .size:           8
        .value_kind:     global_buffer
      - .address_space:  global
        .offset:         24
        .size:           8
        .value_kind:     global_buffer
      - .actual_access:  read_only
        .address_space:  global
        .offset:         32
        .size:           8
        .value_kind:     global_buffer
      - .actual_access:  read_only
        .address_space:  global
        .offset:         40
        .size:           8
        .value_kind:     global_buffer
      - .actual_access:  read_only
        .address_space:  global
        .offset:         48
        .size:           8
        .value_kind:     global_buffer
      - .address_space:  global
        .offset:         56
        .size:           8
        .value_kind:     global_buffer
      - .offset:         64
        .size:           4
        .value_kind:     by_value
      - .offset:         68
        .size:           1
        .value_kind:     by_value
      - .offset:         72
        .size:           4
        .value_kind:     hidden_block_count_x
      - .offset:         76
        .size:           4
        .value_kind:     hidden_block_count_y
      - .offset:         80
        .size:           4
        .value_kind:     hidden_block_count_z
      - .offset:         84
        .size:           2
        .value_kind:     hidden_group_size_x
      - .offset:         86
        .size:           2
        .value_kind:     hidden_group_size_y
      - .offset:         88
        .size:           2
        .value_kind:     hidden_group_size_z
      - .offset:         90
        .size:           2
        .value_kind:     hidden_remainder_x
      - .offset:         92
        .size:           2
        .value_kind:     hidden_remainder_y
      - .offset:         94
        .size:           2
        .value_kind:     hidden_remainder_z
      - .offset:         112
        .size:           8
        .value_kind:     hidden_global_offset_x
      - .offset:         120
        .size:           8
        .value_kind:     hidden_global_offset_y
      - .offset:         128
        .size:           8
        .value_kind:     hidden_global_offset_z
      - .offset:         136
        .size:           2
        .value_kind:     hidden_grid_dims
    .group_segment_fixed_size: 0
    .kernarg_segment_align: 8
    .kernarg_segment_size: 328
    .language:       OpenCL C
    .language_version:
      - 2
      - 0
    .max_flat_workgroup_size: 256
    .name:           _ZN9rocsparseL21csrmvt_general_kernelILj256ELj32EliaaiiEEvbbT2_NS_24const_host_device_scalarIT6_EEPKT1_S7_PKS1_PKT3_PKT4_PT5_21rocsparse_index_base_b
    .private_segment_fixed_size: 0
    .sgpr_count:     32
    .sgpr_spill_count: 0
    .symbol:         _ZN9rocsparseL21csrmvt_general_kernelILj256ELj32EliaaiiEEvbbT2_NS_24const_host_device_scalarIT6_EEPKT1_S7_PKS1_PKT3_PKT4_PT5_21rocsparse_index_base_b.kd
    .uniform_work_group_size: 1
    .uses_dynamic_stack: false
    .vgpr_count:     20
    .vgpr_spill_count: 0
    .wavefront_size: 64
  - .agpr_count:     0
    .args:
      - .offset:         0
        .size:           1
        .value_kind:     by_value
      - .offset:         1
        .size:           1
        .value_kind:     by_value
      - .offset:         4
        .size:           4
        .value_kind:     by_value
      - .offset:         8
        .size:           8
        .value_kind:     by_value
      - .address_space:  global
        .offset:         16
        .size:           8
        .value_kind:     global_buffer
      - .address_space:  global
        .offset:         24
        .size:           8
        .value_kind:     global_buffer
      - .actual_access:  read_only
        .address_space:  global
        .offset:         32
        .size:           8
        .value_kind:     global_buffer
      - .actual_access:  read_only
        .address_space:  global
        .offset:         40
        .size:           8
        .value_kind:     global_buffer
      - .actual_access:  read_only
        .address_space:  global
        .offset:         48
        .size:           8
        .value_kind:     global_buffer
      - .address_space:  global
        .offset:         56
        .size:           8
        .value_kind:     global_buffer
      - .offset:         64
        .size:           4
        .value_kind:     by_value
      - .offset:         68
        .size:           1
        .value_kind:     by_value
      - .offset:         72
        .size:           4
        .value_kind:     hidden_block_count_x
      - .offset:         76
        .size:           4
        .value_kind:     hidden_block_count_y
      - .offset:         80
        .size:           4
        .value_kind:     hidden_block_count_z
      - .offset:         84
        .size:           2
        .value_kind:     hidden_group_size_x
      - .offset:         86
        .size:           2
        .value_kind:     hidden_group_size_y
      - .offset:         88
        .size:           2
        .value_kind:     hidden_group_size_z
      - .offset:         90
        .size:           2
        .value_kind:     hidden_remainder_x
      - .offset:         92
        .size:           2
        .value_kind:     hidden_remainder_y
      - .offset:         94
        .size:           2
        .value_kind:     hidden_remainder_z
      - .offset:         112
        .size:           8
        .value_kind:     hidden_global_offset_x
      - .offset:         120
        .size:           8
        .value_kind:     hidden_global_offset_y
      - .offset:         128
        .size:           8
        .value_kind:     hidden_global_offset_z
      - .offset:         136
        .size:           2
        .value_kind:     hidden_grid_dims
    .group_segment_fixed_size: 0
    .kernarg_segment_align: 8
    .kernarg_segment_size: 328
    .language:       OpenCL C
    .language_version:
      - 2
      - 0
    .max_flat_workgroup_size: 256
    .name:           _ZN9rocsparseL21csrmvt_general_kernelILj256ELj64EliaaiiEEvbbT2_NS_24const_host_device_scalarIT6_EEPKT1_S7_PKS1_PKT3_PKT4_PT5_21rocsparse_index_base_b
    .private_segment_fixed_size: 0
    .sgpr_count:     32
    .sgpr_spill_count: 0
    .symbol:         _ZN9rocsparseL21csrmvt_general_kernelILj256ELj64EliaaiiEEvbbT2_NS_24const_host_device_scalarIT6_EEPKT1_S7_PKS1_PKT3_PKT4_PT5_21rocsparse_index_base_b.kd
    .uniform_work_group_size: 1
    .uses_dynamic_stack: false
    .vgpr_count:     20
    .vgpr_spill_count: 0
    .wavefront_size: 64
  - .agpr_count:     0
    .args:
      - .offset:         0
        .size:           1
        .value_kind:     by_value
      - .offset:         8
        .size:           8
        .value_kind:     by_value
      - .offset:         16
        .size:           8
        .value_kind:     by_value
      - .address_space:  global
        .offset:         24
        .size:           8
        .value_kind:     global_buffer
      - .address_space:  global
        .offset:         32
        .size:           8
        .value_kind:     global_buffer
      - .actual_access:  read_only
        .address_space:  global
        .offset:         40
        .size:           8
        .value_kind:     global_buffer
      - .actual_access:  read_only
        .address_space:  global
        .offset:         48
        .size:           8
        .value_kind:     global_buffer
      - .actual_access:  read_only
        .address_space:  global
        .offset:         56
        .size:           8
        .value_kind:     global_buffer
      - .offset:         64
        .size:           8
        .value_kind:     by_value
      - .address_space:  global
        .offset:         72
        .size:           8
        .value_kind:     global_buffer
      - .offset:         80
        .size:           4
        .value_kind:     by_value
      - .offset:         84
        .size:           1
        .value_kind:     by_value
      - .offset:         88
        .size:           4
        .value_kind:     hidden_block_count_x
      - .offset:         92
        .size:           4
        .value_kind:     hidden_block_count_y
      - .offset:         96
        .size:           4
        .value_kind:     hidden_block_count_z
      - .offset:         100
        .size:           2
        .value_kind:     hidden_group_size_x
      - .offset:         102
        .size:           2
        .value_kind:     hidden_group_size_y
      - .offset:         104
        .size:           2
        .value_kind:     hidden_group_size_z
      - .offset:         106
        .size:           2
        .value_kind:     hidden_remainder_x
      - .offset:         108
        .size:           2
        .value_kind:     hidden_remainder_y
      - .offset:         110
        .size:           2
        .value_kind:     hidden_remainder_z
      - .offset:         128
        .size:           8
        .value_kind:     hidden_global_offset_x
      - .offset:         136
        .size:           8
        .value_kind:     hidden_global_offset_y
      - .offset:         144
        .size:           8
        .value_kind:     hidden_global_offset_z
      - .offset:         152
        .size:           2
        .value_kind:     hidden_grid_dims
    .group_segment_fixed_size: 0
    .kernarg_segment_align: 8
    .kernarg_segment_size: 344
    .language:       OpenCL C
    .language_version:
      - 2
      - 0
    .max_flat_workgroup_size: 256
    .name:           _ZN9rocsparseL21csrmvn_general_kernelILj256ELj2EllaaiiEEvbT2_NS_24const_host_device_scalarIT6_EEPKT1_S7_PKS1_PKT3_PKT4_S4_PT5_21rocsparse_index_base_b
    .private_segment_fixed_size: 0
    .sgpr_count:     34
    .sgpr_spill_count: 0
    .symbol:         _ZN9rocsparseL21csrmvn_general_kernelILj256ELj2EllaaiiEEvbT2_NS_24const_host_device_scalarIT6_EEPKT1_S7_PKS1_PKT3_PKT4_S4_PT5_21rocsparse_index_base_b.kd
    .uniform_work_group_size: 1
    .uses_dynamic_stack: false
    .vgpr_count:     21
    .vgpr_spill_count: 0
    .wavefront_size: 64
  - .agpr_count:     0
    .args:
      - .offset:         0
        .size:           1
        .value_kind:     by_value
      - .offset:         8
        .size:           8
        .value_kind:     by_value
      - .offset:         16
        .size:           8
        .value_kind:     by_value
      - .address_space:  global
        .offset:         24
        .size:           8
        .value_kind:     global_buffer
      - .address_space:  global
        .offset:         32
        .size:           8
        .value_kind:     global_buffer
      - .actual_access:  read_only
        .address_space:  global
        .offset:         40
        .size:           8
        .value_kind:     global_buffer
      - .actual_access:  read_only
        .address_space:  global
        .offset:         48
        .size:           8
        .value_kind:     global_buffer
      - .actual_access:  read_only
        .address_space:  global
        .offset:         56
        .size:           8
        .value_kind:     global_buffer
      - .offset:         64
        .size:           8
        .value_kind:     by_value
      - .address_space:  global
        .offset:         72
        .size:           8
        .value_kind:     global_buffer
      - .offset:         80
        .size:           4
        .value_kind:     by_value
      - .offset:         84
        .size:           1
        .value_kind:     by_value
      - .offset:         88
        .size:           4
        .value_kind:     hidden_block_count_x
      - .offset:         92
        .size:           4
        .value_kind:     hidden_block_count_y
      - .offset:         96
        .size:           4
        .value_kind:     hidden_block_count_z
      - .offset:         100
        .size:           2
        .value_kind:     hidden_group_size_x
      - .offset:         102
        .size:           2
        .value_kind:     hidden_group_size_y
      - .offset:         104
        .size:           2
        .value_kind:     hidden_group_size_z
      - .offset:         106
        .size:           2
        .value_kind:     hidden_remainder_x
      - .offset:         108
        .size:           2
        .value_kind:     hidden_remainder_y
      - .offset:         110
        .size:           2
        .value_kind:     hidden_remainder_z
      - .offset:         128
        .size:           8
        .value_kind:     hidden_global_offset_x
      - .offset:         136
        .size:           8
        .value_kind:     hidden_global_offset_y
      - .offset:         144
        .size:           8
        .value_kind:     hidden_global_offset_z
      - .offset:         152
        .size:           2
        .value_kind:     hidden_grid_dims
    .group_segment_fixed_size: 0
    .kernarg_segment_align: 8
    .kernarg_segment_size: 344
    .language:       OpenCL C
    .language_version:
      - 2
      - 0
    .max_flat_workgroup_size: 256
    .name:           _ZN9rocsparseL21csrmvn_general_kernelILj256ELj4EllaaiiEEvbT2_NS_24const_host_device_scalarIT6_EEPKT1_S7_PKS1_PKT3_PKT4_S4_PT5_21rocsparse_index_base_b
    .private_segment_fixed_size: 0
    .sgpr_count:     34
    .sgpr_spill_count: 0
    .symbol:         _ZN9rocsparseL21csrmvn_general_kernelILj256ELj4EllaaiiEEvbT2_NS_24const_host_device_scalarIT6_EEPKT1_S7_PKS1_PKT3_PKT4_S4_PT5_21rocsparse_index_base_b.kd
    .uniform_work_group_size: 1
    .uses_dynamic_stack: false
    .vgpr_count:     21
    .vgpr_spill_count: 0
    .wavefront_size: 64
  - .agpr_count:     0
    .args:
      - .offset:         0
        .size:           1
        .value_kind:     by_value
      - .offset:         8
        .size:           8
        .value_kind:     by_value
      - .offset:         16
        .size:           8
        .value_kind:     by_value
      - .address_space:  global
        .offset:         24
        .size:           8
        .value_kind:     global_buffer
      - .address_space:  global
        .offset:         32
        .size:           8
        .value_kind:     global_buffer
      - .actual_access:  read_only
        .address_space:  global
        .offset:         40
        .size:           8
        .value_kind:     global_buffer
      - .actual_access:  read_only
        .address_space:  global
        .offset:         48
        .size:           8
        .value_kind:     global_buffer
      - .actual_access:  read_only
        .address_space:  global
        .offset:         56
        .size:           8
        .value_kind:     global_buffer
      - .offset:         64
        .size:           8
        .value_kind:     by_value
      - .address_space:  global
        .offset:         72
        .size:           8
        .value_kind:     global_buffer
      - .offset:         80
        .size:           4
        .value_kind:     by_value
      - .offset:         84
        .size:           1
        .value_kind:     by_value
      - .offset:         88
        .size:           4
        .value_kind:     hidden_block_count_x
      - .offset:         92
        .size:           4
        .value_kind:     hidden_block_count_y
      - .offset:         96
        .size:           4
        .value_kind:     hidden_block_count_z
      - .offset:         100
        .size:           2
        .value_kind:     hidden_group_size_x
      - .offset:         102
        .size:           2
        .value_kind:     hidden_group_size_y
      - .offset:         104
        .size:           2
        .value_kind:     hidden_group_size_z
      - .offset:         106
        .size:           2
        .value_kind:     hidden_remainder_x
      - .offset:         108
        .size:           2
        .value_kind:     hidden_remainder_y
      - .offset:         110
        .size:           2
        .value_kind:     hidden_remainder_z
      - .offset:         128
        .size:           8
        .value_kind:     hidden_global_offset_x
      - .offset:         136
        .size:           8
        .value_kind:     hidden_global_offset_y
      - .offset:         144
        .size:           8
        .value_kind:     hidden_global_offset_z
      - .offset:         152
        .size:           2
        .value_kind:     hidden_grid_dims
    .group_segment_fixed_size: 0
    .kernarg_segment_align: 8
    .kernarg_segment_size: 344
    .language:       OpenCL C
    .language_version:
      - 2
      - 0
    .max_flat_workgroup_size: 256
    .name:           _ZN9rocsparseL21csrmvn_general_kernelILj256ELj8EllaaiiEEvbT2_NS_24const_host_device_scalarIT6_EEPKT1_S7_PKS1_PKT3_PKT4_S4_PT5_21rocsparse_index_base_b
    .private_segment_fixed_size: 0
    .sgpr_count:     34
    .sgpr_spill_count: 0
    .symbol:         _ZN9rocsparseL21csrmvn_general_kernelILj256ELj8EllaaiiEEvbT2_NS_24const_host_device_scalarIT6_EEPKT1_S7_PKS1_PKT3_PKT4_S4_PT5_21rocsparse_index_base_b.kd
    .uniform_work_group_size: 1
    .uses_dynamic_stack: false
    .vgpr_count:     21
    .vgpr_spill_count: 0
    .wavefront_size: 64
  - .agpr_count:     0
    .args:
      - .offset:         0
        .size:           1
        .value_kind:     by_value
      - .offset:         8
        .size:           8
        .value_kind:     by_value
      - .offset:         16
        .size:           8
        .value_kind:     by_value
      - .address_space:  global
        .offset:         24
        .size:           8
        .value_kind:     global_buffer
      - .address_space:  global
        .offset:         32
        .size:           8
        .value_kind:     global_buffer
      - .actual_access:  read_only
        .address_space:  global
        .offset:         40
        .size:           8
        .value_kind:     global_buffer
      - .actual_access:  read_only
        .address_space:  global
        .offset:         48
        .size:           8
        .value_kind:     global_buffer
      - .actual_access:  read_only
        .address_space:  global
        .offset:         56
        .size:           8
        .value_kind:     global_buffer
      - .offset:         64
        .size:           8
        .value_kind:     by_value
      - .address_space:  global
        .offset:         72
        .size:           8
        .value_kind:     global_buffer
      - .offset:         80
        .size:           4
        .value_kind:     by_value
      - .offset:         84
        .size:           1
        .value_kind:     by_value
      - .offset:         88
        .size:           4
        .value_kind:     hidden_block_count_x
      - .offset:         92
        .size:           4
        .value_kind:     hidden_block_count_y
      - .offset:         96
        .size:           4
        .value_kind:     hidden_block_count_z
      - .offset:         100
        .size:           2
        .value_kind:     hidden_group_size_x
      - .offset:         102
        .size:           2
        .value_kind:     hidden_group_size_y
      - .offset:         104
        .size:           2
        .value_kind:     hidden_group_size_z
      - .offset:         106
        .size:           2
        .value_kind:     hidden_remainder_x
      - .offset:         108
        .size:           2
        .value_kind:     hidden_remainder_y
      - .offset:         110
        .size:           2
        .value_kind:     hidden_remainder_z
      - .offset:         128
        .size:           8
        .value_kind:     hidden_global_offset_x
      - .offset:         136
        .size:           8
        .value_kind:     hidden_global_offset_y
      - .offset:         144
        .size:           8
        .value_kind:     hidden_global_offset_z
      - .offset:         152
        .size:           2
        .value_kind:     hidden_grid_dims
    .group_segment_fixed_size: 0
    .kernarg_segment_align: 8
    .kernarg_segment_size: 344
    .language:       OpenCL C
    .language_version:
      - 2
      - 0
    .max_flat_workgroup_size: 256
    .name:           _ZN9rocsparseL21csrmvn_general_kernelILj256ELj16EllaaiiEEvbT2_NS_24const_host_device_scalarIT6_EEPKT1_S7_PKS1_PKT3_PKT4_S4_PT5_21rocsparse_index_base_b
    .private_segment_fixed_size: 0
    .sgpr_count:     34
    .sgpr_spill_count: 0
    .symbol:         _ZN9rocsparseL21csrmvn_general_kernelILj256ELj16EllaaiiEEvbT2_NS_24const_host_device_scalarIT6_EEPKT1_S7_PKS1_PKT3_PKT4_S4_PT5_21rocsparse_index_base_b.kd
    .uniform_work_group_size: 1
    .uses_dynamic_stack: false
    .vgpr_count:     21
    .vgpr_spill_count: 0
    .wavefront_size: 64
  - .agpr_count:     0
    .args:
      - .offset:         0
        .size:           1
        .value_kind:     by_value
      - .offset:         8
        .size:           8
        .value_kind:     by_value
      - .offset:         16
        .size:           8
        .value_kind:     by_value
      - .address_space:  global
        .offset:         24
        .size:           8
        .value_kind:     global_buffer
      - .address_space:  global
        .offset:         32
        .size:           8
        .value_kind:     global_buffer
      - .actual_access:  read_only
        .address_space:  global
        .offset:         40
        .size:           8
        .value_kind:     global_buffer
      - .actual_access:  read_only
        .address_space:  global
        .offset:         48
        .size:           8
        .value_kind:     global_buffer
      - .actual_access:  read_only
        .address_space:  global
        .offset:         56
        .size:           8
        .value_kind:     global_buffer
      - .offset:         64
        .size:           8
        .value_kind:     by_value
      - .address_space:  global
        .offset:         72
        .size:           8
        .value_kind:     global_buffer
      - .offset:         80
        .size:           4
        .value_kind:     by_value
      - .offset:         84
        .size:           1
        .value_kind:     by_value
      - .offset:         88
        .size:           4
        .value_kind:     hidden_block_count_x
      - .offset:         92
        .size:           4
        .value_kind:     hidden_block_count_y
      - .offset:         96
        .size:           4
        .value_kind:     hidden_block_count_z
      - .offset:         100
        .size:           2
        .value_kind:     hidden_group_size_x
      - .offset:         102
        .size:           2
        .value_kind:     hidden_group_size_y
      - .offset:         104
        .size:           2
        .value_kind:     hidden_group_size_z
      - .offset:         106
        .size:           2
        .value_kind:     hidden_remainder_x
      - .offset:         108
        .size:           2
        .value_kind:     hidden_remainder_y
      - .offset:         110
        .size:           2
        .value_kind:     hidden_remainder_z
      - .offset:         128
        .size:           8
        .value_kind:     hidden_global_offset_x
      - .offset:         136
        .size:           8
        .value_kind:     hidden_global_offset_y
      - .offset:         144
        .size:           8
        .value_kind:     hidden_global_offset_z
      - .offset:         152
        .size:           2
        .value_kind:     hidden_grid_dims
    .group_segment_fixed_size: 0
    .kernarg_segment_align: 8
    .kernarg_segment_size: 344
    .language:       OpenCL C
    .language_version:
      - 2
      - 0
    .max_flat_workgroup_size: 256
    .name:           _ZN9rocsparseL21csrmvn_general_kernelILj256ELj32EllaaiiEEvbT2_NS_24const_host_device_scalarIT6_EEPKT1_S7_PKS1_PKT3_PKT4_S4_PT5_21rocsparse_index_base_b
    .private_segment_fixed_size: 0
    .sgpr_count:     34
    .sgpr_spill_count: 0
    .symbol:         _ZN9rocsparseL21csrmvn_general_kernelILj256ELj32EllaaiiEEvbT2_NS_24const_host_device_scalarIT6_EEPKT1_S7_PKS1_PKT3_PKT4_S4_PT5_21rocsparse_index_base_b.kd
    .uniform_work_group_size: 1
    .uses_dynamic_stack: false
    .vgpr_count:     21
    .vgpr_spill_count: 0
    .wavefront_size: 64
  - .agpr_count:     0
    .args:
      - .offset:         0
        .size:           1
        .value_kind:     by_value
      - .offset:         8
        .size:           8
        .value_kind:     by_value
      - .offset:         16
        .size:           8
        .value_kind:     by_value
      - .address_space:  global
        .offset:         24
        .size:           8
        .value_kind:     global_buffer
      - .address_space:  global
        .offset:         32
        .size:           8
        .value_kind:     global_buffer
      - .actual_access:  read_only
        .address_space:  global
        .offset:         40
        .size:           8
        .value_kind:     global_buffer
      - .actual_access:  read_only
        .address_space:  global
        .offset:         48
        .size:           8
        .value_kind:     global_buffer
      - .actual_access:  read_only
        .address_space:  global
        .offset:         56
        .size:           8
        .value_kind:     global_buffer
      - .offset:         64
        .size:           8
        .value_kind:     by_value
      - .address_space:  global
        .offset:         72
        .size:           8
        .value_kind:     global_buffer
      - .offset:         80
        .size:           4
        .value_kind:     by_value
      - .offset:         84
        .size:           1
        .value_kind:     by_value
      - .offset:         88
        .size:           4
        .value_kind:     hidden_block_count_x
      - .offset:         92
        .size:           4
        .value_kind:     hidden_block_count_y
      - .offset:         96
        .size:           4
        .value_kind:     hidden_block_count_z
      - .offset:         100
        .size:           2
        .value_kind:     hidden_group_size_x
      - .offset:         102
        .size:           2
        .value_kind:     hidden_group_size_y
      - .offset:         104
        .size:           2
        .value_kind:     hidden_group_size_z
      - .offset:         106
        .size:           2
        .value_kind:     hidden_remainder_x
      - .offset:         108
        .size:           2
        .value_kind:     hidden_remainder_y
      - .offset:         110
        .size:           2
        .value_kind:     hidden_remainder_z
      - .offset:         128
        .size:           8
        .value_kind:     hidden_global_offset_x
      - .offset:         136
        .size:           8
        .value_kind:     hidden_global_offset_y
      - .offset:         144
        .size:           8
        .value_kind:     hidden_global_offset_z
      - .offset:         152
        .size:           2
        .value_kind:     hidden_grid_dims
    .group_segment_fixed_size: 0
    .kernarg_segment_align: 8
    .kernarg_segment_size: 344
    .language:       OpenCL C
    .language_version:
      - 2
      - 0
    .max_flat_workgroup_size: 256
    .name:           _ZN9rocsparseL21csrmvn_general_kernelILj256ELj64EllaaiiEEvbT2_NS_24const_host_device_scalarIT6_EEPKT1_S7_PKS1_PKT3_PKT4_S4_PT5_21rocsparse_index_base_b
    .private_segment_fixed_size: 0
    .sgpr_count:     34
    .sgpr_spill_count: 0
    .symbol:         _ZN9rocsparseL21csrmvn_general_kernelILj256ELj64EllaaiiEEvbT2_NS_24const_host_device_scalarIT6_EEPKT1_S7_PKS1_PKT3_PKT4_S4_PT5_21rocsparse_index_base_b.kd
    .uniform_work_group_size: 1
    .uses_dynamic_stack: false
    .vgpr_count:     21
    .vgpr_spill_count: 0
    .wavefront_size: 64
  - .agpr_count:     0
    .args:
      - .offset:         0
        .size:           1
        .value_kind:     by_value
      - .offset:         1
        .size:           1
        .value_kind:     by_value
      - .offset:         8
        .size:           8
        .value_kind:     by_value
      - .offset:         16
        .size:           8
        .value_kind:     by_value
      - .address_space:  global
        .offset:         24
        .size:           8
        .value_kind:     global_buffer
      - .address_space:  global
        .offset:         32
        .size:           8
        .value_kind:     global_buffer
      - .actual_access:  read_only
        .address_space:  global
        .offset:         40
        .size:           8
        .value_kind:     global_buffer
      - .actual_access:  read_only
        .address_space:  global
        .offset:         48
        .size:           8
        .value_kind:     global_buffer
      - .actual_access:  read_only
        .address_space:  global
        .offset:         56
        .size:           8
        .value_kind:     global_buffer
      - .address_space:  global
        .offset:         64
        .size:           8
        .value_kind:     global_buffer
      - .offset:         72
        .size:           4
        .value_kind:     by_value
      - .offset:         76
        .size:           1
        .value_kind:     by_value
      - .offset:         80
        .size:           4
        .value_kind:     hidden_block_count_x
      - .offset:         84
        .size:           4
        .value_kind:     hidden_block_count_y
      - .offset:         88
        .size:           4
        .value_kind:     hidden_block_count_z
      - .offset:         92
        .size:           2
        .value_kind:     hidden_group_size_x
      - .offset:         94
        .size:           2
        .value_kind:     hidden_group_size_y
      - .offset:         96
        .size:           2
        .value_kind:     hidden_group_size_z
      - .offset:         98
        .size:           2
        .value_kind:     hidden_remainder_x
      - .offset:         100
        .size:           2
        .value_kind:     hidden_remainder_y
      - .offset:         102
        .size:           2
        .value_kind:     hidden_remainder_z
      - .offset:         120
        .size:           8
        .value_kind:     hidden_global_offset_x
      - .offset:         128
        .size:           8
        .value_kind:     hidden_global_offset_y
      - .offset:         136
        .size:           8
        .value_kind:     hidden_global_offset_z
      - .offset:         144
        .size:           2
        .value_kind:     hidden_grid_dims
    .group_segment_fixed_size: 0
    .kernarg_segment_align: 8
    .kernarg_segment_size: 336
    .language:       OpenCL C
    .language_version:
      - 2
      - 0
    .max_flat_workgroup_size: 256
    .name:           _ZN9rocsparseL21csrmvt_general_kernelILj256ELj4EllaaiiEEvbbT2_NS_24const_host_device_scalarIT6_EEPKT1_S7_PKS1_PKT3_PKT4_PT5_21rocsparse_index_base_b
    .private_segment_fixed_size: 0
    .sgpr_count:     33
    .sgpr_spill_count: 0
    .symbol:         _ZN9rocsparseL21csrmvt_general_kernelILj256ELj4EllaaiiEEvbbT2_NS_24const_host_device_scalarIT6_EEPKT1_S7_PKS1_PKT3_PKT4_PT5_21rocsparse_index_base_b.kd
    .uniform_work_group_size: 1
    .uses_dynamic_stack: false
    .vgpr_count:     22
    .vgpr_spill_count: 0
    .wavefront_size: 64
  - .agpr_count:     0
    .args:
      - .offset:         0
        .size:           1
        .value_kind:     by_value
      - .offset:         1
        .size:           1
        .value_kind:     by_value
      - .offset:         8
        .size:           8
        .value_kind:     by_value
      - .offset:         16
        .size:           8
        .value_kind:     by_value
      - .address_space:  global
        .offset:         24
        .size:           8
        .value_kind:     global_buffer
      - .address_space:  global
        .offset:         32
        .size:           8
        .value_kind:     global_buffer
      - .actual_access:  read_only
        .address_space:  global
        .offset:         40
        .size:           8
        .value_kind:     global_buffer
      - .actual_access:  read_only
        .address_space:  global
        .offset:         48
        .size:           8
        .value_kind:     global_buffer
      - .actual_access:  read_only
        .address_space:  global
        .offset:         56
        .size:           8
        .value_kind:     global_buffer
      - .address_space:  global
        .offset:         64
        .size:           8
        .value_kind:     global_buffer
      - .offset:         72
        .size:           4
        .value_kind:     by_value
      - .offset:         76
        .size:           1
        .value_kind:     by_value
      - .offset:         80
        .size:           4
        .value_kind:     hidden_block_count_x
      - .offset:         84
        .size:           4
        .value_kind:     hidden_block_count_y
      - .offset:         88
        .size:           4
        .value_kind:     hidden_block_count_z
      - .offset:         92
        .size:           2
        .value_kind:     hidden_group_size_x
      - .offset:         94
        .size:           2
        .value_kind:     hidden_group_size_y
      - .offset:         96
        .size:           2
        .value_kind:     hidden_group_size_z
      - .offset:         98
        .size:           2
        .value_kind:     hidden_remainder_x
      - .offset:         100
        .size:           2
        .value_kind:     hidden_remainder_y
      - .offset:         102
        .size:           2
        .value_kind:     hidden_remainder_z
      - .offset:         120
        .size:           8
        .value_kind:     hidden_global_offset_x
      - .offset:         128
        .size:           8
        .value_kind:     hidden_global_offset_y
      - .offset:         136
        .size:           8
        .value_kind:     hidden_global_offset_z
      - .offset:         144
        .size:           2
        .value_kind:     hidden_grid_dims
    .group_segment_fixed_size: 0
    .kernarg_segment_align: 8
    .kernarg_segment_size: 336
    .language:       OpenCL C
    .language_version:
      - 2
      - 0
    .max_flat_workgroup_size: 256
    .name:           _ZN9rocsparseL21csrmvt_general_kernelILj256ELj8EllaaiiEEvbbT2_NS_24const_host_device_scalarIT6_EEPKT1_S7_PKS1_PKT3_PKT4_PT5_21rocsparse_index_base_b
    .private_segment_fixed_size: 0
    .sgpr_count:     33
    .sgpr_spill_count: 0
    .symbol:         _ZN9rocsparseL21csrmvt_general_kernelILj256ELj8EllaaiiEEvbbT2_NS_24const_host_device_scalarIT6_EEPKT1_S7_PKS1_PKT3_PKT4_PT5_21rocsparse_index_base_b.kd
    .uniform_work_group_size: 1
    .uses_dynamic_stack: false
    .vgpr_count:     22
    .vgpr_spill_count: 0
    .wavefront_size: 64
  - .agpr_count:     0
    .args:
      - .offset:         0
        .size:           1
        .value_kind:     by_value
      - .offset:         1
        .size:           1
        .value_kind:     by_value
      - .offset:         8
        .size:           8
        .value_kind:     by_value
      - .offset:         16
        .size:           8
        .value_kind:     by_value
      - .address_space:  global
        .offset:         24
        .size:           8
        .value_kind:     global_buffer
      - .address_space:  global
        .offset:         32
        .size:           8
        .value_kind:     global_buffer
      - .actual_access:  read_only
        .address_space:  global
        .offset:         40
        .size:           8
        .value_kind:     global_buffer
      - .actual_access:  read_only
        .address_space:  global
        .offset:         48
        .size:           8
        .value_kind:     global_buffer
      - .actual_access:  read_only
        .address_space:  global
        .offset:         56
        .size:           8
        .value_kind:     global_buffer
      - .address_space:  global
        .offset:         64
        .size:           8
        .value_kind:     global_buffer
      - .offset:         72
        .size:           4
        .value_kind:     by_value
      - .offset:         76
        .size:           1
        .value_kind:     by_value
      - .offset:         80
        .size:           4
        .value_kind:     hidden_block_count_x
      - .offset:         84
        .size:           4
        .value_kind:     hidden_block_count_y
      - .offset:         88
        .size:           4
        .value_kind:     hidden_block_count_z
      - .offset:         92
        .size:           2
        .value_kind:     hidden_group_size_x
      - .offset:         94
        .size:           2
        .value_kind:     hidden_group_size_y
      - .offset:         96
        .size:           2
        .value_kind:     hidden_group_size_z
      - .offset:         98
        .size:           2
        .value_kind:     hidden_remainder_x
      - .offset:         100
        .size:           2
        .value_kind:     hidden_remainder_y
      - .offset:         102
        .size:           2
        .value_kind:     hidden_remainder_z
      - .offset:         120
        .size:           8
        .value_kind:     hidden_global_offset_x
      - .offset:         128
        .size:           8
        .value_kind:     hidden_global_offset_y
      - .offset:         136
        .size:           8
        .value_kind:     hidden_global_offset_z
      - .offset:         144
        .size:           2
        .value_kind:     hidden_grid_dims
    .group_segment_fixed_size: 0
    .kernarg_segment_align: 8
    .kernarg_segment_size: 336
    .language:       OpenCL C
    .language_version:
      - 2
      - 0
    .max_flat_workgroup_size: 256
    .name:           _ZN9rocsparseL21csrmvt_general_kernelILj256ELj16EllaaiiEEvbbT2_NS_24const_host_device_scalarIT6_EEPKT1_S7_PKS1_PKT3_PKT4_PT5_21rocsparse_index_base_b
    .private_segment_fixed_size: 0
    .sgpr_count:     33
    .sgpr_spill_count: 0
    .symbol:         _ZN9rocsparseL21csrmvt_general_kernelILj256ELj16EllaaiiEEvbbT2_NS_24const_host_device_scalarIT6_EEPKT1_S7_PKS1_PKT3_PKT4_PT5_21rocsparse_index_base_b.kd
    .uniform_work_group_size: 1
    .uses_dynamic_stack: false
    .vgpr_count:     22
    .vgpr_spill_count: 0
    .wavefront_size: 64
  - .agpr_count:     0
    .args:
      - .offset:         0
        .size:           1
        .value_kind:     by_value
      - .offset:         1
        .size:           1
        .value_kind:     by_value
      - .offset:         8
        .size:           8
        .value_kind:     by_value
      - .offset:         16
        .size:           8
        .value_kind:     by_value
      - .address_space:  global
        .offset:         24
        .size:           8
        .value_kind:     global_buffer
      - .address_space:  global
        .offset:         32
        .size:           8
        .value_kind:     global_buffer
      - .actual_access:  read_only
        .address_space:  global
        .offset:         40
        .size:           8
        .value_kind:     global_buffer
      - .actual_access:  read_only
        .address_space:  global
        .offset:         48
        .size:           8
        .value_kind:     global_buffer
      - .actual_access:  read_only
        .address_space:  global
        .offset:         56
        .size:           8
        .value_kind:     global_buffer
      - .address_space:  global
        .offset:         64
        .size:           8
        .value_kind:     global_buffer
      - .offset:         72
        .size:           4
        .value_kind:     by_value
      - .offset:         76
        .size:           1
        .value_kind:     by_value
      - .offset:         80
        .size:           4
        .value_kind:     hidden_block_count_x
      - .offset:         84
        .size:           4
        .value_kind:     hidden_block_count_y
      - .offset:         88
        .size:           4
        .value_kind:     hidden_block_count_z
      - .offset:         92
        .size:           2
        .value_kind:     hidden_group_size_x
      - .offset:         94
        .size:           2
        .value_kind:     hidden_group_size_y
      - .offset:         96
        .size:           2
        .value_kind:     hidden_group_size_z
      - .offset:         98
        .size:           2
        .value_kind:     hidden_remainder_x
      - .offset:         100
        .size:           2
        .value_kind:     hidden_remainder_y
      - .offset:         102
        .size:           2
        .value_kind:     hidden_remainder_z
      - .offset:         120
        .size:           8
        .value_kind:     hidden_global_offset_x
      - .offset:         128
        .size:           8
        .value_kind:     hidden_global_offset_y
      - .offset:         136
        .size:           8
        .value_kind:     hidden_global_offset_z
      - .offset:         144
        .size:           2
        .value_kind:     hidden_grid_dims
    .group_segment_fixed_size: 0
    .kernarg_segment_align: 8
    .kernarg_segment_size: 336
    .language:       OpenCL C
    .language_version:
      - 2
      - 0
    .max_flat_workgroup_size: 256
    .name:           _ZN9rocsparseL21csrmvt_general_kernelILj256ELj32EllaaiiEEvbbT2_NS_24const_host_device_scalarIT6_EEPKT1_S7_PKS1_PKT3_PKT4_PT5_21rocsparse_index_base_b
    .private_segment_fixed_size: 0
    .sgpr_count:     33
    .sgpr_spill_count: 0
    .symbol:         _ZN9rocsparseL21csrmvt_general_kernelILj256ELj32EllaaiiEEvbbT2_NS_24const_host_device_scalarIT6_EEPKT1_S7_PKS1_PKT3_PKT4_PT5_21rocsparse_index_base_b.kd
    .uniform_work_group_size: 1
    .uses_dynamic_stack: false
    .vgpr_count:     22
    .vgpr_spill_count: 0
    .wavefront_size: 64
  - .agpr_count:     0
    .args:
      - .offset:         0
        .size:           1
        .value_kind:     by_value
      - .offset:         1
        .size:           1
        .value_kind:     by_value
      - .offset:         8
        .size:           8
        .value_kind:     by_value
      - .offset:         16
        .size:           8
        .value_kind:     by_value
      - .address_space:  global
        .offset:         24
        .size:           8
        .value_kind:     global_buffer
      - .address_space:  global
        .offset:         32
        .size:           8
        .value_kind:     global_buffer
      - .actual_access:  read_only
        .address_space:  global
        .offset:         40
        .size:           8
        .value_kind:     global_buffer
      - .actual_access:  read_only
        .address_space:  global
        .offset:         48
        .size:           8
        .value_kind:     global_buffer
      - .actual_access:  read_only
        .address_space:  global
        .offset:         56
        .size:           8
        .value_kind:     global_buffer
      - .address_space:  global
        .offset:         64
        .size:           8
        .value_kind:     global_buffer
      - .offset:         72
        .size:           4
        .value_kind:     by_value
      - .offset:         76
        .size:           1
        .value_kind:     by_value
      - .offset:         80
        .size:           4
        .value_kind:     hidden_block_count_x
      - .offset:         84
        .size:           4
        .value_kind:     hidden_block_count_y
      - .offset:         88
        .size:           4
        .value_kind:     hidden_block_count_z
      - .offset:         92
        .size:           2
        .value_kind:     hidden_group_size_x
      - .offset:         94
        .size:           2
        .value_kind:     hidden_group_size_y
      - .offset:         96
        .size:           2
        .value_kind:     hidden_group_size_z
      - .offset:         98
        .size:           2
        .value_kind:     hidden_remainder_x
      - .offset:         100
        .size:           2
        .value_kind:     hidden_remainder_y
      - .offset:         102
        .size:           2
        .value_kind:     hidden_remainder_z
      - .offset:         120
        .size:           8
        .value_kind:     hidden_global_offset_x
      - .offset:         128
        .size:           8
        .value_kind:     hidden_global_offset_y
      - .offset:         136
        .size:           8
        .value_kind:     hidden_global_offset_z
      - .offset:         144
        .size:           2
        .value_kind:     hidden_grid_dims
    .group_segment_fixed_size: 0
    .kernarg_segment_align: 8
    .kernarg_segment_size: 336
    .language:       OpenCL C
    .language_version:
      - 2
      - 0
    .max_flat_workgroup_size: 256
    .name:           _ZN9rocsparseL21csrmvt_general_kernelILj256ELj64EllaaiiEEvbbT2_NS_24const_host_device_scalarIT6_EEPKT1_S7_PKS1_PKT3_PKT4_PT5_21rocsparse_index_base_b
    .private_segment_fixed_size: 0
    .sgpr_count:     33
    .sgpr_spill_count: 0
    .symbol:         _ZN9rocsparseL21csrmvt_general_kernelILj256ELj64EllaaiiEEvbbT2_NS_24const_host_device_scalarIT6_EEPKT1_S7_PKS1_PKT3_PKT4_PT5_21rocsparse_index_base_b.kd
    .uniform_work_group_size: 1
    .uses_dynamic_stack: false
    .vgpr_count:     22
    .vgpr_spill_count: 0
    .wavefront_size: 64
  - .agpr_count:     0
    .args:
      - .offset:         0
        .size:           1
        .value_kind:     by_value
      - .offset:         4
        .size:           4
        .value_kind:     by_value
      - .offset:         8
        .size:           8
        .value_kind:     by_value
      - .address_space:  global
        .offset:         16
        .size:           8
        .value_kind:     global_buffer
      - .address_space:  global
        .offset:         24
        .size:           8
        .value_kind:     global_buffer
      - .actual_access:  read_only
        .address_space:  global
        .offset:         32
        .size:           8
        .value_kind:     global_buffer
      - .actual_access:  read_only
        .address_space:  global
        .offset:         40
        .size:           8
        .value_kind:     global_buffer
      - .actual_access:  read_only
        .address_space:  global
        .offset:         48
        .size:           8
        .value_kind:     global_buffer
      - .offset:         56
        .size:           8
        .value_kind:     by_value
      - .address_space:  global
        .offset:         64
        .size:           8
        .value_kind:     global_buffer
      - .offset:         72
        .size:           4
        .value_kind:     by_value
      - .offset:         76
        .size:           1
        .value_kind:     by_value
      - .offset:         80
        .size:           4
        .value_kind:     hidden_block_count_x
      - .offset:         84
        .size:           4
        .value_kind:     hidden_block_count_y
      - .offset:         88
        .size:           4
        .value_kind:     hidden_block_count_z
      - .offset:         92
        .size:           2
        .value_kind:     hidden_group_size_x
      - .offset:         94
        .size:           2
        .value_kind:     hidden_group_size_y
      - .offset:         96
        .size:           2
        .value_kind:     hidden_group_size_z
      - .offset:         98
        .size:           2
        .value_kind:     hidden_remainder_x
      - .offset:         100
        .size:           2
        .value_kind:     hidden_remainder_y
      - .offset:         102
        .size:           2
        .value_kind:     hidden_remainder_z
      - .offset:         120
        .size:           8
        .value_kind:     hidden_global_offset_x
      - .offset:         128
        .size:           8
        .value_kind:     hidden_global_offset_y
      - .offset:         136
        .size:           8
        .value_kind:     hidden_global_offset_z
      - .offset:         144
        .size:           2
        .value_kind:     hidden_grid_dims
    .group_segment_fixed_size: 0
    .kernarg_segment_align: 8
    .kernarg_segment_size: 336
    .language:       OpenCL C
    .language_version:
      - 2
      - 0
    .max_flat_workgroup_size: 256
    .name:           _ZN9rocsparseL21csrmvn_general_kernelILj256ELj2EiiaaffEEvbT2_NS_24const_host_device_scalarIT6_EEPKT1_S7_PKS1_PKT3_PKT4_S4_PT5_21rocsparse_index_base_b
    .private_segment_fixed_size: 0
    .sgpr_count:     31
    .sgpr_spill_count: 0
    .symbol:         _ZN9rocsparseL21csrmvn_general_kernelILj256ELj2EiiaaffEEvbT2_NS_24const_host_device_scalarIT6_EEPKT1_S7_PKS1_PKT3_PKT4_S4_PT5_21rocsparse_index_base_b.kd
    .uniform_work_group_size: 1
    .uses_dynamic_stack: false
    .vgpr_count:     14
    .vgpr_spill_count: 0
    .wavefront_size: 64
  - .agpr_count:     0
    .args:
      - .offset:         0
        .size:           1
        .value_kind:     by_value
      - .offset:         4
        .size:           4
        .value_kind:     by_value
      - .offset:         8
        .size:           8
        .value_kind:     by_value
      - .address_space:  global
        .offset:         16
        .size:           8
        .value_kind:     global_buffer
      - .address_space:  global
        .offset:         24
        .size:           8
        .value_kind:     global_buffer
      - .actual_access:  read_only
        .address_space:  global
        .offset:         32
        .size:           8
        .value_kind:     global_buffer
      - .actual_access:  read_only
        .address_space:  global
        .offset:         40
        .size:           8
        .value_kind:     global_buffer
      - .actual_access:  read_only
        .address_space:  global
        .offset:         48
        .size:           8
        .value_kind:     global_buffer
      - .offset:         56
        .size:           8
        .value_kind:     by_value
      - .address_space:  global
        .offset:         64
        .size:           8
        .value_kind:     global_buffer
      - .offset:         72
        .size:           4
        .value_kind:     by_value
      - .offset:         76
        .size:           1
        .value_kind:     by_value
      - .offset:         80
        .size:           4
        .value_kind:     hidden_block_count_x
      - .offset:         84
        .size:           4
        .value_kind:     hidden_block_count_y
      - .offset:         88
        .size:           4
        .value_kind:     hidden_block_count_z
      - .offset:         92
        .size:           2
        .value_kind:     hidden_group_size_x
      - .offset:         94
        .size:           2
        .value_kind:     hidden_group_size_y
      - .offset:         96
        .size:           2
        .value_kind:     hidden_group_size_z
      - .offset:         98
        .size:           2
        .value_kind:     hidden_remainder_x
      - .offset:         100
        .size:           2
        .value_kind:     hidden_remainder_y
      - .offset:         102
        .size:           2
        .value_kind:     hidden_remainder_z
      - .offset:         120
        .size:           8
        .value_kind:     hidden_global_offset_x
      - .offset:         128
        .size:           8
        .value_kind:     hidden_global_offset_y
      - .offset:         136
        .size:           8
        .value_kind:     hidden_global_offset_z
      - .offset:         144
        .size:           2
        .value_kind:     hidden_grid_dims
    .group_segment_fixed_size: 0
    .kernarg_segment_align: 8
    .kernarg_segment_size: 336
    .language:       OpenCL C
    .language_version:
      - 2
      - 0
    .max_flat_workgroup_size: 256
    .name:           _ZN9rocsparseL21csrmvn_general_kernelILj256ELj4EiiaaffEEvbT2_NS_24const_host_device_scalarIT6_EEPKT1_S7_PKS1_PKT3_PKT4_S4_PT5_21rocsparse_index_base_b
    .private_segment_fixed_size: 0
    .sgpr_count:     31
    .sgpr_spill_count: 0
    .symbol:         _ZN9rocsparseL21csrmvn_general_kernelILj256ELj4EiiaaffEEvbT2_NS_24const_host_device_scalarIT6_EEPKT1_S7_PKS1_PKT3_PKT4_S4_PT5_21rocsparse_index_base_b.kd
    .uniform_work_group_size: 1
    .uses_dynamic_stack: false
    .vgpr_count:     14
    .vgpr_spill_count: 0
    .wavefront_size: 64
  - .agpr_count:     0
    .args:
      - .offset:         0
        .size:           1
        .value_kind:     by_value
      - .offset:         4
        .size:           4
        .value_kind:     by_value
      - .offset:         8
        .size:           8
        .value_kind:     by_value
      - .address_space:  global
        .offset:         16
        .size:           8
        .value_kind:     global_buffer
      - .address_space:  global
        .offset:         24
        .size:           8
        .value_kind:     global_buffer
      - .actual_access:  read_only
        .address_space:  global
        .offset:         32
        .size:           8
        .value_kind:     global_buffer
      - .actual_access:  read_only
        .address_space:  global
        .offset:         40
        .size:           8
        .value_kind:     global_buffer
      - .actual_access:  read_only
        .address_space:  global
        .offset:         48
        .size:           8
        .value_kind:     global_buffer
      - .offset:         56
        .size:           8
        .value_kind:     by_value
      - .address_space:  global
        .offset:         64
        .size:           8
        .value_kind:     global_buffer
      - .offset:         72
        .size:           4
        .value_kind:     by_value
      - .offset:         76
        .size:           1
        .value_kind:     by_value
      - .offset:         80
        .size:           4
        .value_kind:     hidden_block_count_x
      - .offset:         84
        .size:           4
        .value_kind:     hidden_block_count_y
      - .offset:         88
        .size:           4
        .value_kind:     hidden_block_count_z
      - .offset:         92
        .size:           2
        .value_kind:     hidden_group_size_x
      - .offset:         94
        .size:           2
        .value_kind:     hidden_group_size_y
      - .offset:         96
        .size:           2
        .value_kind:     hidden_group_size_z
      - .offset:         98
        .size:           2
        .value_kind:     hidden_remainder_x
      - .offset:         100
        .size:           2
        .value_kind:     hidden_remainder_y
      - .offset:         102
        .size:           2
        .value_kind:     hidden_remainder_z
      - .offset:         120
        .size:           8
        .value_kind:     hidden_global_offset_x
      - .offset:         128
        .size:           8
        .value_kind:     hidden_global_offset_y
      - .offset:         136
        .size:           8
        .value_kind:     hidden_global_offset_z
      - .offset:         144
        .size:           2
        .value_kind:     hidden_grid_dims
    .group_segment_fixed_size: 0
    .kernarg_segment_align: 8
    .kernarg_segment_size: 336
    .language:       OpenCL C
    .language_version:
      - 2
      - 0
    .max_flat_workgroup_size: 256
    .name:           _ZN9rocsparseL21csrmvn_general_kernelILj256ELj8EiiaaffEEvbT2_NS_24const_host_device_scalarIT6_EEPKT1_S7_PKS1_PKT3_PKT4_S4_PT5_21rocsparse_index_base_b
    .private_segment_fixed_size: 0
    .sgpr_count:     31
    .sgpr_spill_count: 0
    .symbol:         _ZN9rocsparseL21csrmvn_general_kernelILj256ELj8EiiaaffEEvbT2_NS_24const_host_device_scalarIT6_EEPKT1_S7_PKS1_PKT3_PKT4_S4_PT5_21rocsparse_index_base_b.kd
    .uniform_work_group_size: 1
    .uses_dynamic_stack: false
    .vgpr_count:     14
    .vgpr_spill_count: 0
    .wavefront_size: 64
  - .agpr_count:     0
    .args:
      - .offset:         0
        .size:           1
        .value_kind:     by_value
      - .offset:         4
        .size:           4
        .value_kind:     by_value
      - .offset:         8
        .size:           8
        .value_kind:     by_value
      - .address_space:  global
        .offset:         16
        .size:           8
        .value_kind:     global_buffer
      - .address_space:  global
        .offset:         24
        .size:           8
        .value_kind:     global_buffer
      - .actual_access:  read_only
        .address_space:  global
        .offset:         32
        .size:           8
        .value_kind:     global_buffer
      - .actual_access:  read_only
        .address_space:  global
        .offset:         40
        .size:           8
        .value_kind:     global_buffer
      - .actual_access:  read_only
        .address_space:  global
        .offset:         48
        .size:           8
        .value_kind:     global_buffer
      - .offset:         56
        .size:           8
        .value_kind:     by_value
      - .address_space:  global
        .offset:         64
        .size:           8
        .value_kind:     global_buffer
      - .offset:         72
        .size:           4
        .value_kind:     by_value
      - .offset:         76
        .size:           1
        .value_kind:     by_value
      - .offset:         80
        .size:           4
        .value_kind:     hidden_block_count_x
      - .offset:         84
        .size:           4
        .value_kind:     hidden_block_count_y
      - .offset:         88
        .size:           4
        .value_kind:     hidden_block_count_z
      - .offset:         92
        .size:           2
        .value_kind:     hidden_group_size_x
      - .offset:         94
        .size:           2
        .value_kind:     hidden_group_size_y
      - .offset:         96
        .size:           2
        .value_kind:     hidden_group_size_z
      - .offset:         98
        .size:           2
        .value_kind:     hidden_remainder_x
      - .offset:         100
        .size:           2
        .value_kind:     hidden_remainder_y
      - .offset:         102
        .size:           2
        .value_kind:     hidden_remainder_z
      - .offset:         120
        .size:           8
        .value_kind:     hidden_global_offset_x
      - .offset:         128
        .size:           8
        .value_kind:     hidden_global_offset_y
      - .offset:         136
        .size:           8
        .value_kind:     hidden_global_offset_z
      - .offset:         144
        .size:           2
        .value_kind:     hidden_grid_dims
    .group_segment_fixed_size: 0
    .kernarg_segment_align: 8
    .kernarg_segment_size: 336
    .language:       OpenCL C
    .language_version:
      - 2
      - 0
    .max_flat_workgroup_size: 256
    .name:           _ZN9rocsparseL21csrmvn_general_kernelILj256ELj16EiiaaffEEvbT2_NS_24const_host_device_scalarIT6_EEPKT1_S7_PKS1_PKT3_PKT4_S4_PT5_21rocsparse_index_base_b
    .private_segment_fixed_size: 0
    .sgpr_count:     31
    .sgpr_spill_count: 0
    .symbol:         _ZN9rocsparseL21csrmvn_general_kernelILj256ELj16EiiaaffEEvbT2_NS_24const_host_device_scalarIT6_EEPKT1_S7_PKS1_PKT3_PKT4_S4_PT5_21rocsparse_index_base_b.kd
    .uniform_work_group_size: 1
    .uses_dynamic_stack: false
    .vgpr_count:     14
    .vgpr_spill_count: 0
    .wavefront_size: 64
  - .agpr_count:     0
    .args:
      - .offset:         0
        .size:           1
        .value_kind:     by_value
      - .offset:         4
        .size:           4
        .value_kind:     by_value
      - .offset:         8
        .size:           8
        .value_kind:     by_value
      - .address_space:  global
        .offset:         16
        .size:           8
        .value_kind:     global_buffer
      - .address_space:  global
        .offset:         24
        .size:           8
        .value_kind:     global_buffer
      - .actual_access:  read_only
        .address_space:  global
        .offset:         32
        .size:           8
        .value_kind:     global_buffer
      - .actual_access:  read_only
        .address_space:  global
        .offset:         40
        .size:           8
        .value_kind:     global_buffer
      - .actual_access:  read_only
        .address_space:  global
        .offset:         48
        .size:           8
        .value_kind:     global_buffer
      - .offset:         56
        .size:           8
        .value_kind:     by_value
      - .address_space:  global
        .offset:         64
        .size:           8
        .value_kind:     global_buffer
      - .offset:         72
        .size:           4
        .value_kind:     by_value
      - .offset:         76
        .size:           1
        .value_kind:     by_value
      - .offset:         80
        .size:           4
        .value_kind:     hidden_block_count_x
      - .offset:         84
        .size:           4
        .value_kind:     hidden_block_count_y
      - .offset:         88
        .size:           4
        .value_kind:     hidden_block_count_z
      - .offset:         92
        .size:           2
        .value_kind:     hidden_group_size_x
      - .offset:         94
        .size:           2
        .value_kind:     hidden_group_size_y
      - .offset:         96
        .size:           2
        .value_kind:     hidden_group_size_z
      - .offset:         98
        .size:           2
        .value_kind:     hidden_remainder_x
      - .offset:         100
        .size:           2
        .value_kind:     hidden_remainder_y
      - .offset:         102
        .size:           2
        .value_kind:     hidden_remainder_z
      - .offset:         120
        .size:           8
        .value_kind:     hidden_global_offset_x
      - .offset:         128
        .size:           8
        .value_kind:     hidden_global_offset_y
      - .offset:         136
        .size:           8
        .value_kind:     hidden_global_offset_z
      - .offset:         144
        .size:           2
        .value_kind:     hidden_grid_dims
    .group_segment_fixed_size: 0
    .kernarg_segment_align: 8
    .kernarg_segment_size: 336
    .language:       OpenCL C
    .language_version:
      - 2
      - 0
    .max_flat_workgroup_size: 256
    .name:           _ZN9rocsparseL21csrmvn_general_kernelILj256ELj32EiiaaffEEvbT2_NS_24const_host_device_scalarIT6_EEPKT1_S7_PKS1_PKT3_PKT4_S4_PT5_21rocsparse_index_base_b
    .private_segment_fixed_size: 0
    .sgpr_count:     31
    .sgpr_spill_count: 0
    .symbol:         _ZN9rocsparseL21csrmvn_general_kernelILj256ELj32EiiaaffEEvbT2_NS_24const_host_device_scalarIT6_EEPKT1_S7_PKS1_PKT3_PKT4_S4_PT5_21rocsparse_index_base_b.kd
    .uniform_work_group_size: 1
    .uses_dynamic_stack: false
    .vgpr_count:     14
    .vgpr_spill_count: 0
    .wavefront_size: 64
  - .agpr_count:     0
    .args:
      - .offset:         0
        .size:           1
        .value_kind:     by_value
      - .offset:         4
        .size:           4
        .value_kind:     by_value
      - .offset:         8
        .size:           8
        .value_kind:     by_value
      - .address_space:  global
        .offset:         16
        .size:           8
        .value_kind:     global_buffer
      - .address_space:  global
        .offset:         24
        .size:           8
        .value_kind:     global_buffer
      - .actual_access:  read_only
        .address_space:  global
        .offset:         32
        .size:           8
        .value_kind:     global_buffer
      - .actual_access:  read_only
        .address_space:  global
        .offset:         40
        .size:           8
        .value_kind:     global_buffer
      - .actual_access:  read_only
        .address_space:  global
        .offset:         48
        .size:           8
        .value_kind:     global_buffer
      - .offset:         56
        .size:           8
        .value_kind:     by_value
      - .address_space:  global
        .offset:         64
        .size:           8
        .value_kind:     global_buffer
      - .offset:         72
        .size:           4
        .value_kind:     by_value
      - .offset:         76
        .size:           1
        .value_kind:     by_value
      - .offset:         80
        .size:           4
        .value_kind:     hidden_block_count_x
      - .offset:         84
        .size:           4
        .value_kind:     hidden_block_count_y
      - .offset:         88
        .size:           4
        .value_kind:     hidden_block_count_z
      - .offset:         92
        .size:           2
        .value_kind:     hidden_group_size_x
      - .offset:         94
        .size:           2
        .value_kind:     hidden_group_size_y
      - .offset:         96
        .size:           2
        .value_kind:     hidden_group_size_z
      - .offset:         98
        .size:           2
        .value_kind:     hidden_remainder_x
      - .offset:         100
        .size:           2
        .value_kind:     hidden_remainder_y
      - .offset:         102
        .size:           2
        .value_kind:     hidden_remainder_z
      - .offset:         120
        .size:           8
        .value_kind:     hidden_global_offset_x
      - .offset:         128
        .size:           8
        .value_kind:     hidden_global_offset_y
      - .offset:         136
        .size:           8
        .value_kind:     hidden_global_offset_z
      - .offset:         144
        .size:           2
        .value_kind:     hidden_grid_dims
    .group_segment_fixed_size: 0
    .kernarg_segment_align: 8
    .kernarg_segment_size: 336
    .language:       OpenCL C
    .language_version:
      - 2
      - 0
    .max_flat_workgroup_size: 256
    .name:           _ZN9rocsparseL21csrmvn_general_kernelILj256ELj64EiiaaffEEvbT2_NS_24const_host_device_scalarIT6_EEPKT1_S7_PKS1_PKT3_PKT4_S4_PT5_21rocsparse_index_base_b
    .private_segment_fixed_size: 0
    .sgpr_count:     31
    .sgpr_spill_count: 0
    .symbol:         _ZN9rocsparseL21csrmvn_general_kernelILj256ELj64EiiaaffEEvbT2_NS_24const_host_device_scalarIT6_EEPKT1_S7_PKS1_PKT3_PKT4_S4_PT5_21rocsparse_index_base_b.kd
    .uniform_work_group_size: 1
    .uses_dynamic_stack: false
    .vgpr_count:     14
    .vgpr_spill_count: 0
    .wavefront_size: 64
  - .agpr_count:     0
    .args:
      - .offset:         0
        .size:           1
        .value_kind:     by_value
      - .offset:         1
        .size:           1
        .value_kind:     by_value
      - .offset:         4
        .size:           4
        .value_kind:     by_value
      - .offset:         8
        .size:           8
        .value_kind:     by_value
      - .address_space:  global
        .offset:         16
        .size:           8
        .value_kind:     global_buffer
      - .address_space:  global
        .offset:         24
        .size:           8
        .value_kind:     global_buffer
      - .actual_access:  read_only
        .address_space:  global
        .offset:         32
        .size:           8
        .value_kind:     global_buffer
      - .actual_access:  read_only
        .address_space:  global
        .offset:         40
        .size:           8
        .value_kind:     global_buffer
      - .actual_access:  read_only
        .address_space:  global
        .offset:         48
        .size:           8
        .value_kind:     global_buffer
      - .address_space:  global
        .offset:         56
        .size:           8
        .value_kind:     global_buffer
      - .offset:         64
        .size:           4
        .value_kind:     by_value
      - .offset:         68
        .size:           1
        .value_kind:     by_value
      - .offset:         72
        .size:           4
        .value_kind:     hidden_block_count_x
      - .offset:         76
        .size:           4
        .value_kind:     hidden_block_count_y
      - .offset:         80
        .size:           4
        .value_kind:     hidden_block_count_z
      - .offset:         84
        .size:           2
        .value_kind:     hidden_group_size_x
      - .offset:         86
        .size:           2
        .value_kind:     hidden_group_size_y
      - .offset:         88
        .size:           2
        .value_kind:     hidden_group_size_z
      - .offset:         90
        .size:           2
        .value_kind:     hidden_remainder_x
      - .offset:         92
        .size:           2
        .value_kind:     hidden_remainder_y
      - .offset:         94
        .size:           2
        .value_kind:     hidden_remainder_z
      - .offset:         112
        .size:           8
        .value_kind:     hidden_global_offset_x
      - .offset:         120
        .size:           8
        .value_kind:     hidden_global_offset_y
      - .offset:         128
        .size:           8
        .value_kind:     hidden_global_offset_z
      - .offset:         136
        .size:           2
        .value_kind:     hidden_grid_dims
    .group_segment_fixed_size: 0
    .kernarg_segment_align: 8
    .kernarg_segment_size: 328
    .language:       OpenCL C
    .language_version:
      - 2
      - 0
    .max_flat_workgroup_size: 256
    .name:           _ZN9rocsparseL21csrmvt_general_kernelILj256ELj4EiiaaffEEvbbT2_NS_24const_host_device_scalarIT6_EEPKT1_S7_PKS1_PKT3_PKT4_PT5_21rocsparse_index_base_b
    .private_segment_fixed_size: 0
    .sgpr_count:     34
    .sgpr_spill_count: 0
    .symbol:         _ZN9rocsparseL21csrmvt_general_kernelILj256ELj4EiiaaffEEvbbT2_NS_24const_host_device_scalarIT6_EEPKT1_S7_PKS1_PKT3_PKT4_PT5_21rocsparse_index_base_b.kd
    .uniform_work_group_size: 1
    .uses_dynamic_stack: false
    .vgpr_count:     14
    .vgpr_spill_count: 0
    .wavefront_size: 64
  - .agpr_count:     0
    .args:
      - .offset:         0
        .size:           1
        .value_kind:     by_value
      - .offset:         1
        .size:           1
        .value_kind:     by_value
      - .offset:         4
        .size:           4
        .value_kind:     by_value
      - .offset:         8
        .size:           8
        .value_kind:     by_value
      - .address_space:  global
        .offset:         16
        .size:           8
        .value_kind:     global_buffer
      - .address_space:  global
        .offset:         24
        .size:           8
        .value_kind:     global_buffer
      - .actual_access:  read_only
        .address_space:  global
        .offset:         32
        .size:           8
        .value_kind:     global_buffer
      - .actual_access:  read_only
        .address_space:  global
        .offset:         40
        .size:           8
        .value_kind:     global_buffer
      - .actual_access:  read_only
        .address_space:  global
        .offset:         48
        .size:           8
        .value_kind:     global_buffer
      - .address_space:  global
        .offset:         56
        .size:           8
        .value_kind:     global_buffer
      - .offset:         64
        .size:           4
        .value_kind:     by_value
      - .offset:         68
        .size:           1
        .value_kind:     by_value
      - .offset:         72
        .size:           4
        .value_kind:     hidden_block_count_x
      - .offset:         76
        .size:           4
        .value_kind:     hidden_block_count_y
      - .offset:         80
        .size:           4
        .value_kind:     hidden_block_count_z
      - .offset:         84
        .size:           2
        .value_kind:     hidden_group_size_x
      - .offset:         86
        .size:           2
        .value_kind:     hidden_group_size_y
      - .offset:         88
        .size:           2
        .value_kind:     hidden_group_size_z
      - .offset:         90
        .size:           2
        .value_kind:     hidden_remainder_x
      - .offset:         92
        .size:           2
        .value_kind:     hidden_remainder_y
      - .offset:         94
        .size:           2
        .value_kind:     hidden_remainder_z
      - .offset:         112
        .size:           8
        .value_kind:     hidden_global_offset_x
      - .offset:         120
        .size:           8
        .value_kind:     hidden_global_offset_y
      - .offset:         128
        .size:           8
        .value_kind:     hidden_global_offset_z
      - .offset:         136
        .size:           2
        .value_kind:     hidden_grid_dims
    .group_segment_fixed_size: 0
    .kernarg_segment_align: 8
    .kernarg_segment_size: 328
    .language:       OpenCL C
    .language_version:
      - 2
      - 0
    .max_flat_workgroup_size: 256
    .name:           _ZN9rocsparseL21csrmvt_general_kernelILj256ELj8EiiaaffEEvbbT2_NS_24const_host_device_scalarIT6_EEPKT1_S7_PKS1_PKT3_PKT4_PT5_21rocsparse_index_base_b
    .private_segment_fixed_size: 0
    .sgpr_count:     34
    .sgpr_spill_count: 0
    .symbol:         _ZN9rocsparseL21csrmvt_general_kernelILj256ELj8EiiaaffEEvbbT2_NS_24const_host_device_scalarIT6_EEPKT1_S7_PKS1_PKT3_PKT4_PT5_21rocsparse_index_base_b.kd
    .uniform_work_group_size: 1
    .uses_dynamic_stack: false
    .vgpr_count:     14
    .vgpr_spill_count: 0
    .wavefront_size: 64
  - .agpr_count:     0
    .args:
      - .offset:         0
        .size:           1
        .value_kind:     by_value
      - .offset:         1
        .size:           1
        .value_kind:     by_value
      - .offset:         4
        .size:           4
        .value_kind:     by_value
      - .offset:         8
        .size:           8
        .value_kind:     by_value
      - .address_space:  global
        .offset:         16
        .size:           8
        .value_kind:     global_buffer
      - .address_space:  global
        .offset:         24
        .size:           8
        .value_kind:     global_buffer
      - .actual_access:  read_only
        .address_space:  global
        .offset:         32
        .size:           8
        .value_kind:     global_buffer
      - .actual_access:  read_only
        .address_space:  global
        .offset:         40
        .size:           8
        .value_kind:     global_buffer
      - .actual_access:  read_only
        .address_space:  global
        .offset:         48
        .size:           8
        .value_kind:     global_buffer
      - .address_space:  global
        .offset:         56
        .size:           8
        .value_kind:     global_buffer
      - .offset:         64
        .size:           4
        .value_kind:     by_value
      - .offset:         68
        .size:           1
        .value_kind:     by_value
      - .offset:         72
        .size:           4
        .value_kind:     hidden_block_count_x
      - .offset:         76
        .size:           4
        .value_kind:     hidden_block_count_y
      - .offset:         80
        .size:           4
        .value_kind:     hidden_block_count_z
      - .offset:         84
        .size:           2
        .value_kind:     hidden_group_size_x
      - .offset:         86
        .size:           2
        .value_kind:     hidden_group_size_y
      - .offset:         88
        .size:           2
        .value_kind:     hidden_group_size_z
      - .offset:         90
        .size:           2
        .value_kind:     hidden_remainder_x
      - .offset:         92
        .size:           2
        .value_kind:     hidden_remainder_y
      - .offset:         94
        .size:           2
        .value_kind:     hidden_remainder_z
      - .offset:         112
        .size:           8
        .value_kind:     hidden_global_offset_x
      - .offset:         120
        .size:           8
        .value_kind:     hidden_global_offset_y
      - .offset:         128
        .size:           8
        .value_kind:     hidden_global_offset_z
      - .offset:         136
        .size:           2
        .value_kind:     hidden_grid_dims
    .group_segment_fixed_size: 0
    .kernarg_segment_align: 8
    .kernarg_segment_size: 328
    .language:       OpenCL C
    .language_version:
      - 2
      - 0
    .max_flat_workgroup_size: 256
    .name:           _ZN9rocsparseL21csrmvt_general_kernelILj256ELj16EiiaaffEEvbbT2_NS_24const_host_device_scalarIT6_EEPKT1_S7_PKS1_PKT3_PKT4_PT5_21rocsparse_index_base_b
    .private_segment_fixed_size: 0
    .sgpr_count:     34
    .sgpr_spill_count: 0
    .symbol:         _ZN9rocsparseL21csrmvt_general_kernelILj256ELj16EiiaaffEEvbbT2_NS_24const_host_device_scalarIT6_EEPKT1_S7_PKS1_PKT3_PKT4_PT5_21rocsparse_index_base_b.kd
    .uniform_work_group_size: 1
    .uses_dynamic_stack: false
    .vgpr_count:     14
    .vgpr_spill_count: 0
    .wavefront_size: 64
  - .agpr_count:     0
    .args:
      - .offset:         0
        .size:           1
        .value_kind:     by_value
      - .offset:         1
        .size:           1
        .value_kind:     by_value
      - .offset:         4
        .size:           4
        .value_kind:     by_value
      - .offset:         8
        .size:           8
        .value_kind:     by_value
      - .address_space:  global
        .offset:         16
        .size:           8
        .value_kind:     global_buffer
      - .address_space:  global
        .offset:         24
        .size:           8
        .value_kind:     global_buffer
      - .actual_access:  read_only
        .address_space:  global
        .offset:         32
        .size:           8
        .value_kind:     global_buffer
      - .actual_access:  read_only
        .address_space:  global
        .offset:         40
        .size:           8
        .value_kind:     global_buffer
      - .actual_access:  read_only
        .address_space:  global
        .offset:         48
        .size:           8
        .value_kind:     global_buffer
      - .address_space:  global
        .offset:         56
        .size:           8
        .value_kind:     global_buffer
      - .offset:         64
        .size:           4
        .value_kind:     by_value
      - .offset:         68
        .size:           1
        .value_kind:     by_value
      - .offset:         72
        .size:           4
        .value_kind:     hidden_block_count_x
      - .offset:         76
        .size:           4
        .value_kind:     hidden_block_count_y
      - .offset:         80
        .size:           4
        .value_kind:     hidden_block_count_z
      - .offset:         84
        .size:           2
        .value_kind:     hidden_group_size_x
      - .offset:         86
        .size:           2
        .value_kind:     hidden_group_size_y
      - .offset:         88
        .size:           2
        .value_kind:     hidden_group_size_z
      - .offset:         90
        .size:           2
        .value_kind:     hidden_remainder_x
      - .offset:         92
        .size:           2
        .value_kind:     hidden_remainder_y
      - .offset:         94
        .size:           2
        .value_kind:     hidden_remainder_z
      - .offset:         112
        .size:           8
        .value_kind:     hidden_global_offset_x
      - .offset:         120
        .size:           8
        .value_kind:     hidden_global_offset_y
      - .offset:         128
        .size:           8
        .value_kind:     hidden_global_offset_z
      - .offset:         136
        .size:           2
        .value_kind:     hidden_grid_dims
    .group_segment_fixed_size: 0
    .kernarg_segment_align: 8
    .kernarg_segment_size: 328
    .language:       OpenCL C
    .language_version:
      - 2
      - 0
    .max_flat_workgroup_size: 256
    .name:           _ZN9rocsparseL21csrmvt_general_kernelILj256ELj32EiiaaffEEvbbT2_NS_24const_host_device_scalarIT6_EEPKT1_S7_PKS1_PKT3_PKT4_PT5_21rocsparse_index_base_b
    .private_segment_fixed_size: 0
    .sgpr_count:     34
    .sgpr_spill_count: 0
    .symbol:         _ZN9rocsparseL21csrmvt_general_kernelILj256ELj32EiiaaffEEvbbT2_NS_24const_host_device_scalarIT6_EEPKT1_S7_PKS1_PKT3_PKT4_PT5_21rocsparse_index_base_b.kd
    .uniform_work_group_size: 1
    .uses_dynamic_stack: false
    .vgpr_count:     14
    .vgpr_spill_count: 0
    .wavefront_size: 64
  - .agpr_count:     0
    .args:
      - .offset:         0
        .size:           1
        .value_kind:     by_value
      - .offset:         1
        .size:           1
        .value_kind:     by_value
      - .offset:         4
        .size:           4
        .value_kind:     by_value
      - .offset:         8
        .size:           8
        .value_kind:     by_value
      - .address_space:  global
        .offset:         16
        .size:           8
        .value_kind:     global_buffer
      - .address_space:  global
        .offset:         24
        .size:           8
        .value_kind:     global_buffer
      - .actual_access:  read_only
        .address_space:  global
        .offset:         32
        .size:           8
        .value_kind:     global_buffer
      - .actual_access:  read_only
        .address_space:  global
        .offset:         40
        .size:           8
        .value_kind:     global_buffer
      - .actual_access:  read_only
        .address_space:  global
        .offset:         48
        .size:           8
        .value_kind:     global_buffer
      - .address_space:  global
        .offset:         56
        .size:           8
        .value_kind:     global_buffer
      - .offset:         64
        .size:           4
        .value_kind:     by_value
      - .offset:         68
        .size:           1
        .value_kind:     by_value
      - .offset:         72
        .size:           4
        .value_kind:     hidden_block_count_x
      - .offset:         76
        .size:           4
        .value_kind:     hidden_block_count_y
      - .offset:         80
        .size:           4
        .value_kind:     hidden_block_count_z
      - .offset:         84
        .size:           2
        .value_kind:     hidden_group_size_x
      - .offset:         86
        .size:           2
        .value_kind:     hidden_group_size_y
      - .offset:         88
        .size:           2
        .value_kind:     hidden_group_size_z
      - .offset:         90
        .size:           2
        .value_kind:     hidden_remainder_x
      - .offset:         92
        .size:           2
        .value_kind:     hidden_remainder_y
      - .offset:         94
        .size:           2
        .value_kind:     hidden_remainder_z
      - .offset:         112
        .size:           8
        .value_kind:     hidden_global_offset_x
      - .offset:         120
        .size:           8
        .value_kind:     hidden_global_offset_y
      - .offset:         128
        .size:           8
        .value_kind:     hidden_global_offset_z
      - .offset:         136
        .size:           2
        .value_kind:     hidden_grid_dims
    .group_segment_fixed_size: 0
    .kernarg_segment_align: 8
    .kernarg_segment_size: 328
    .language:       OpenCL C
    .language_version:
      - 2
      - 0
    .max_flat_workgroup_size: 256
    .name:           _ZN9rocsparseL21csrmvt_general_kernelILj256ELj64EiiaaffEEvbbT2_NS_24const_host_device_scalarIT6_EEPKT1_S7_PKS1_PKT3_PKT4_PT5_21rocsparse_index_base_b
    .private_segment_fixed_size: 0
    .sgpr_count:     34
    .sgpr_spill_count: 0
    .symbol:         _ZN9rocsparseL21csrmvt_general_kernelILj256ELj64EiiaaffEEvbbT2_NS_24const_host_device_scalarIT6_EEPKT1_S7_PKS1_PKT3_PKT4_PT5_21rocsparse_index_base_b.kd
    .uniform_work_group_size: 1
    .uses_dynamic_stack: false
    .vgpr_count:     14
    .vgpr_spill_count: 0
    .wavefront_size: 64
  - .agpr_count:     0
    .args:
      - .offset:         0
        .size:           1
        .value_kind:     by_value
      - .offset:         4
        .size:           4
        .value_kind:     by_value
      - .offset:         8
        .size:           8
        .value_kind:     by_value
      - .address_space:  global
        .offset:         16
        .size:           8
        .value_kind:     global_buffer
      - .address_space:  global
        .offset:         24
        .size:           8
        .value_kind:     global_buffer
      - .actual_access:  read_only
        .address_space:  global
        .offset:         32
        .size:           8
        .value_kind:     global_buffer
      - .actual_access:  read_only
        .address_space:  global
        .offset:         40
        .size:           8
        .value_kind:     global_buffer
      - .actual_access:  read_only
        .address_space:  global
        .offset:         48
        .size:           8
        .value_kind:     global_buffer
      - .offset:         56
        .size:           8
        .value_kind:     by_value
      - .address_space:  global
        .offset:         64
        .size:           8
        .value_kind:     global_buffer
      - .offset:         72
        .size:           4
        .value_kind:     by_value
      - .offset:         76
        .size:           1
        .value_kind:     by_value
      - .offset:         80
        .size:           4
        .value_kind:     hidden_block_count_x
      - .offset:         84
        .size:           4
        .value_kind:     hidden_block_count_y
      - .offset:         88
        .size:           4
        .value_kind:     hidden_block_count_z
      - .offset:         92
        .size:           2
        .value_kind:     hidden_group_size_x
      - .offset:         94
        .size:           2
        .value_kind:     hidden_group_size_y
      - .offset:         96
        .size:           2
        .value_kind:     hidden_group_size_z
      - .offset:         98
        .size:           2
        .value_kind:     hidden_remainder_x
      - .offset:         100
        .size:           2
        .value_kind:     hidden_remainder_y
      - .offset:         102
        .size:           2
        .value_kind:     hidden_remainder_z
      - .offset:         120
        .size:           8
        .value_kind:     hidden_global_offset_x
      - .offset:         128
        .size:           8
        .value_kind:     hidden_global_offset_y
      - .offset:         136
        .size:           8
        .value_kind:     hidden_global_offset_z
      - .offset:         144
        .size:           2
        .value_kind:     hidden_grid_dims
    .group_segment_fixed_size: 0
    .kernarg_segment_align: 8
    .kernarg_segment_size: 336
    .language:       OpenCL C
    .language_version:
      - 2
      - 0
    .max_flat_workgroup_size: 256
    .name:           _ZN9rocsparseL21csrmvn_general_kernelILj256ELj2EliaaffEEvbT2_NS_24const_host_device_scalarIT6_EEPKT1_S7_PKS1_PKT3_PKT4_S4_PT5_21rocsparse_index_base_b
    .private_segment_fixed_size: 0
    .sgpr_count:     31
    .sgpr_spill_count: 0
    .symbol:         _ZN9rocsparseL21csrmvn_general_kernelILj256ELj2EliaaffEEvbT2_NS_24const_host_device_scalarIT6_EEPKT1_S7_PKS1_PKT3_PKT4_S4_PT5_21rocsparse_index_base_b.kd
    .uniform_work_group_size: 1
    .uses_dynamic_stack: false
    .vgpr_count:     19
    .vgpr_spill_count: 0
    .wavefront_size: 64
  - .agpr_count:     0
    .args:
      - .offset:         0
        .size:           1
        .value_kind:     by_value
      - .offset:         4
        .size:           4
        .value_kind:     by_value
      - .offset:         8
        .size:           8
        .value_kind:     by_value
      - .address_space:  global
        .offset:         16
        .size:           8
        .value_kind:     global_buffer
      - .address_space:  global
        .offset:         24
        .size:           8
        .value_kind:     global_buffer
      - .actual_access:  read_only
        .address_space:  global
        .offset:         32
        .size:           8
        .value_kind:     global_buffer
      - .actual_access:  read_only
        .address_space:  global
        .offset:         40
        .size:           8
        .value_kind:     global_buffer
      - .actual_access:  read_only
        .address_space:  global
        .offset:         48
        .size:           8
        .value_kind:     global_buffer
      - .offset:         56
        .size:           8
        .value_kind:     by_value
      - .address_space:  global
        .offset:         64
        .size:           8
        .value_kind:     global_buffer
      - .offset:         72
        .size:           4
        .value_kind:     by_value
      - .offset:         76
        .size:           1
        .value_kind:     by_value
      - .offset:         80
        .size:           4
        .value_kind:     hidden_block_count_x
      - .offset:         84
        .size:           4
        .value_kind:     hidden_block_count_y
      - .offset:         88
        .size:           4
        .value_kind:     hidden_block_count_z
      - .offset:         92
        .size:           2
        .value_kind:     hidden_group_size_x
      - .offset:         94
        .size:           2
        .value_kind:     hidden_group_size_y
      - .offset:         96
        .size:           2
        .value_kind:     hidden_group_size_z
      - .offset:         98
        .size:           2
        .value_kind:     hidden_remainder_x
      - .offset:         100
        .size:           2
        .value_kind:     hidden_remainder_y
      - .offset:         102
        .size:           2
        .value_kind:     hidden_remainder_z
      - .offset:         120
        .size:           8
        .value_kind:     hidden_global_offset_x
      - .offset:         128
        .size:           8
        .value_kind:     hidden_global_offset_y
      - .offset:         136
        .size:           8
        .value_kind:     hidden_global_offset_z
      - .offset:         144
        .size:           2
        .value_kind:     hidden_grid_dims
    .group_segment_fixed_size: 0
    .kernarg_segment_align: 8
    .kernarg_segment_size: 336
    .language:       OpenCL C
    .language_version:
      - 2
      - 0
    .max_flat_workgroup_size: 256
    .name:           _ZN9rocsparseL21csrmvn_general_kernelILj256ELj4EliaaffEEvbT2_NS_24const_host_device_scalarIT6_EEPKT1_S7_PKS1_PKT3_PKT4_S4_PT5_21rocsparse_index_base_b
    .private_segment_fixed_size: 0
    .sgpr_count:     31
    .sgpr_spill_count: 0
    .symbol:         _ZN9rocsparseL21csrmvn_general_kernelILj256ELj4EliaaffEEvbT2_NS_24const_host_device_scalarIT6_EEPKT1_S7_PKS1_PKT3_PKT4_S4_PT5_21rocsparse_index_base_b.kd
    .uniform_work_group_size: 1
    .uses_dynamic_stack: false
    .vgpr_count:     19
    .vgpr_spill_count: 0
    .wavefront_size: 64
  - .agpr_count:     0
    .args:
      - .offset:         0
        .size:           1
        .value_kind:     by_value
      - .offset:         4
        .size:           4
        .value_kind:     by_value
      - .offset:         8
        .size:           8
        .value_kind:     by_value
      - .address_space:  global
        .offset:         16
        .size:           8
        .value_kind:     global_buffer
      - .address_space:  global
        .offset:         24
        .size:           8
        .value_kind:     global_buffer
      - .actual_access:  read_only
        .address_space:  global
        .offset:         32
        .size:           8
        .value_kind:     global_buffer
      - .actual_access:  read_only
        .address_space:  global
        .offset:         40
        .size:           8
        .value_kind:     global_buffer
      - .actual_access:  read_only
        .address_space:  global
        .offset:         48
        .size:           8
        .value_kind:     global_buffer
      - .offset:         56
        .size:           8
        .value_kind:     by_value
      - .address_space:  global
        .offset:         64
        .size:           8
        .value_kind:     global_buffer
      - .offset:         72
        .size:           4
        .value_kind:     by_value
      - .offset:         76
        .size:           1
        .value_kind:     by_value
      - .offset:         80
        .size:           4
        .value_kind:     hidden_block_count_x
      - .offset:         84
        .size:           4
        .value_kind:     hidden_block_count_y
      - .offset:         88
        .size:           4
        .value_kind:     hidden_block_count_z
      - .offset:         92
        .size:           2
        .value_kind:     hidden_group_size_x
      - .offset:         94
        .size:           2
        .value_kind:     hidden_group_size_y
      - .offset:         96
        .size:           2
        .value_kind:     hidden_group_size_z
      - .offset:         98
        .size:           2
        .value_kind:     hidden_remainder_x
      - .offset:         100
        .size:           2
        .value_kind:     hidden_remainder_y
      - .offset:         102
        .size:           2
        .value_kind:     hidden_remainder_z
      - .offset:         120
        .size:           8
        .value_kind:     hidden_global_offset_x
      - .offset:         128
        .size:           8
        .value_kind:     hidden_global_offset_y
      - .offset:         136
        .size:           8
        .value_kind:     hidden_global_offset_z
      - .offset:         144
        .size:           2
        .value_kind:     hidden_grid_dims
    .group_segment_fixed_size: 0
    .kernarg_segment_align: 8
    .kernarg_segment_size: 336
    .language:       OpenCL C
    .language_version:
      - 2
      - 0
    .max_flat_workgroup_size: 256
    .name:           _ZN9rocsparseL21csrmvn_general_kernelILj256ELj8EliaaffEEvbT2_NS_24const_host_device_scalarIT6_EEPKT1_S7_PKS1_PKT3_PKT4_S4_PT5_21rocsparse_index_base_b
    .private_segment_fixed_size: 0
    .sgpr_count:     31
    .sgpr_spill_count: 0
    .symbol:         _ZN9rocsparseL21csrmvn_general_kernelILj256ELj8EliaaffEEvbT2_NS_24const_host_device_scalarIT6_EEPKT1_S7_PKS1_PKT3_PKT4_S4_PT5_21rocsparse_index_base_b.kd
    .uniform_work_group_size: 1
    .uses_dynamic_stack: false
    .vgpr_count:     19
    .vgpr_spill_count: 0
    .wavefront_size: 64
  - .agpr_count:     0
    .args:
      - .offset:         0
        .size:           1
        .value_kind:     by_value
      - .offset:         4
        .size:           4
        .value_kind:     by_value
      - .offset:         8
        .size:           8
        .value_kind:     by_value
      - .address_space:  global
        .offset:         16
        .size:           8
        .value_kind:     global_buffer
      - .address_space:  global
        .offset:         24
        .size:           8
        .value_kind:     global_buffer
      - .actual_access:  read_only
        .address_space:  global
        .offset:         32
        .size:           8
        .value_kind:     global_buffer
      - .actual_access:  read_only
        .address_space:  global
        .offset:         40
        .size:           8
        .value_kind:     global_buffer
      - .actual_access:  read_only
        .address_space:  global
        .offset:         48
        .size:           8
        .value_kind:     global_buffer
      - .offset:         56
        .size:           8
        .value_kind:     by_value
      - .address_space:  global
        .offset:         64
        .size:           8
        .value_kind:     global_buffer
      - .offset:         72
        .size:           4
        .value_kind:     by_value
      - .offset:         76
        .size:           1
        .value_kind:     by_value
      - .offset:         80
        .size:           4
        .value_kind:     hidden_block_count_x
      - .offset:         84
        .size:           4
        .value_kind:     hidden_block_count_y
      - .offset:         88
        .size:           4
        .value_kind:     hidden_block_count_z
      - .offset:         92
        .size:           2
        .value_kind:     hidden_group_size_x
      - .offset:         94
        .size:           2
        .value_kind:     hidden_group_size_y
      - .offset:         96
        .size:           2
        .value_kind:     hidden_group_size_z
      - .offset:         98
        .size:           2
        .value_kind:     hidden_remainder_x
      - .offset:         100
        .size:           2
        .value_kind:     hidden_remainder_y
      - .offset:         102
        .size:           2
        .value_kind:     hidden_remainder_z
      - .offset:         120
        .size:           8
        .value_kind:     hidden_global_offset_x
      - .offset:         128
        .size:           8
        .value_kind:     hidden_global_offset_y
      - .offset:         136
        .size:           8
        .value_kind:     hidden_global_offset_z
      - .offset:         144
        .size:           2
        .value_kind:     hidden_grid_dims
    .group_segment_fixed_size: 0
    .kernarg_segment_align: 8
    .kernarg_segment_size: 336
    .language:       OpenCL C
    .language_version:
      - 2
      - 0
    .max_flat_workgroup_size: 256
    .name:           _ZN9rocsparseL21csrmvn_general_kernelILj256ELj16EliaaffEEvbT2_NS_24const_host_device_scalarIT6_EEPKT1_S7_PKS1_PKT3_PKT4_S4_PT5_21rocsparse_index_base_b
    .private_segment_fixed_size: 0
    .sgpr_count:     31
    .sgpr_spill_count: 0
    .symbol:         _ZN9rocsparseL21csrmvn_general_kernelILj256ELj16EliaaffEEvbT2_NS_24const_host_device_scalarIT6_EEPKT1_S7_PKS1_PKT3_PKT4_S4_PT5_21rocsparse_index_base_b.kd
    .uniform_work_group_size: 1
    .uses_dynamic_stack: false
    .vgpr_count:     19
    .vgpr_spill_count: 0
    .wavefront_size: 64
  - .agpr_count:     0
    .args:
      - .offset:         0
        .size:           1
        .value_kind:     by_value
      - .offset:         4
        .size:           4
        .value_kind:     by_value
      - .offset:         8
        .size:           8
        .value_kind:     by_value
      - .address_space:  global
        .offset:         16
        .size:           8
        .value_kind:     global_buffer
      - .address_space:  global
        .offset:         24
        .size:           8
        .value_kind:     global_buffer
      - .actual_access:  read_only
        .address_space:  global
        .offset:         32
        .size:           8
        .value_kind:     global_buffer
      - .actual_access:  read_only
        .address_space:  global
        .offset:         40
        .size:           8
        .value_kind:     global_buffer
      - .actual_access:  read_only
        .address_space:  global
        .offset:         48
        .size:           8
        .value_kind:     global_buffer
      - .offset:         56
        .size:           8
        .value_kind:     by_value
      - .address_space:  global
        .offset:         64
        .size:           8
        .value_kind:     global_buffer
      - .offset:         72
        .size:           4
        .value_kind:     by_value
      - .offset:         76
        .size:           1
        .value_kind:     by_value
      - .offset:         80
        .size:           4
        .value_kind:     hidden_block_count_x
      - .offset:         84
        .size:           4
        .value_kind:     hidden_block_count_y
      - .offset:         88
        .size:           4
        .value_kind:     hidden_block_count_z
      - .offset:         92
        .size:           2
        .value_kind:     hidden_group_size_x
      - .offset:         94
        .size:           2
        .value_kind:     hidden_group_size_y
      - .offset:         96
        .size:           2
        .value_kind:     hidden_group_size_z
      - .offset:         98
        .size:           2
        .value_kind:     hidden_remainder_x
      - .offset:         100
        .size:           2
        .value_kind:     hidden_remainder_y
      - .offset:         102
        .size:           2
        .value_kind:     hidden_remainder_z
      - .offset:         120
        .size:           8
        .value_kind:     hidden_global_offset_x
      - .offset:         128
        .size:           8
        .value_kind:     hidden_global_offset_y
      - .offset:         136
        .size:           8
        .value_kind:     hidden_global_offset_z
      - .offset:         144
        .size:           2
        .value_kind:     hidden_grid_dims
    .group_segment_fixed_size: 0
    .kernarg_segment_align: 8
    .kernarg_segment_size: 336
    .language:       OpenCL C
    .language_version:
      - 2
      - 0
    .max_flat_workgroup_size: 256
    .name:           _ZN9rocsparseL21csrmvn_general_kernelILj256ELj32EliaaffEEvbT2_NS_24const_host_device_scalarIT6_EEPKT1_S7_PKS1_PKT3_PKT4_S4_PT5_21rocsparse_index_base_b
    .private_segment_fixed_size: 0
    .sgpr_count:     33
    .sgpr_spill_count: 0
    .symbol:         _ZN9rocsparseL21csrmvn_general_kernelILj256ELj32EliaaffEEvbT2_NS_24const_host_device_scalarIT6_EEPKT1_S7_PKS1_PKT3_PKT4_S4_PT5_21rocsparse_index_base_b.kd
    .uniform_work_group_size: 1
    .uses_dynamic_stack: false
    .vgpr_count:     19
    .vgpr_spill_count: 0
    .wavefront_size: 64
  - .agpr_count:     0
    .args:
      - .offset:         0
        .size:           1
        .value_kind:     by_value
      - .offset:         4
        .size:           4
        .value_kind:     by_value
      - .offset:         8
        .size:           8
        .value_kind:     by_value
      - .address_space:  global
        .offset:         16
        .size:           8
        .value_kind:     global_buffer
      - .address_space:  global
        .offset:         24
        .size:           8
        .value_kind:     global_buffer
      - .actual_access:  read_only
        .address_space:  global
        .offset:         32
        .size:           8
        .value_kind:     global_buffer
      - .actual_access:  read_only
        .address_space:  global
        .offset:         40
        .size:           8
        .value_kind:     global_buffer
      - .actual_access:  read_only
        .address_space:  global
        .offset:         48
        .size:           8
        .value_kind:     global_buffer
      - .offset:         56
        .size:           8
        .value_kind:     by_value
      - .address_space:  global
        .offset:         64
        .size:           8
        .value_kind:     global_buffer
      - .offset:         72
        .size:           4
        .value_kind:     by_value
      - .offset:         76
        .size:           1
        .value_kind:     by_value
      - .offset:         80
        .size:           4
        .value_kind:     hidden_block_count_x
      - .offset:         84
        .size:           4
        .value_kind:     hidden_block_count_y
      - .offset:         88
        .size:           4
        .value_kind:     hidden_block_count_z
      - .offset:         92
        .size:           2
        .value_kind:     hidden_group_size_x
      - .offset:         94
        .size:           2
        .value_kind:     hidden_group_size_y
      - .offset:         96
        .size:           2
        .value_kind:     hidden_group_size_z
      - .offset:         98
        .size:           2
        .value_kind:     hidden_remainder_x
      - .offset:         100
        .size:           2
        .value_kind:     hidden_remainder_y
      - .offset:         102
        .size:           2
        .value_kind:     hidden_remainder_z
      - .offset:         120
        .size:           8
        .value_kind:     hidden_global_offset_x
      - .offset:         128
        .size:           8
        .value_kind:     hidden_global_offset_y
      - .offset:         136
        .size:           8
        .value_kind:     hidden_global_offset_z
      - .offset:         144
        .size:           2
        .value_kind:     hidden_grid_dims
    .group_segment_fixed_size: 0
    .kernarg_segment_align: 8
    .kernarg_segment_size: 336
    .language:       OpenCL C
    .language_version:
      - 2
      - 0
    .max_flat_workgroup_size: 256
    .name:           _ZN9rocsparseL21csrmvn_general_kernelILj256ELj64EliaaffEEvbT2_NS_24const_host_device_scalarIT6_EEPKT1_S7_PKS1_PKT3_PKT4_S4_PT5_21rocsparse_index_base_b
    .private_segment_fixed_size: 0
    .sgpr_count:     33
    .sgpr_spill_count: 0
    .symbol:         _ZN9rocsparseL21csrmvn_general_kernelILj256ELj64EliaaffEEvbT2_NS_24const_host_device_scalarIT6_EEPKT1_S7_PKS1_PKT3_PKT4_S4_PT5_21rocsparse_index_base_b.kd
    .uniform_work_group_size: 1
    .uses_dynamic_stack: false
    .vgpr_count:     19
    .vgpr_spill_count: 0
    .wavefront_size: 64
  - .agpr_count:     0
    .args:
      - .offset:         0
        .size:           1
        .value_kind:     by_value
      - .offset:         1
        .size:           1
        .value_kind:     by_value
      - .offset:         4
        .size:           4
        .value_kind:     by_value
      - .offset:         8
        .size:           8
        .value_kind:     by_value
      - .address_space:  global
        .offset:         16
        .size:           8
        .value_kind:     global_buffer
      - .address_space:  global
        .offset:         24
        .size:           8
        .value_kind:     global_buffer
      - .actual_access:  read_only
        .address_space:  global
        .offset:         32
        .size:           8
        .value_kind:     global_buffer
      - .actual_access:  read_only
        .address_space:  global
        .offset:         40
        .size:           8
        .value_kind:     global_buffer
      - .actual_access:  read_only
        .address_space:  global
        .offset:         48
        .size:           8
        .value_kind:     global_buffer
      - .address_space:  global
        .offset:         56
        .size:           8
        .value_kind:     global_buffer
      - .offset:         64
        .size:           4
        .value_kind:     by_value
      - .offset:         68
        .size:           1
        .value_kind:     by_value
      - .offset:         72
        .size:           4
        .value_kind:     hidden_block_count_x
      - .offset:         76
        .size:           4
        .value_kind:     hidden_block_count_y
      - .offset:         80
        .size:           4
        .value_kind:     hidden_block_count_z
      - .offset:         84
        .size:           2
        .value_kind:     hidden_group_size_x
      - .offset:         86
        .size:           2
        .value_kind:     hidden_group_size_y
      - .offset:         88
        .size:           2
        .value_kind:     hidden_group_size_z
      - .offset:         90
        .size:           2
        .value_kind:     hidden_remainder_x
      - .offset:         92
        .size:           2
        .value_kind:     hidden_remainder_y
      - .offset:         94
        .size:           2
        .value_kind:     hidden_remainder_z
      - .offset:         112
        .size:           8
        .value_kind:     hidden_global_offset_x
      - .offset:         120
        .size:           8
        .value_kind:     hidden_global_offset_y
      - .offset:         128
        .size:           8
        .value_kind:     hidden_global_offset_z
      - .offset:         136
        .size:           2
        .value_kind:     hidden_grid_dims
    .group_segment_fixed_size: 0
    .kernarg_segment_align: 8
    .kernarg_segment_size: 328
    .language:       OpenCL C
    .language_version:
      - 2
      - 0
    .max_flat_workgroup_size: 256
    .name:           _ZN9rocsparseL21csrmvt_general_kernelILj256ELj4EliaaffEEvbbT2_NS_24const_host_device_scalarIT6_EEPKT1_S7_PKS1_PKT3_PKT4_PT5_21rocsparse_index_base_b
    .private_segment_fixed_size: 0
    .sgpr_count:     34
    .sgpr_spill_count: 0
    .symbol:         _ZN9rocsparseL21csrmvt_general_kernelILj256ELj4EliaaffEEvbbT2_NS_24const_host_device_scalarIT6_EEPKT1_S7_PKS1_PKT3_PKT4_PT5_21rocsparse_index_base_b.kd
    .uniform_work_group_size: 1
    .uses_dynamic_stack: false
    .vgpr_count:     18
    .vgpr_spill_count: 0
    .wavefront_size: 64
  - .agpr_count:     0
    .args:
      - .offset:         0
        .size:           1
        .value_kind:     by_value
      - .offset:         1
        .size:           1
        .value_kind:     by_value
      - .offset:         4
        .size:           4
        .value_kind:     by_value
      - .offset:         8
        .size:           8
        .value_kind:     by_value
      - .address_space:  global
        .offset:         16
        .size:           8
        .value_kind:     global_buffer
      - .address_space:  global
        .offset:         24
        .size:           8
        .value_kind:     global_buffer
      - .actual_access:  read_only
        .address_space:  global
        .offset:         32
        .size:           8
        .value_kind:     global_buffer
      - .actual_access:  read_only
        .address_space:  global
        .offset:         40
        .size:           8
        .value_kind:     global_buffer
      - .actual_access:  read_only
        .address_space:  global
        .offset:         48
        .size:           8
        .value_kind:     global_buffer
      - .address_space:  global
        .offset:         56
        .size:           8
        .value_kind:     global_buffer
      - .offset:         64
        .size:           4
        .value_kind:     by_value
      - .offset:         68
        .size:           1
        .value_kind:     by_value
      - .offset:         72
        .size:           4
        .value_kind:     hidden_block_count_x
      - .offset:         76
        .size:           4
        .value_kind:     hidden_block_count_y
      - .offset:         80
        .size:           4
        .value_kind:     hidden_block_count_z
      - .offset:         84
        .size:           2
        .value_kind:     hidden_group_size_x
      - .offset:         86
        .size:           2
        .value_kind:     hidden_group_size_y
      - .offset:         88
        .size:           2
        .value_kind:     hidden_group_size_z
      - .offset:         90
        .size:           2
        .value_kind:     hidden_remainder_x
      - .offset:         92
        .size:           2
        .value_kind:     hidden_remainder_y
      - .offset:         94
        .size:           2
        .value_kind:     hidden_remainder_z
      - .offset:         112
        .size:           8
        .value_kind:     hidden_global_offset_x
      - .offset:         120
        .size:           8
        .value_kind:     hidden_global_offset_y
      - .offset:         128
        .size:           8
        .value_kind:     hidden_global_offset_z
      - .offset:         136
        .size:           2
        .value_kind:     hidden_grid_dims
    .group_segment_fixed_size: 0
    .kernarg_segment_align: 8
    .kernarg_segment_size: 328
    .language:       OpenCL C
    .language_version:
      - 2
      - 0
    .max_flat_workgroup_size: 256
    .name:           _ZN9rocsparseL21csrmvt_general_kernelILj256ELj8EliaaffEEvbbT2_NS_24const_host_device_scalarIT6_EEPKT1_S7_PKS1_PKT3_PKT4_PT5_21rocsparse_index_base_b
    .private_segment_fixed_size: 0
    .sgpr_count:     34
    .sgpr_spill_count: 0
    .symbol:         _ZN9rocsparseL21csrmvt_general_kernelILj256ELj8EliaaffEEvbbT2_NS_24const_host_device_scalarIT6_EEPKT1_S7_PKS1_PKT3_PKT4_PT5_21rocsparse_index_base_b.kd
    .uniform_work_group_size: 1
    .uses_dynamic_stack: false
    .vgpr_count:     18
    .vgpr_spill_count: 0
    .wavefront_size: 64
  - .agpr_count:     0
    .args:
      - .offset:         0
        .size:           1
        .value_kind:     by_value
      - .offset:         1
        .size:           1
        .value_kind:     by_value
      - .offset:         4
        .size:           4
        .value_kind:     by_value
      - .offset:         8
        .size:           8
        .value_kind:     by_value
      - .address_space:  global
        .offset:         16
        .size:           8
        .value_kind:     global_buffer
      - .address_space:  global
        .offset:         24
        .size:           8
        .value_kind:     global_buffer
      - .actual_access:  read_only
        .address_space:  global
        .offset:         32
        .size:           8
        .value_kind:     global_buffer
      - .actual_access:  read_only
        .address_space:  global
        .offset:         40
        .size:           8
        .value_kind:     global_buffer
      - .actual_access:  read_only
        .address_space:  global
        .offset:         48
        .size:           8
        .value_kind:     global_buffer
      - .address_space:  global
        .offset:         56
        .size:           8
        .value_kind:     global_buffer
      - .offset:         64
        .size:           4
        .value_kind:     by_value
      - .offset:         68
        .size:           1
        .value_kind:     by_value
      - .offset:         72
        .size:           4
        .value_kind:     hidden_block_count_x
      - .offset:         76
        .size:           4
        .value_kind:     hidden_block_count_y
      - .offset:         80
        .size:           4
        .value_kind:     hidden_block_count_z
      - .offset:         84
        .size:           2
        .value_kind:     hidden_group_size_x
      - .offset:         86
        .size:           2
        .value_kind:     hidden_group_size_y
      - .offset:         88
        .size:           2
        .value_kind:     hidden_group_size_z
      - .offset:         90
        .size:           2
        .value_kind:     hidden_remainder_x
      - .offset:         92
        .size:           2
        .value_kind:     hidden_remainder_y
      - .offset:         94
        .size:           2
        .value_kind:     hidden_remainder_z
      - .offset:         112
        .size:           8
        .value_kind:     hidden_global_offset_x
      - .offset:         120
        .size:           8
        .value_kind:     hidden_global_offset_y
      - .offset:         128
        .size:           8
        .value_kind:     hidden_global_offset_z
      - .offset:         136
        .size:           2
        .value_kind:     hidden_grid_dims
    .group_segment_fixed_size: 0
    .kernarg_segment_align: 8
    .kernarg_segment_size: 328
    .language:       OpenCL C
    .language_version:
      - 2
      - 0
    .max_flat_workgroup_size: 256
    .name:           _ZN9rocsparseL21csrmvt_general_kernelILj256ELj16EliaaffEEvbbT2_NS_24const_host_device_scalarIT6_EEPKT1_S7_PKS1_PKT3_PKT4_PT5_21rocsparse_index_base_b
    .private_segment_fixed_size: 0
    .sgpr_count:     34
    .sgpr_spill_count: 0
    .symbol:         _ZN9rocsparseL21csrmvt_general_kernelILj256ELj16EliaaffEEvbbT2_NS_24const_host_device_scalarIT6_EEPKT1_S7_PKS1_PKT3_PKT4_PT5_21rocsparse_index_base_b.kd
    .uniform_work_group_size: 1
    .uses_dynamic_stack: false
    .vgpr_count:     18
    .vgpr_spill_count: 0
    .wavefront_size: 64
  - .agpr_count:     0
    .args:
      - .offset:         0
        .size:           1
        .value_kind:     by_value
      - .offset:         1
        .size:           1
        .value_kind:     by_value
      - .offset:         4
        .size:           4
        .value_kind:     by_value
      - .offset:         8
        .size:           8
        .value_kind:     by_value
      - .address_space:  global
        .offset:         16
        .size:           8
        .value_kind:     global_buffer
      - .address_space:  global
        .offset:         24
        .size:           8
        .value_kind:     global_buffer
      - .actual_access:  read_only
        .address_space:  global
        .offset:         32
        .size:           8
        .value_kind:     global_buffer
      - .actual_access:  read_only
        .address_space:  global
        .offset:         40
        .size:           8
        .value_kind:     global_buffer
      - .actual_access:  read_only
        .address_space:  global
        .offset:         48
        .size:           8
        .value_kind:     global_buffer
      - .address_space:  global
        .offset:         56
        .size:           8
        .value_kind:     global_buffer
      - .offset:         64
        .size:           4
        .value_kind:     by_value
      - .offset:         68
        .size:           1
        .value_kind:     by_value
      - .offset:         72
        .size:           4
        .value_kind:     hidden_block_count_x
      - .offset:         76
        .size:           4
        .value_kind:     hidden_block_count_y
      - .offset:         80
        .size:           4
        .value_kind:     hidden_block_count_z
      - .offset:         84
        .size:           2
        .value_kind:     hidden_group_size_x
      - .offset:         86
        .size:           2
        .value_kind:     hidden_group_size_y
      - .offset:         88
        .size:           2
        .value_kind:     hidden_group_size_z
      - .offset:         90
        .size:           2
        .value_kind:     hidden_remainder_x
      - .offset:         92
        .size:           2
        .value_kind:     hidden_remainder_y
      - .offset:         94
        .size:           2
        .value_kind:     hidden_remainder_z
      - .offset:         112
        .size:           8
        .value_kind:     hidden_global_offset_x
      - .offset:         120
        .size:           8
        .value_kind:     hidden_global_offset_y
      - .offset:         128
        .size:           8
        .value_kind:     hidden_global_offset_z
      - .offset:         136
        .size:           2
        .value_kind:     hidden_grid_dims
    .group_segment_fixed_size: 0
    .kernarg_segment_align: 8
    .kernarg_segment_size: 328
    .language:       OpenCL C
    .language_version:
      - 2
      - 0
    .max_flat_workgroup_size: 256
    .name:           _ZN9rocsparseL21csrmvt_general_kernelILj256ELj32EliaaffEEvbbT2_NS_24const_host_device_scalarIT6_EEPKT1_S7_PKS1_PKT3_PKT4_PT5_21rocsparse_index_base_b
    .private_segment_fixed_size: 0
    .sgpr_count:     34
    .sgpr_spill_count: 0
    .symbol:         _ZN9rocsparseL21csrmvt_general_kernelILj256ELj32EliaaffEEvbbT2_NS_24const_host_device_scalarIT6_EEPKT1_S7_PKS1_PKT3_PKT4_PT5_21rocsparse_index_base_b.kd
    .uniform_work_group_size: 1
    .uses_dynamic_stack: false
    .vgpr_count:     18
    .vgpr_spill_count: 0
    .wavefront_size: 64
  - .agpr_count:     0
    .args:
      - .offset:         0
        .size:           1
        .value_kind:     by_value
      - .offset:         1
        .size:           1
        .value_kind:     by_value
      - .offset:         4
        .size:           4
        .value_kind:     by_value
      - .offset:         8
        .size:           8
        .value_kind:     by_value
      - .address_space:  global
        .offset:         16
        .size:           8
        .value_kind:     global_buffer
      - .address_space:  global
        .offset:         24
        .size:           8
        .value_kind:     global_buffer
      - .actual_access:  read_only
        .address_space:  global
        .offset:         32
        .size:           8
        .value_kind:     global_buffer
      - .actual_access:  read_only
        .address_space:  global
        .offset:         40
        .size:           8
        .value_kind:     global_buffer
      - .actual_access:  read_only
        .address_space:  global
        .offset:         48
        .size:           8
        .value_kind:     global_buffer
      - .address_space:  global
        .offset:         56
        .size:           8
        .value_kind:     global_buffer
      - .offset:         64
        .size:           4
        .value_kind:     by_value
      - .offset:         68
        .size:           1
        .value_kind:     by_value
      - .offset:         72
        .size:           4
        .value_kind:     hidden_block_count_x
      - .offset:         76
        .size:           4
        .value_kind:     hidden_block_count_y
      - .offset:         80
        .size:           4
        .value_kind:     hidden_block_count_z
      - .offset:         84
        .size:           2
        .value_kind:     hidden_group_size_x
      - .offset:         86
        .size:           2
        .value_kind:     hidden_group_size_y
      - .offset:         88
        .size:           2
        .value_kind:     hidden_group_size_z
      - .offset:         90
        .size:           2
        .value_kind:     hidden_remainder_x
      - .offset:         92
        .size:           2
        .value_kind:     hidden_remainder_y
      - .offset:         94
        .size:           2
        .value_kind:     hidden_remainder_z
      - .offset:         112
        .size:           8
        .value_kind:     hidden_global_offset_x
      - .offset:         120
        .size:           8
        .value_kind:     hidden_global_offset_y
      - .offset:         128
        .size:           8
        .value_kind:     hidden_global_offset_z
      - .offset:         136
        .size:           2
        .value_kind:     hidden_grid_dims
    .group_segment_fixed_size: 0
    .kernarg_segment_align: 8
    .kernarg_segment_size: 328
    .language:       OpenCL C
    .language_version:
      - 2
      - 0
    .max_flat_workgroup_size: 256
    .name:           _ZN9rocsparseL21csrmvt_general_kernelILj256ELj64EliaaffEEvbbT2_NS_24const_host_device_scalarIT6_EEPKT1_S7_PKS1_PKT3_PKT4_PT5_21rocsparse_index_base_b
    .private_segment_fixed_size: 0
    .sgpr_count:     34
    .sgpr_spill_count: 0
    .symbol:         _ZN9rocsparseL21csrmvt_general_kernelILj256ELj64EliaaffEEvbbT2_NS_24const_host_device_scalarIT6_EEPKT1_S7_PKS1_PKT3_PKT4_PT5_21rocsparse_index_base_b.kd
    .uniform_work_group_size: 1
    .uses_dynamic_stack: false
    .vgpr_count:     18
    .vgpr_spill_count: 0
    .wavefront_size: 64
  - .agpr_count:     0
    .args:
      - .offset:         0
        .size:           1
        .value_kind:     by_value
      - .offset:         8
        .size:           8
        .value_kind:     by_value
      - .offset:         16
        .size:           8
        .value_kind:     by_value
      - .address_space:  global
        .offset:         24
        .size:           8
        .value_kind:     global_buffer
      - .address_space:  global
        .offset:         32
        .size:           8
        .value_kind:     global_buffer
      - .actual_access:  read_only
        .address_space:  global
        .offset:         40
        .size:           8
        .value_kind:     global_buffer
      - .actual_access:  read_only
        .address_space:  global
        .offset:         48
        .size:           8
        .value_kind:     global_buffer
      - .actual_access:  read_only
        .address_space:  global
        .offset:         56
        .size:           8
        .value_kind:     global_buffer
      - .offset:         64
        .size:           8
        .value_kind:     by_value
      - .address_space:  global
        .offset:         72
        .size:           8
        .value_kind:     global_buffer
      - .offset:         80
        .size:           4
        .value_kind:     by_value
      - .offset:         84
        .size:           1
        .value_kind:     by_value
      - .offset:         88
        .size:           4
        .value_kind:     hidden_block_count_x
      - .offset:         92
        .size:           4
        .value_kind:     hidden_block_count_y
      - .offset:         96
        .size:           4
        .value_kind:     hidden_block_count_z
      - .offset:         100
        .size:           2
        .value_kind:     hidden_group_size_x
      - .offset:         102
        .size:           2
        .value_kind:     hidden_group_size_y
      - .offset:         104
        .size:           2
        .value_kind:     hidden_group_size_z
      - .offset:         106
        .size:           2
        .value_kind:     hidden_remainder_x
      - .offset:         108
        .size:           2
        .value_kind:     hidden_remainder_y
      - .offset:         110
        .size:           2
        .value_kind:     hidden_remainder_z
      - .offset:         128
        .size:           8
        .value_kind:     hidden_global_offset_x
      - .offset:         136
        .size:           8
        .value_kind:     hidden_global_offset_y
      - .offset:         144
        .size:           8
        .value_kind:     hidden_global_offset_z
      - .offset:         152
        .size:           2
        .value_kind:     hidden_grid_dims
    .group_segment_fixed_size: 0
    .kernarg_segment_align: 8
    .kernarg_segment_size: 344
    .language:       OpenCL C
    .language_version:
      - 2
      - 0
    .max_flat_workgroup_size: 256
    .name:           _ZN9rocsparseL21csrmvn_general_kernelILj256ELj2EllaaffEEvbT2_NS_24const_host_device_scalarIT6_EEPKT1_S7_PKS1_PKT3_PKT4_S4_PT5_21rocsparse_index_base_b
    .private_segment_fixed_size: 0
    .sgpr_count:     32
    .sgpr_spill_count: 0
    .symbol:         _ZN9rocsparseL21csrmvn_general_kernelILj256ELj2EllaaffEEvbT2_NS_24const_host_device_scalarIT6_EEPKT1_S7_PKS1_PKT3_PKT4_S4_PT5_21rocsparse_index_base_b.kd
    .uniform_work_group_size: 1
    .uses_dynamic_stack: false
    .vgpr_count:     21
    .vgpr_spill_count: 0
    .wavefront_size: 64
  - .agpr_count:     0
    .args:
      - .offset:         0
        .size:           1
        .value_kind:     by_value
      - .offset:         8
        .size:           8
        .value_kind:     by_value
      - .offset:         16
        .size:           8
        .value_kind:     by_value
      - .address_space:  global
        .offset:         24
        .size:           8
        .value_kind:     global_buffer
      - .address_space:  global
        .offset:         32
        .size:           8
        .value_kind:     global_buffer
      - .actual_access:  read_only
        .address_space:  global
        .offset:         40
        .size:           8
        .value_kind:     global_buffer
      - .actual_access:  read_only
        .address_space:  global
        .offset:         48
        .size:           8
        .value_kind:     global_buffer
      - .actual_access:  read_only
        .address_space:  global
        .offset:         56
        .size:           8
        .value_kind:     global_buffer
      - .offset:         64
        .size:           8
        .value_kind:     by_value
      - .address_space:  global
        .offset:         72
        .size:           8
        .value_kind:     global_buffer
      - .offset:         80
        .size:           4
        .value_kind:     by_value
      - .offset:         84
        .size:           1
        .value_kind:     by_value
      - .offset:         88
        .size:           4
        .value_kind:     hidden_block_count_x
      - .offset:         92
        .size:           4
        .value_kind:     hidden_block_count_y
      - .offset:         96
        .size:           4
        .value_kind:     hidden_block_count_z
      - .offset:         100
        .size:           2
        .value_kind:     hidden_group_size_x
      - .offset:         102
        .size:           2
        .value_kind:     hidden_group_size_y
      - .offset:         104
        .size:           2
        .value_kind:     hidden_group_size_z
      - .offset:         106
        .size:           2
        .value_kind:     hidden_remainder_x
      - .offset:         108
        .size:           2
        .value_kind:     hidden_remainder_y
      - .offset:         110
        .size:           2
        .value_kind:     hidden_remainder_z
      - .offset:         128
        .size:           8
        .value_kind:     hidden_global_offset_x
      - .offset:         136
        .size:           8
        .value_kind:     hidden_global_offset_y
      - .offset:         144
        .size:           8
        .value_kind:     hidden_global_offset_z
      - .offset:         152
        .size:           2
        .value_kind:     hidden_grid_dims
    .group_segment_fixed_size: 0
    .kernarg_segment_align: 8
    .kernarg_segment_size: 344
    .language:       OpenCL C
    .language_version:
      - 2
      - 0
    .max_flat_workgroup_size: 256
    .name:           _ZN9rocsparseL21csrmvn_general_kernelILj256ELj4EllaaffEEvbT2_NS_24const_host_device_scalarIT6_EEPKT1_S7_PKS1_PKT3_PKT4_S4_PT5_21rocsparse_index_base_b
    .private_segment_fixed_size: 0
    .sgpr_count:     32
    .sgpr_spill_count: 0
    .symbol:         _ZN9rocsparseL21csrmvn_general_kernelILj256ELj4EllaaffEEvbT2_NS_24const_host_device_scalarIT6_EEPKT1_S7_PKS1_PKT3_PKT4_S4_PT5_21rocsparse_index_base_b.kd
    .uniform_work_group_size: 1
    .uses_dynamic_stack: false
    .vgpr_count:     21
    .vgpr_spill_count: 0
    .wavefront_size: 64
  - .agpr_count:     0
    .args:
      - .offset:         0
        .size:           1
        .value_kind:     by_value
      - .offset:         8
        .size:           8
        .value_kind:     by_value
      - .offset:         16
        .size:           8
        .value_kind:     by_value
      - .address_space:  global
        .offset:         24
        .size:           8
        .value_kind:     global_buffer
      - .address_space:  global
        .offset:         32
        .size:           8
        .value_kind:     global_buffer
      - .actual_access:  read_only
        .address_space:  global
        .offset:         40
        .size:           8
        .value_kind:     global_buffer
      - .actual_access:  read_only
        .address_space:  global
        .offset:         48
        .size:           8
        .value_kind:     global_buffer
      - .actual_access:  read_only
        .address_space:  global
        .offset:         56
        .size:           8
        .value_kind:     global_buffer
      - .offset:         64
        .size:           8
        .value_kind:     by_value
      - .address_space:  global
        .offset:         72
        .size:           8
        .value_kind:     global_buffer
      - .offset:         80
        .size:           4
        .value_kind:     by_value
      - .offset:         84
        .size:           1
        .value_kind:     by_value
      - .offset:         88
        .size:           4
        .value_kind:     hidden_block_count_x
      - .offset:         92
        .size:           4
        .value_kind:     hidden_block_count_y
      - .offset:         96
        .size:           4
        .value_kind:     hidden_block_count_z
      - .offset:         100
        .size:           2
        .value_kind:     hidden_group_size_x
      - .offset:         102
        .size:           2
        .value_kind:     hidden_group_size_y
      - .offset:         104
        .size:           2
        .value_kind:     hidden_group_size_z
      - .offset:         106
        .size:           2
        .value_kind:     hidden_remainder_x
      - .offset:         108
        .size:           2
        .value_kind:     hidden_remainder_y
      - .offset:         110
        .size:           2
        .value_kind:     hidden_remainder_z
      - .offset:         128
        .size:           8
        .value_kind:     hidden_global_offset_x
      - .offset:         136
        .size:           8
        .value_kind:     hidden_global_offset_y
      - .offset:         144
        .size:           8
        .value_kind:     hidden_global_offset_z
      - .offset:         152
        .size:           2
        .value_kind:     hidden_grid_dims
    .group_segment_fixed_size: 0
    .kernarg_segment_align: 8
    .kernarg_segment_size: 344
    .language:       OpenCL C
    .language_version:
      - 2
      - 0
    .max_flat_workgroup_size: 256
    .name:           _ZN9rocsparseL21csrmvn_general_kernelILj256ELj8EllaaffEEvbT2_NS_24const_host_device_scalarIT6_EEPKT1_S7_PKS1_PKT3_PKT4_S4_PT5_21rocsparse_index_base_b
    .private_segment_fixed_size: 0
    .sgpr_count:     32
    .sgpr_spill_count: 0
    .symbol:         _ZN9rocsparseL21csrmvn_general_kernelILj256ELj8EllaaffEEvbT2_NS_24const_host_device_scalarIT6_EEPKT1_S7_PKS1_PKT3_PKT4_S4_PT5_21rocsparse_index_base_b.kd
    .uniform_work_group_size: 1
    .uses_dynamic_stack: false
    .vgpr_count:     21
    .vgpr_spill_count: 0
    .wavefront_size: 64
  - .agpr_count:     0
    .args:
      - .offset:         0
        .size:           1
        .value_kind:     by_value
      - .offset:         8
        .size:           8
        .value_kind:     by_value
      - .offset:         16
        .size:           8
        .value_kind:     by_value
      - .address_space:  global
        .offset:         24
        .size:           8
        .value_kind:     global_buffer
      - .address_space:  global
        .offset:         32
        .size:           8
        .value_kind:     global_buffer
      - .actual_access:  read_only
        .address_space:  global
        .offset:         40
        .size:           8
        .value_kind:     global_buffer
      - .actual_access:  read_only
        .address_space:  global
        .offset:         48
        .size:           8
        .value_kind:     global_buffer
      - .actual_access:  read_only
        .address_space:  global
        .offset:         56
        .size:           8
        .value_kind:     global_buffer
      - .offset:         64
        .size:           8
        .value_kind:     by_value
      - .address_space:  global
        .offset:         72
        .size:           8
        .value_kind:     global_buffer
      - .offset:         80
        .size:           4
        .value_kind:     by_value
      - .offset:         84
        .size:           1
        .value_kind:     by_value
      - .offset:         88
        .size:           4
        .value_kind:     hidden_block_count_x
      - .offset:         92
        .size:           4
        .value_kind:     hidden_block_count_y
      - .offset:         96
        .size:           4
        .value_kind:     hidden_block_count_z
      - .offset:         100
        .size:           2
        .value_kind:     hidden_group_size_x
      - .offset:         102
        .size:           2
        .value_kind:     hidden_group_size_y
      - .offset:         104
        .size:           2
        .value_kind:     hidden_group_size_z
      - .offset:         106
        .size:           2
        .value_kind:     hidden_remainder_x
      - .offset:         108
        .size:           2
        .value_kind:     hidden_remainder_y
      - .offset:         110
        .size:           2
        .value_kind:     hidden_remainder_z
      - .offset:         128
        .size:           8
        .value_kind:     hidden_global_offset_x
      - .offset:         136
        .size:           8
        .value_kind:     hidden_global_offset_y
      - .offset:         144
        .size:           8
        .value_kind:     hidden_global_offset_z
      - .offset:         152
        .size:           2
        .value_kind:     hidden_grid_dims
    .group_segment_fixed_size: 0
    .kernarg_segment_align: 8
    .kernarg_segment_size: 344
    .language:       OpenCL C
    .language_version:
      - 2
      - 0
    .max_flat_workgroup_size: 256
    .name:           _ZN9rocsparseL21csrmvn_general_kernelILj256ELj16EllaaffEEvbT2_NS_24const_host_device_scalarIT6_EEPKT1_S7_PKS1_PKT3_PKT4_S4_PT5_21rocsparse_index_base_b
    .private_segment_fixed_size: 0
    .sgpr_count:     34
    .sgpr_spill_count: 0
    .symbol:         _ZN9rocsparseL21csrmvn_general_kernelILj256ELj16EllaaffEEvbT2_NS_24const_host_device_scalarIT6_EEPKT1_S7_PKS1_PKT3_PKT4_S4_PT5_21rocsparse_index_base_b.kd
    .uniform_work_group_size: 1
    .uses_dynamic_stack: false
    .vgpr_count:     21
    .vgpr_spill_count: 0
    .wavefront_size: 64
  - .agpr_count:     0
    .args:
      - .offset:         0
        .size:           1
        .value_kind:     by_value
      - .offset:         8
        .size:           8
        .value_kind:     by_value
      - .offset:         16
        .size:           8
        .value_kind:     by_value
      - .address_space:  global
        .offset:         24
        .size:           8
        .value_kind:     global_buffer
      - .address_space:  global
        .offset:         32
        .size:           8
        .value_kind:     global_buffer
      - .actual_access:  read_only
        .address_space:  global
        .offset:         40
        .size:           8
        .value_kind:     global_buffer
      - .actual_access:  read_only
        .address_space:  global
        .offset:         48
        .size:           8
        .value_kind:     global_buffer
      - .actual_access:  read_only
        .address_space:  global
        .offset:         56
        .size:           8
        .value_kind:     global_buffer
      - .offset:         64
        .size:           8
        .value_kind:     by_value
      - .address_space:  global
        .offset:         72
        .size:           8
        .value_kind:     global_buffer
      - .offset:         80
        .size:           4
        .value_kind:     by_value
      - .offset:         84
        .size:           1
        .value_kind:     by_value
      - .offset:         88
        .size:           4
        .value_kind:     hidden_block_count_x
      - .offset:         92
        .size:           4
        .value_kind:     hidden_block_count_y
      - .offset:         96
        .size:           4
        .value_kind:     hidden_block_count_z
      - .offset:         100
        .size:           2
        .value_kind:     hidden_group_size_x
      - .offset:         102
        .size:           2
        .value_kind:     hidden_group_size_y
      - .offset:         104
        .size:           2
        .value_kind:     hidden_group_size_z
      - .offset:         106
        .size:           2
        .value_kind:     hidden_remainder_x
      - .offset:         108
        .size:           2
        .value_kind:     hidden_remainder_y
      - .offset:         110
        .size:           2
        .value_kind:     hidden_remainder_z
      - .offset:         128
        .size:           8
        .value_kind:     hidden_global_offset_x
      - .offset:         136
        .size:           8
        .value_kind:     hidden_global_offset_y
      - .offset:         144
        .size:           8
        .value_kind:     hidden_global_offset_z
      - .offset:         152
        .size:           2
        .value_kind:     hidden_grid_dims
    .group_segment_fixed_size: 0
    .kernarg_segment_align: 8
    .kernarg_segment_size: 344
    .language:       OpenCL C
    .language_version:
      - 2
      - 0
    .max_flat_workgroup_size: 256
    .name:           _ZN9rocsparseL21csrmvn_general_kernelILj256ELj32EllaaffEEvbT2_NS_24const_host_device_scalarIT6_EEPKT1_S7_PKS1_PKT3_PKT4_S4_PT5_21rocsparse_index_base_b
    .private_segment_fixed_size: 0
    .sgpr_count:     34
    .sgpr_spill_count: 0
    .symbol:         _ZN9rocsparseL21csrmvn_general_kernelILj256ELj32EllaaffEEvbT2_NS_24const_host_device_scalarIT6_EEPKT1_S7_PKS1_PKT3_PKT4_S4_PT5_21rocsparse_index_base_b.kd
    .uniform_work_group_size: 1
    .uses_dynamic_stack: false
    .vgpr_count:     21
    .vgpr_spill_count: 0
    .wavefront_size: 64
  - .agpr_count:     0
    .args:
      - .offset:         0
        .size:           1
        .value_kind:     by_value
      - .offset:         8
        .size:           8
        .value_kind:     by_value
      - .offset:         16
        .size:           8
        .value_kind:     by_value
      - .address_space:  global
        .offset:         24
        .size:           8
        .value_kind:     global_buffer
      - .address_space:  global
        .offset:         32
        .size:           8
        .value_kind:     global_buffer
      - .actual_access:  read_only
        .address_space:  global
        .offset:         40
        .size:           8
        .value_kind:     global_buffer
      - .actual_access:  read_only
        .address_space:  global
        .offset:         48
        .size:           8
        .value_kind:     global_buffer
      - .actual_access:  read_only
        .address_space:  global
        .offset:         56
        .size:           8
        .value_kind:     global_buffer
      - .offset:         64
        .size:           8
        .value_kind:     by_value
      - .address_space:  global
        .offset:         72
        .size:           8
        .value_kind:     global_buffer
      - .offset:         80
        .size:           4
        .value_kind:     by_value
      - .offset:         84
        .size:           1
        .value_kind:     by_value
      - .offset:         88
        .size:           4
        .value_kind:     hidden_block_count_x
      - .offset:         92
        .size:           4
        .value_kind:     hidden_block_count_y
      - .offset:         96
        .size:           4
        .value_kind:     hidden_block_count_z
      - .offset:         100
        .size:           2
        .value_kind:     hidden_group_size_x
      - .offset:         102
        .size:           2
        .value_kind:     hidden_group_size_y
      - .offset:         104
        .size:           2
        .value_kind:     hidden_group_size_z
      - .offset:         106
        .size:           2
        .value_kind:     hidden_remainder_x
      - .offset:         108
        .size:           2
        .value_kind:     hidden_remainder_y
      - .offset:         110
        .size:           2
        .value_kind:     hidden_remainder_z
      - .offset:         128
        .size:           8
        .value_kind:     hidden_global_offset_x
      - .offset:         136
        .size:           8
        .value_kind:     hidden_global_offset_y
      - .offset:         144
        .size:           8
        .value_kind:     hidden_global_offset_z
      - .offset:         152
        .size:           2
        .value_kind:     hidden_grid_dims
    .group_segment_fixed_size: 0
    .kernarg_segment_align: 8
    .kernarg_segment_size: 344
    .language:       OpenCL C
    .language_version:
      - 2
      - 0
    .max_flat_workgroup_size: 256
    .name:           _ZN9rocsparseL21csrmvn_general_kernelILj256ELj64EllaaffEEvbT2_NS_24const_host_device_scalarIT6_EEPKT1_S7_PKS1_PKT3_PKT4_S4_PT5_21rocsparse_index_base_b
    .private_segment_fixed_size: 0
    .sgpr_count:     34
    .sgpr_spill_count: 0
    .symbol:         _ZN9rocsparseL21csrmvn_general_kernelILj256ELj64EllaaffEEvbT2_NS_24const_host_device_scalarIT6_EEPKT1_S7_PKS1_PKT3_PKT4_S4_PT5_21rocsparse_index_base_b.kd
    .uniform_work_group_size: 1
    .uses_dynamic_stack: false
    .vgpr_count:     21
    .vgpr_spill_count: 0
    .wavefront_size: 64
  - .agpr_count:     0
    .args:
      - .offset:         0
        .size:           1
        .value_kind:     by_value
      - .offset:         1
        .size:           1
        .value_kind:     by_value
      - .offset:         8
        .size:           8
        .value_kind:     by_value
      - .offset:         16
        .size:           8
        .value_kind:     by_value
      - .address_space:  global
        .offset:         24
        .size:           8
        .value_kind:     global_buffer
      - .address_space:  global
        .offset:         32
        .size:           8
        .value_kind:     global_buffer
      - .actual_access:  read_only
        .address_space:  global
        .offset:         40
        .size:           8
        .value_kind:     global_buffer
      - .actual_access:  read_only
        .address_space:  global
        .offset:         48
        .size:           8
        .value_kind:     global_buffer
      - .actual_access:  read_only
        .address_space:  global
        .offset:         56
        .size:           8
        .value_kind:     global_buffer
      - .address_space:  global
        .offset:         64
        .size:           8
        .value_kind:     global_buffer
      - .offset:         72
        .size:           4
        .value_kind:     by_value
      - .offset:         76
        .size:           1
        .value_kind:     by_value
      - .offset:         80
        .size:           4
        .value_kind:     hidden_block_count_x
      - .offset:         84
        .size:           4
        .value_kind:     hidden_block_count_y
      - .offset:         88
        .size:           4
        .value_kind:     hidden_block_count_z
      - .offset:         92
        .size:           2
        .value_kind:     hidden_group_size_x
      - .offset:         94
        .size:           2
        .value_kind:     hidden_group_size_y
      - .offset:         96
        .size:           2
        .value_kind:     hidden_group_size_z
      - .offset:         98
        .size:           2
        .value_kind:     hidden_remainder_x
      - .offset:         100
        .size:           2
        .value_kind:     hidden_remainder_y
      - .offset:         102
        .size:           2
        .value_kind:     hidden_remainder_z
      - .offset:         120
        .size:           8
        .value_kind:     hidden_global_offset_x
      - .offset:         128
        .size:           8
        .value_kind:     hidden_global_offset_y
      - .offset:         136
        .size:           8
        .value_kind:     hidden_global_offset_z
      - .offset:         144
        .size:           2
        .value_kind:     hidden_grid_dims
    .group_segment_fixed_size: 0
    .kernarg_segment_align: 8
    .kernarg_segment_size: 336
    .language:       OpenCL C
    .language_version:
      - 2
      - 0
    .max_flat_workgroup_size: 256
    .name:           _ZN9rocsparseL21csrmvt_general_kernelILj256ELj4EllaaffEEvbbT2_NS_24const_host_device_scalarIT6_EEPKT1_S7_PKS1_PKT3_PKT4_PT5_21rocsparse_index_base_b
    .private_segment_fixed_size: 0
    .sgpr_count:     34
    .sgpr_spill_count: 0
    .symbol:         _ZN9rocsparseL21csrmvt_general_kernelILj256ELj4EllaaffEEvbbT2_NS_24const_host_device_scalarIT6_EEPKT1_S7_PKS1_PKT3_PKT4_PT5_21rocsparse_index_base_b.kd
    .uniform_work_group_size: 1
    .uses_dynamic_stack: false
    .vgpr_count:     20
    .vgpr_spill_count: 0
    .wavefront_size: 64
  - .agpr_count:     0
    .args:
      - .offset:         0
        .size:           1
        .value_kind:     by_value
      - .offset:         1
        .size:           1
        .value_kind:     by_value
      - .offset:         8
        .size:           8
        .value_kind:     by_value
      - .offset:         16
        .size:           8
        .value_kind:     by_value
      - .address_space:  global
        .offset:         24
        .size:           8
        .value_kind:     global_buffer
      - .address_space:  global
        .offset:         32
        .size:           8
        .value_kind:     global_buffer
      - .actual_access:  read_only
        .address_space:  global
        .offset:         40
        .size:           8
        .value_kind:     global_buffer
      - .actual_access:  read_only
        .address_space:  global
        .offset:         48
        .size:           8
        .value_kind:     global_buffer
      - .actual_access:  read_only
        .address_space:  global
        .offset:         56
        .size:           8
        .value_kind:     global_buffer
      - .address_space:  global
        .offset:         64
        .size:           8
        .value_kind:     global_buffer
      - .offset:         72
        .size:           4
        .value_kind:     by_value
      - .offset:         76
        .size:           1
        .value_kind:     by_value
      - .offset:         80
        .size:           4
        .value_kind:     hidden_block_count_x
      - .offset:         84
        .size:           4
        .value_kind:     hidden_block_count_y
      - .offset:         88
        .size:           4
        .value_kind:     hidden_block_count_z
      - .offset:         92
        .size:           2
        .value_kind:     hidden_group_size_x
      - .offset:         94
        .size:           2
        .value_kind:     hidden_group_size_y
      - .offset:         96
        .size:           2
        .value_kind:     hidden_group_size_z
      - .offset:         98
        .size:           2
        .value_kind:     hidden_remainder_x
      - .offset:         100
        .size:           2
        .value_kind:     hidden_remainder_y
      - .offset:         102
        .size:           2
        .value_kind:     hidden_remainder_z
      - .offset:         120
        .size:           8
        .value_kind:     hidden_global_offset_x
      - .offset:         128
        .size:           8
        .value_kind:     hidden_global_offset_y
      - .offset:         136
        .size:           8
        .value_kind:     hidden_global_offset_z
      - .offset:         144
        .size:           2
        .value_kind:     hidden_grid_dims
    .group_segment_fixed_size: 0
    .kernarg_segment_align: 8
    .kernarg_segment_size: 336
    .language:       OpenCL C
    .language_version:
      - 2
      - 0
    .max_flat_workgroup_size: 256
    .name:           _ZN9rocsparseL21csrmvt_general_kernelILj256ELj8EllaaffEEvbbT2_NS_24const_host_device_scalarIT6_EEPKT1_S7_PKS1_PKT3_PKT4_PT5_21rocsparse_index_base_b
    .private_segment_fixed_size: 0
    .sgpr_count:     34
    .sgpr_spill_count: 0
    .symbol:         _ZN9rocsparseL21csrmvt_general_kernelILj256ELj8EllaaffEEvbbT2_NS_24const_host_device_scalarIT6_EEPKT1_S7_PKS1_PKT3_PKT4_PT5_21rocsparse_index_base_b.kd
    .uniform_work_group_size: 1
    .uses_dynamic_stack: false
    .vgpr_count:     20
    .vgpr_spill_count: 0
    .wavefront_size: 64
  - .agpr_count:     0
    .args:
      - .offset:         0
        .size:           1
        .value_kind:     by_value
      - .offset:         1
        .size:           1
        .value_kind:     by_value
      - .offset:         8
        .size:           8
        .value_kind:     by_value
      - .offset:         16
        .size:           8
        .value_kind:     by_value
      - .address_space:  global
        .offset:         24
        .size:           8
        .value_kind:     global_buffer
      - .address_space:  global
        .offset:         32
        .size:           8
        .value_kind:     global_buffer
      - .actual_access:  read_only
        .address_space:  global
        .offset:         40
        .size:           8
        .value_kind:     global_buffer
      - .actual_access:  read_only
        .address_space:  global
        .offset:         48
        .size:           8
        .value_kind:     global_buffer
      - .actual_access:  read_only
        .address_space:  global
        .offset:         56
        .size:           8
        .value_kind:     global_buffer
      - .address_space:  global
        .offset:         64
        .size:           8
        .value_kind:     global_buffer
      - .offset:         72
        .size:           4
        .value_kind:     by_value
      - .offset:         76
        .size:           1
        .value_kind:     by_value
      - .offset:         80
        .size:           4
        .value_kind:     hidden_block_count_x
      - .offset:         84
        .size:           4
        .value_kind:     hidden_block_count_y
      - .offset:         88
        .size:           4
        .value_kind:     hidden_block_count_z
      - .offset:         92
        .size:           2
        .value_kind:     hidden_group_size_x
      - .offset:         94
        .size:           2
        .value_kind:     hidden_group_size_y
      - .offset:         96
        .size:           2
        .value_kind:     hidden_group_size_z
      - .offset:         98
        .size:           2
        .value_kind:     hidden_remainder_x
      - .offset:         100
        .size:           2
        .value_kind:     hidden_remainder_y
      - .offset:         102
        .size:           2
        .value_kind:     hidden_remainder_z
      - .offset:         120
        .size:           8
        .value_kind:     hidden_global_offset_x
      - .offset:         128
        .size:           8
        .value_kind:     hidden_global_offset_y
      - .offset:         136
        .size:           8
        .value_kind:     hidden_global_offset_z
      - .offset:         144
        .size:           2
        .value_kind:     hidden_grid_dims
    .group_segment_fixed_size: 0
    .kernarg_segment_align: 8
    .kernarg_segment_size: 336
    .language:       OpenCL C
    .language_version:
      - 2
      - 0
    .max_flat_workgroup_size: 256
    .name:           _ZN9rocsparseL21csrmvt_general_kernelILj256ELj16EllaaffEEvbbT2_NS_24const_host_device_scalarIT6_EEPKT1_S7_PKS1_PKT3_PKT4_PT5_21rocsparse_index_base_b
    .private_segment_fixed_size: 0
    .sgpr_count:     34
    .sgpr_spill_count: 0
    .symbol:         _ZN9rocsparseL21csrmvt_general_kernelILj256ELj16EllaaffEEvbbT2_NS_24const_host_device_scalarIT6_EEPKT1_S7_PKS1_PKT3_PKT4_PT5_21rocsparse_index_base_b.kd
    .uniform_work_group_size: 1
    .uses_dynamic_stack: false
    .vgpr_count:     20
    .vgpr_spill_count: 0
    .wavefront_size: 64
  - .agpr_count:     0
    .args:
      - .offset:         0
        .size:           1
        .value_kind:     by_value
      - .offset:         1
        .size:           1
        .value_kind:     by_value
      - .offset:         8
        .size:           8
        .value_kind:     by_value
      - .offset:         16
        .size:           8
        .value_kind:     by_value
      - .address_space:  global
        .offset:         24
        .size:           8
        .value_kind:     global_buffer
      - .address_space:  global
        .offset:         32
        .size:           8
        .value_kind:     global_buffer
      - .actual_access:  read_only
        .address_space:  global
        .offset:         40
        .size:           8
        .value_kind:     global_buffer
      - .actual_access:  read_only
        .address_space:  global
        .offset:         48
        .size:           8
        .value_kind:     global_buffer
      - .actual_access:  read_only
        .address_space:  global
        .offset:         56
        .size:           8
        .value_kind:     global_buffer
      - .address_space:  global
        .offset:         64
        .size:           8
        .value_kind:     global_buffer
      - .offset:         72
        .size:           4
        .value_kind:     by_value
      - .offset:         76
        .size:           1
        .value_kind:     by_value
      - .offset:         80
        .size:           4
        .value_kind:     hidden_block_count_x
      - .offset:         84
        .size:           4
        .value_kind:     hidden_block_count_y
      - .offset:         88
        .size:           4
        .value_kind:     hidden_block_count_z
      - .offset:         92
        .size:           2
        .value_kind:     hidden_group_size_x
      - .offset:         94
        .size:           2
        .value_kind:     hidden_group_size_y
      - .offset:         96
        .size:           2
        .value_kind:     hidden_group_size_z
      - .offset:         98
        .size:           2
        .value_kind:     hidden_remainder_x
      - .offset:         100
        .size:           2
        .value_kind:     hidden_remainder_y
      - .offset:         102
        .size:           2
        .value_kind:     hidden_remainder_z
      - .offset:         120
        .size:           8
        .value_kind:     hidden_global_offset_x
      - .offset:         128
        .size:           8
        .value_kind:     hidden_global_offset_y
      - .offset:         136
        .size:           8
        .value_kind:     hidden_global_offset_z
      - .offset:         144
        .size:           2
        .value_kind:     hidden_grid_dims
    .group_segment_fixed_size: 0
    .kernarg_segment_align: 8
    .kernarg_segment_size: 336
    .language:       OpenCL C
    .language_version:
      - 2
      - 0
    .max_flat_workgroup_size: 256
    .name:           _ZN9rocsparseL21csrmvt_general_kernelILj256ELj32EllaaffEEvbbT2_NS_24const_host_device_scalarIT6_EEPKT1_S7_PKS1_PKT3_PKT4_PT5_21rocsparse_index_base_b
    .private_segment_fixed_size: 0
    .sgpr_count:     34
    .sgpr_spill_count: 0
    .symbol:         _ZN9rocsparseL21csrmvt_general_kernelILj256ELj32EllaaffEEvbbT2_NS_24const_host_device_scalarIT6_EEPKT1_S7_PKS1_PKT3_PKT4_PT5_21rocsparse_index_base_b.kd
    .uniform_work_group_size: 1
    .uses_dynamic_stack: false
    .vgpr_count:     20
    .vgpr_spill_count: 0
    .wavefront_size: 64
  - .agpr_count:     0
    .args:
      - .offset:         0
        .size:           1
        .value_kind:     by_value
      - .offset:         1
        .size:           1
        .value_kind:     by_value
      - .offset:         8
        .size:           8
        .value_kind:     by_value
      - .offset:         16
        .size:           8
        .value_kind:     by_value
      - .address_space:  global
        .offset:         24
        .size:           8
        .value_kind:     global_buffer
      - .address_space:  global
        .offset:         32
        .size:           8
        .value_kind:     global_buffer
      - .actual_access:  read_only
        .address_space:  global
        .offset:         40
        .size:           8
        .value_kind:     global_buffer
      - .actual_access:  read_only
        .address_space:  global
        .offset:         48
        .size:           8
        .value_kind:     global_buffer
      - .actual_access:  read_only
        .address_space:  global
        .offset:         56
        .size:           8
        .value_kind:     global_buffer
      - .address_space:  global
        .offset:         64
        .size:           8
        .value_kind:     global_buffer
      - .offset:         72
        .size:           4
        .value_kind:     by_value
      - .offset:         76
        .size:           1
        .value_kind:     by_value
      - .offset:         80
        .size:           4
        .value_kind:     hidden_block_count_x
      - .offset:         84
        .size:           4
        .value_kind:     hidden_block_count_y
      - .offset:         88
        .size:           4
        .value_kind:     hidden_block_count_z
      - .offset:         92
        .size:           2
        .value_kind:     hidden_group_size_x
      - .offset:         94
        .size:           2
        .value_kind:     hidden_group_size_y
      - .offset:         96
        .size:           2
        .value_kind:     hidden_group_size_z
      - .offset:         98
        .size:           2
        .value_kind:     hidden_remainder_x
      - .offset:         100
        .size:           2
        .value_kind:     hidden_remainder_y
      - .offset:         102
        .size:           2
        .value_kind:     hidden_remainder_z
      - .offset:         120
        .size:           8
        .value_kind:     hidden_global_offset_x
      - .offset:         128
        .size:           8
        .value_kind:     hidden_global_offset_y
      - .offset:         136
        .size:           8
        .value_kind:     hidden_global_offset_z
      - .offset:         144
        .size:           2
        .value_kind:     hidden_grid_dims
    .group_segment_fixed_size: 0
    .kernarg_segment_align: 8
    .kernarg_segment_size: 336
    .language:       OpenCL C
    .language_version:
      - 2
      - 0
    .max_flat_workgroup_size: 256
    .name:           _ZN9rocsparseL21csrmvt_general_kernelILj256ELj64EllaaffEEvbbT2_NS_24const_host_device_scalarIT6_EEPKT1_S7_PKS1_PKT3_PKT4_PT5_21rocsparse_index_base_b
    .private_segment_fixed_size: 0
    .sgpr_count:     34
    .sgpr_spill_count: 0
    .symbol:         _ZN9rocsparseL21csrmvt_general_kernelILj256ELj64EllaaffEEvbbT2_NS_24const_host_device_scalarIT6_EEPKT1_S7_PKS1_PKT3_PKT4_PT5_21rocsparse_index_base_b.kd
    .uniform_work_group_size: 1
    .uses_dynamic_stack: false
    .vgpr_count:     20
    .vgpr_spill_count: 0
    .wavefront_size: 64
  - .agpr_count:     0
    .args:
      - .offset:         0
        .size:           1
        .value_kind:     by_value
      - .offset:         4
        .size:           4
        .value_kind:     by_value
      - .offset:         8
        .size:           8
        .value_kind:     by_value
      - .address_space:  global
        .offset:         16
        .size:           8
        .value_kind:     global_buffer
      - .address_space:  global
        .offset:         24
        .size:           8
        .value_kind:     global_buffer
      - .actual_access:  read_only
        .address_space:  global
        .offset:         32
        .size:           8
        .value_kind:     global_buffer
      - .actual_access:  read_only
        .address_space:  global
        .offset:         40
        .size:           8
        .value_kind:     global_buffer
      - .actual_access:  read_only
        .address_space:  global
        .offset:         48
        .size:           8
        .value_kind:     global_buffer
      - .offset:         56
        .size:           8
        .value_kind:     by_value
      - .address_space:  global
        .offset:         64
        .size:           8
        .value_kind:     global_buffer
      - .offset:         72
        .size:           4
        .value_kind:     by_value
      - .offset:         76
        .size:           1
        .value_kind:     by_value
      - .offset:         80
        .size:           4
        .value_kind:     hidden_block_count_x
      - .offset:         84
        .size:           4
        .value_kind:     hidden_block_count_y
      - .offset:         88
        .size:           4
        .value_kind:     hidden_block_count_z
      - .offset:         92
        .size:           2
        .value_kind:     hidden_group_size_x
      - .offset:         94
        .size:           2
        .value_kind:     hidden_group_size_y
      - .offset:         96
        .size:           2
        .value_kind:     hidden_group_size_z
      - .offset:         98
        .size:           2
        .value_kind:     hidden_remainder_x
      - .offset:         100
        .size:           2
        .value_kind:     hidden_remainder_y
      - .offset:         102
        .size:           2
        .value_kind:     hidden_remainder_z
      - .offset:         120
        .size:           8
        .value_kind:     hidden_global_offset_x
      - .offset:         128
        .size:           8
        .value_kind:     hidden_global_offset_y
      - .offset:         136
        .size:           8
        .value_kind:     hidden_global_offset_z
      - .offset:         144
        .size:           2
        .value_kind:     hidden_grid_dims
    .group_segment_fixed_size: 0
    .kernarg_segment_align: 8
    .kernarg_segment_size: 336
    .language:       OpenCL C
    .language_version:
      - 2
      - 0
    .max_flat_workgroup_size: 256
    .name:           _ZN9rocsparseL21csrmvn_general_kernelILj256ELj2EiiDF16_DF16_ffEEvbT2_NS_24const_host_device_scalarIT6_EEPKT1_S7_PKS1_PKT3_PKT4_S4_PT5_21rocsparse_index_base_b
    .private_segment_fixed_size: 0
    .sgpr_count:     31
    .sgpr_spill_count: 0
    .symbol:         _ZN9rocsparseL21csrmvn_general_kernelILj256ELj2EiiDF16_DF16_ffEEvbT2_NS_24const_host_device_scalarIT6_EEPKT1_S7_PKS1_PKT3_PKT4_S4_PT5_21rocsparse_index_base_b.kd
    .uniform_work_group_size: 1
    .uses_dynamic_stack: false
    .vgpr_count:     14
    .vgpr_spill_count: 0
    .wavefront_size: 64
  - .agpr_count:     0
    .args:
      - .offset:         0
        .size:           1
        .value_kind:     by_value
      - .offset:         4
        .size:           4
        .value_kind:     by_value
      - .offset:         8
        .size:           8
        .value_kind:     by_value
      - .address_space:  global
        .offset:         16
        .size:           8
        .value_kind:     global_buffer
      - .address_space:  global
        .offset:         24
        .size:           8
        .value_kind:     global_buffer
      - .actual_access:  read_only
        .address_space:  global
        .offset:         32
        .size:           8
        .value_kind:     global_buffer
      - .actual_access:  read_only
        .address_space:  global
        .offset:         40
        .size:           8
        .value_kind:     global_buffer
      - .actual_access:  read_only
        .address_space:  global
        .offset:         48
        .size:           8
        .value_kind:     global_buffer
      - .offset:         56
        .size:           8
        .value_kind:     by_value
      - .address_space:  global
        .offset:         64
        .size:           8
        .value_kind:     global_buffer
      - .offset:         72
        .size:           4
        .value_kind:     by_value
      - .offset:         76
        .size:           1
        .value_kind:     by_value
      - .offset:         80
        .size:           4
        .value_kind:     hidden_block_count_x
      - .offset:         84
        .size:           4
        .value_kind:     hidden_block_count_y
      - .offset:         88
        .size:           4
        .value_kind:     hidden_block_count_z
      - .offset:         92
        .size:           2
        .value_kind:     hidden_group_size_x
      - .offset:         94
        .size:           2
        .value_kind:     hidden_group_size_y
      - .offset:         96
        .size:           2
        .value_kind:     hidden_group_size_z
      - .offset:         98
        .size:           2
        .value_kind:     hidden_remainder_x
      - .offset:         100
        .size:           2
        .value_kind:     hidden_remainder_y
      - .offset:         102
        .size:           2
        .value_kind:     hidden_remainder_z
      - .offset:         120
        .size:           8
        .value_kind:     hidden_global_offset_x
      - .offset:         128
        .size:           8
        .value_kind:     hidden_global_offset_y
      - .offset:         136
        .size:           8
        .value_kind:     hidden_global_offset_z
      - .offset:         144
        .size:           2
        .value_kind:     hidden_grid_dims
    .group_segment_fixed_size: 0
    .kernarg_segment_align: 8
    .kernarg_segment_size: 336
    .language:       OpenCL C
    .language_version:
      - 2
      - 0
    .max_flat_workgroup_size: 256
    .name:           _ZN9rocsparseL21csrmvn_general_kernelILj256ELj4EiiDF16_DF16_ffEEvbT2_NS_24const_host_device_scalarIT6_EEPKT1_S7_PKS1_PKT3_PKT4_S4_PT5_21rocsparse_index_base_b
    .private_segment_fixed_size: 0
    .sgpr_count:     31
    .sgpr_spill_count: 0
    .symbol:         _ZN9rocsparseL21csrmvn_general_kernelILj256ELj4EiiDF16_DF16_ffEEvbT2_NS_24const_host_device_scalarIT6_EEPKT1_S7_PKS1_PKT3_PKT4_S4_PT5_21rocsparse_index_base_b.kd
    .uniform_work_group_size: 1
    .uses_dynamic_stack: false
    .vgpr_count:     14
    .vgpr_spill_count: 0
    .wavefront_size: 64
  - .agpr_count:     0
    .args:
      - .offset:         0
        .size:           1
        .value_kind:     by_value
      - .offset:         4
        .size:           4
        .value_kind:     by_value
      - .offset:         8
        .size:           8
        .value_kind:     by_value
      - .address_space:  global
        .offset:         16
        .size:           8
        .value_kind:     global_buffer
      - .address_space:  global
        .offset:         24
        .size:           8
        .value_kind:     global_buffer
      - .actual_access:  read_only
        .address_space:  global
        .offset:         32
        .size:           8
        .value_kind:     global_buffer
      - .actual_access:  read_only
        .address_space:  global
        .offset:         40
        .size:           8
        .value_kind:     global_buffer
      - .actual_access:  read_only
        .address_space:  global
        .offset:         48
        .size:           8
        .value_kind:     global_buffer
      - .offset:         56
        .size:           8
        .value_kind:     by_value
      - .address_space:  global
        .offset:         64
        .size:           8
        .value_kind:     global_buffer
      - .offset:         72
        .size:           4
        .value_kind:     by_value
      - .offset:         76
        .size:           1
        .value_kind:     by_value
      - .offset:         80
        .size:           4
        .value_kind:     hidden_block_count_x
      - .offset:         84
        .size:           4
        .value_kind:     hidden_block_count_y
      - .offset:         88
        .size:           4
        .value_kind:     hidden_block_count_z
      - .offset:         92
        .size:           2
        .value_kind:     hidden_group_size_x
      - .offset:         94
        .size:           2
        .value_kind:     hidden_group_size_y
      - .offset:         96
        .size:           2
        .value_kind:     hidden_group_size_z
      - .offset:         98
        .size:           2
        .value_kind:     hidden_remainder_x
      - .offset:         100
        .size:           2
        .value_kind:     hidden_remainder_y
      - .offset:         102
        .size:           2
        .value_kind:     hidden_remainder_z
      - .offset:         120
        .size:           8
        .value_kind:     hidden_global_offset_x
      - .offset:         128
        .size:           8
        .value_kind:     hidden_global_offset_y
      - .offset:         136
        .size:           8
        .value_kind:     hidden_global_offset_z
      - .offset:         144
        .size:           2
        .value_kind:     hidden_grid_dims
    .group_segment_fixed_size: 0
    .kernarg_segment_align: 8
    .kernarg_segment_size: 336
    .language:       OpenCL C
    .language_version:
      - 2
      - 0
    .max_flat_workgroup_size: 256
    .name:           _ZN9rocsparseL21csrmvn_general_kernelILj256ELj8EiiDF16_DF16_ffEEvbT2_NS_24const_host_device_scalarIT6_EEPKT1_S7_PKS1_PKT3_PKT4_S4_PT5_21rocsparse_index_base_b
    .private_segment_fixed_size: 0
    .sgpr_count:     31
    .sgpr_spill_count: 0
    .symbol:         _ZN9rocsparseL21csrmvn_general_kernelILj256ELj8EiiDF16_DF16_ffEEvbT2_NS_24const_host_device_scalarIT6_EEPKT1_S7_PKS1_PKT3_PKT4_S4_PT5_21rocsparse_index_base_b.kd
    .uniform_work_group_size: 1
    .uses_dynamic_stack: false
    .vgpr_count:     14
    .vgpr_spill_count: 0
    .wavefront_size: 64
  - .agpr_count:     0
    .args:
      - .offset:         0
        .size:           1
        .value_kind:     by_value
      - .offset:         4
        .size:           4
        .value_kind:     by_value
      - .offset:         8
        .size:           8
        .value_kind:     by_value
      - .address_space:  global
        .offset:         16
        .size:           8
        .value_kind:     global_buffer
      - .address_space:  global
        .offset:         24
        .size:           8
        .value_kind:     global_buffer
      - .actual_access:  read_only
        .address_space:  global
        .offset:         32
        .size:           8
        .value_kind:     global_buffer
      - .actual_access:  read_only
        .address_space:  global
        .offset:         40
        .size:           8
        .value_kind:     global_buffer
      - .actual_access:  read_only
        .address_space:  global
        .offset:         48
        .size:           8
        .value_kind:     global_buffer
      - .offset:         56
        .size:           8
        .value_kind:     by_value
      - .address_space:  global
        .offset:         64
        .size:           8
        .value_kind:     global_buffer
      - .offset:         72
        .size:           4
        .value_kind:     by_value
      - .offset:         76
        .size:           1
        .value_kind:     by_value
      - .offset:         80
        .size:           4
        .value_kind:     hidden_block_count_x
      - .offset:         84
        .size:           4
        .value_kind:     hidden_block_count_y
      - .offset:         88
        .size:           4
        .value_kind:     hidden_block_count_z
      - .offset:         92
        .size:           2
        .value_kind:     hidden_group_size_x
      - .offset:         94
        .size:           2
        .value_kind:     hidden_group_size_y
      - .offset:         96
        .size:           2
        .value_kind:     hidden_group_size_z
      - .offset:         98
        .size:           2
        .value_kind:     hidden_remainder_x
      - .offset:         100
        .size:           2
        .value_kind:     hidden_remainder_y
      - .offset:         102
        .size:           2
        .value_kind:     hidden_remainder_z
      - .offset:         120
        .size:           8
        .value_kind:     hidden_global_offset_x
      - .offset:         128
        .size:           8
        .value_kind:     hidden_global_offset_y
      - .offset:         136
        .size:           8
        .value_kind:     hidden_global_offset_z
      - .offset:         144
        .size:           2
        .value_kind:     hidden_grid_dims
    .group_segment_fixed_size: 0
    .kernarg_segment_align: 8
    .kernarg_segment_size: 336
    .language:       OpenCL C
    .language_version:
      - 2
      - 0
    .max_flat_workgroup_size: 256
    .name:           _ZN9rocsparseL21csrmvn_general_kernelILj256ELj16EiiDF16_DF16_ffEEvbT2_NS_24const_host_device_scalarIT6_EEPKT1_S7_PKS1_PKT3_PKT4_S4_PT5_21rocsparse_index_base_b
    .private_segment_fixed_size: 0
    .sgpr_count:     31
    .sgpr_spill_count: 0
    .symbol:         _ZN9rocsparseL21csrmvn_general_kernelILj256ELj16EiiDF16_DF16_ffEEvbT2_NS_24const_host_device_scalarIT6_EEPKT1_S7_PKS1_PKT3_PKT4_S4_PT5_21rocsparse_index_base_b.kd
    .uniform_work_group_size: 1
    .uses_dynamic_stack: false
    .vgpr_count:     14
    .vgpr_spill_count: 0
    .wavefront_size: 64
  - .agpr_count:     0
    .args:
      - .offset:         0
        .size:           1
        .value_kind:     by_value
      - .offset:         4
        .size:           4
        .value_kind:     by_value
      - .offset:         8
        .size:           8
        .value_kind:     by_value
      - .address_space:  global
        .offset:         16
        .size:           8
        .value_kind:     global_buffer
      - .address_space:  global
        .offset:         24
        .size:           8
        .value_kind:     global_buffer
      - .actual_access:  read_only
        .address_space:  global
        .offset:         32
        .size:           8
        .value_kind:     global_buffer
      - .actual_access:  read_only
        .address_space:  global
        .offset:         40
        .size:           8
        .value_kind:     global_buffer
      - .actual_access:  read_only
        .address_space:  global
        .offset:         48
        .size:           8
        .value_kind:     global_buffer
      - .offset:         56
        .size:           8
        .value_kind:     by_value
      - .address_space:  global
        .offset:         64
        .size:           8
        .value_kind:     global_buffer
      - .offset:         72
        .size:           4
        .value_kind:     by_value
      - .offset:         76
        .size:           1
        .value_kind:     by_value
      - .offset:         80
        .size:           4
        .value_kind:     hidden_block_count_x
      - .offset:         84
        .size:           4
        .value_kind:     hidden_block_count_y
      - .offset:         88
        .size:           4
        .value_kind:     hidden_block_count_z
      - .offset:         92
        .size:           2
        .value_kind:     hidden_group_size_x
      - .offset:         94
        .size:           2
        .value_kind:     hidden_group_size_y
      - .offset:         96
        .size:           2
        .value_kind:     hidden_group_size_z
      - .offset:         98
        .size:           2
        .value_kind:     hidden_remainder_x
      - .offset:         100
        .size:           2
        .value_kind:     hidden_remainder_y
      - .offset:         102
        .size:           2
        .value_kind:     hidden_remainder_z
      - .offset:         120
        .size:           8
        .value_kind:     hidden_global_offset_x
      - .offset:         128
        .size:           8
        .value_kind:     hidden_global_offset_y
      - .offset:         136
        .size:           8
        .value_kind:     hidden_global_offset_z
      - .offset:         144
        .size:           2
        .value_kind:     hidden_grid_dims
    .group_segment_fixed_size: 0
    .kernarg_segment_align: 8
    .kernarg_segment_size: 336
    .language:       OpenCL C
    .language_version:
      - 2
      - 0
    .max_flat_workgroup_size: 256
    .name:           _ZN9rocsparseL21csrmvn_general_kernelILj256ELj32EiiDF16_DF16_ffEEvbT2_NS_24const_host_device_scalarIT6_EEPKT1_S7_PKS1_PKT3_PKT4_S4_PT5_21rocsparse_index_base_b
    .private_segment_fixed_size: 0
    .sgpr_count:     31
    .sgpr_spill_count: 0
    .symbol:         _ZN9rocsparseL21csrmvn_general_kernelILj256ELj32EiiDF16_DF16_ffEEvbT2_NS_24const_host_device_scalarIT6_EEPKT1_S7_PKS1_PKT3_PKT4_S4_PT5_21rocsparse_index_base_b.kd
    .uniform_work_group_size: 1
    .uses_dynamic_stack: false
    .vgpr_count:     14
    .vgpr_spill_count: 0
    .wavefront_size: 64
  - .agpr_count:     0
    .args:
      - .offset:         0
        .size:           1
        .value_kind:     by_value
      - .offset:         4
        .size:           4
        .value_kind:     by_value
      - .offset:         8
        .size:           8
        .value_kind:     by_value
      - .address_space:  global
        .offset:         16
        .size:           8
        .value_kind:     global_buffer
      - .address_space:  global
        .offset:         24
        .size:           8
        .value_kind:     global_buffer
      - .actual_access:  read_only
        .address_space:  global
        .offset:         32
        .size:           8
        .value_kind:     global_buffer
      - .actual_access:  read_only
        .address_space:  global
        .offset:         40
        .size:           8
        .value_kind:     global_buffer
      - .actual_access:  read_only
        .address_space:  global
        .offset:         48
        .size:           8
        .value_kind:     global_buffer
      - .offset:         56
        .size:           8
        .value_kind:     by_value
      - .address_space:  global
        .offset:         64
        .size:           8
        .value_kind:     global_buffer
      - .offset:         72
        .size:           4
        .value_kind:     by_value
      - .offset:         76
        .size:           1
        .value_kind:     by_value
      - .offset:         80
        .size:           4
        .value_kind:     hidden_block_count_x
      - .offset:         84
        .size:           4
        .value_kind:     hidden_block_count_y
      - .offset:         88
        .size:           4
        .value_kind:     hidden_block_count_z
      - .offset:         92
        .size:           2
        .value_kind:     hidden_group_size_x
      - .offset:         94
        .size:           2
        .value_kind:     hidden_group_size_y
      - .offset:         96
        .size:           2
        .value_kind:     hidden_group_size_z
      - .offset:         98
        .size:           2
        .value_kind:     hidden_remainder_x
      - .offset:         100
        .size:           2
        .value_kind:     hidden_remainder_y
      - .offset:         102
        .size:           2
        .value_kind:     hidden_remainder_z
      - .offset:         120
        .size:           8
        .value_kind:     hidden_global_offset_x
      - .offset:         128
        .size:           8
        .value_kind:     hidden_global_offset_y
      - .offset:         136
        .size:           8
        .value_kind:     hidden_global_offset_z
      - .offset:         144
        .size:           2
        .value_kind:     hidden_grid_dims
    .group_segment_fixed_size: 0
    .kernarg_segment_align: 8
    .kernarg_segment_size: 336
    .language:       OpenCL C
    .language_version:
      - 2
      - 0
    .max_flat_workgroup_size: 256
    .name:           _ZN9rocsparseL21csrmvn_general_kernelILj256ELj64EiiDF16_DF16_ffEEvbT2_NS_24const_host_device_scalarIT6_EEPKT1_S7_PKS1_PKT3_PKT4_S4_PT5_21rocsparse_index_base_b
    .private_segment_fixed_size: 0
    .sgpr_count:     31
    .sgpr_spill_count: 0
    .symbol:         _ZN9rocsparseL21csrmvn_general_kernelILj256ELj64EiiDF16_DF16_ffEEvbT2_NS_24const_host_device_scalarIT6_EEPKT1_S7_PKS1_PKT3_PKT4_S4_PT5_21rocsparse_index_base_b.kd
    .uniform_work_group_size: 1
    .uses_dynamic_stack: false
    .vgpr_count:     14
    .vgpr_spill_count: 0
    .wavefront_size: 64
  - .agpr_count:     0
    .args:
      - .offset:         0
        .size:           1
        .value_kind:     by_value
      - .offset:         1
        .size:           1
        .value_kind:     by_value
      - .offset:         4
        .size:           4
        .value_kind:     by_value
      - .offset:         8
        .size:           8
        .value_kind:     by_value
      - .address_space:  global
        .offset:         16
        .size:           8
        .value_kind:     global_buffer
      - .address_space:  global
        .offset:         24
        .size:           8
        .value_kind:     global_buffer
      - .actual_access:  read_only
        .address_space:  global
        .offset:         32
        .size:           8
        .value_kind:     global_buffer
      - .actual_access:  read_only
        .address_space:  global
        .offset:         40
        .size:           8
        .value_kind:     global_buffer
      - .actual_access:  read_only
        .address_space:  global
        .offset:         48
        .size:           8
        .value_kind:     global_buffer
      - .address_space:  global
        .offset:         56
        .size:           8
        .value_kind:     global_buffer
      - .offset:         64
        .size:           4
        .value_kind:     by_value
      - .offset:         68
        .size:           1
        .value_kind:     by_value
      - .offset:         72
        .size:           4
        .value_kind:     hidden_block_count_x
      - .offset:         76
        .size:           4
        .value_kind:     hidden_block_count_y
      - .offset:         80
        .size:           4
        .value_kind:     hidden_block_count_z
      - .offset:         84
        .size:           2
        .value_kind:     hidden_group_size_x
      - .offset:         86
        .size:           2
        .value_kind:     hidden_group_size_y
      - .offset:         88
        .size:           2
        .value_kind:     hidden_group_size_z
      - .offset:         90
        .size:           2
        .value_kind:     hidden_remainder_x
      - .offset:         92
        .size:           2
        .value_kind:     hidden_remainder_y
      - .offset:         94
        .size:           2
        .value_kind:     hidden_remainder_z
      - .offset:         112
        .size:           8
        .value_kind:     hidden_global_offset_x
      - .offset:         120
        .size:           8
        .value_kind:     hidden_global_offset_y
      - .offset:         128
        .size:           8
        .value_kind:     hidden_global_offset_z
      - .offset:         136
        .size:           2
        .value_kind:     hidden_grid_dims
    .group_segment_fixed_size: 0
    .kernarg_segment_align: 8
    .kernarg_segment_size: 328
    .language:       OpenCL C
    .language_version:
      - 2
      - 0
    .max_flat_workgroup_size: 256
    .name:           _ZN9rocsparseL21csrmvt_general_kernelILj256ELj4EiiDF16_DF16_ffEEvbbT2_NS_24const_host_device_scalarIT6_EEPKT1_S7_PKS1_PKT3_PKT4_PT5_21rocsparse_index_base_b
    .private_segment_fixed_size: 0
    .sgpr_count:     34
    .sgpr_spill_count: 0
    .symbol:         _ZN9rocsparseL21csrmvt_general_kernelILj256ELj4EiiDF16_DF16_ffEEvbbT2_NS_24const_host_device_scalarIT6_EEPKT1_S7_PKS1_PKT3_PKT4_PT5_21rocsparse_index_base_b.kd
    .uniform_work_group_size: 1
    .uses_dynamic_stack: false
    .vgpr_count:     15
    .vgpr_spill_count: 0
    .wavefront_size: 64
  - .agpr_count:     0
    .args:
      - .offset:         0
        .size:           1
        .value_kind:     by_value
      - .offset:         1
        .size:           1
        .value_kind:     by_value
      - .offset:         4
        .size:           4
        .value_kind:     by_value
      - .offset:         8
        .size:           8
        .value_kind:     by_value
      - .address_space:  global
        .offset:         16
        .size:           8
        .value_kind:     global_buffer
      - .address_space:  global
        .offset:         24
        .size:           8
        .value_kind:     global_buffer
      - .actual_access:  read_only
        .address_space:  global
        .offset:         32
        .size:           8
        .value_kind:     global_buffer
      - .actual_access:  read_only
        .address_space:  global
        .offset:         40
        .size:           8
        .value_kind:     global_buffer
      - .actual_access:  read_only
        .address_space:  global
        .offset:         48
        .size:           8
        .value_kind:     global_buffer
      - .address_space:  global
        .offset:         56
        .size:           8
        .value_kind:     global_buffer
      - .offset:         64
        .size:           4
        .value_kind:     by_value
      - .offset:         68
        .size:           1
        .value_kind:     by_value
      - .offset:         72
        .size:           4
        .value_kind:     hidden_block_count_x
      - .offset:         76
        .size:           4
        .value_kind:     hidden_block_count_y
      - .offset:         80
        .size:           4
        .value_kind:     hidden_block_count_z
      - .offset:         84
        .size:           2
        .value_kind:     hidden_group_size_x
      - .offset:         86
        .size:           2
        .value_kind:     hidden_group_size_y
      - .offset:         88
        .size:           2
        .value_kind:     hidden_group_size_z
      - .offset:         90
        .size:           2
        .value_kind:     hidden_remainder_x
      - .offset:         92
        .size:           2
        .value_kind:     hidden_remainder_y
      - .offset:         94
        .size:           2
        .value_kind:     hidden_remainder_z
      - .offset:         112
        .size:           8
        .value_kind:     hidden_global_offset_x
      - .offset:         120
        .size:           8
        .value_kind:     hidden_global_offset_y
      - .offset:         128
        .size:           8
        .value_kind:     hidden_global_offset_z
      - .offset:         136
        .size:           2
        .value_kind:     hidden_grid_dims
    .group_segment_fixed_size: 0
    .kernarg_segment_align: 8
    .kernarg_segment_size: 328
    .language:       OpenCL C
    .language_version:
      - 2
      - 0
    .max_flat_workgroup_size: 256
    .name:           _ZN9rocsparseL21csrmvt_general_kernelILj256ELj8EiiDF16_DF16_ffEEvbbT2_NS_24const_host_device_scalarIT6_EEPKT1_S7_PKS1_PKT3_PKT4_PT5_21rocsparse_index_base_b
    .private_segment_fixed_size: 0
    .sgpr_count:     34
    .sgpr_spill_count: 0
    .symbol:         _ZN9rocsparseL21csrmvt_general_kernelILj256ELj8EiiDF16_DF16_ffEEvbbT2_NS_24const_host_device_scalarIT6_EEPKT1_S7_PKS1_PKT3_PKT4_PT5_21rocsparse_index_base_b.kd
    .uniform_work_group_size: 1
    .uses_dynamic_stack: false
    .vgpr_count:     15
    .vgpr_spill_count: 0
    .wavefront_size: 64
  - .agpr_count:     0
    .args:
      - .offset:         0
        .size:           1
        .value_kind:     by_value
      - .offset:         1
        .size:           1
        .value_kind:     by_value
      - .offset:         4
        .size:           4
        .value_kind:     by_value
      - .offset:         8
        .size:           8
        .value_kind:     by_value
      - .address_space:  global
        .offset:         16
        .size:           8
        .value_kind:     global_buffer
      - .address_space:  global
        .offset:         24
        .size:           8
        .value_kind:     global_buffer
      - .actual_access:  read_only
        .address_space:  global
        .offset:         32
        .size:           8
        .value_kind:     global_buffer
      - .actual_access:  read_only
        .address_space:  global
        .offset:         40
        .size:           8
        .value_kind:     global_buffer
      - .actual_access:  read_only
        .address_space:  global
        .offset:         48
        .size:           8
        .value_kind:     global_buffer
      - .address_space:  global
        .offset:         56
        .size:           8
        .value_kind:     global_buffer
      - .offset:         64
        .size:           4
        .value_kind:     by_value
      - .offset:         68
        .size:           1
        .value_kind:     by_value
      - .offset:         72
        .size:           4
        .value_kind:     hidden_block_count_x
      - .offset:         76
        .size:           4
        .value_kind:     hidden_block_count_y
      - .offset:         80
        .size:           4
        .value_kind:     hidden_block_count_z
      - .offset:         84
        .size:           2
        .value_kind:     hidden_group_size_x
      - .offset:         86
        .size:           2
        .value_kind:     hidden_group_size_y
      - .offset:         88
        .size:           2
        .value_kind:     hidden_group_size_z
      - .offset:         90
        .size:           2
        .value_kind:     hidden_remainder_x
      - .offset:         92
        .size:           2
        .value_kind:     hidden_remainder_y
      - .offset:         94
        .size:           2
        .value_kind:     hidden_remainder_z
      - .offset:         112
        .size:           8
        .value_kind:     hidden_global_offset_x
      - .offset:         120
        .size:           8
        .value_kind:     hidden_global_offset_y
      - .offset:         128
        .size:           8
        .value_kind:     hidden_global_offset_z
      - .offset:         136
        .size:           2
        .value_kind:     hidden_grid_dims
    .group_segment_fixed_size: 0
    .kernarg_segment_align: 8
    .kernarg_segment_size: 328
    .language:       OpenCL C
    .language_version:
      - 2
      - 0
    .max_flat_workgroup_size: 256
    .name:           _ZN9rocsparseL21csrmvt_general_kernelILj256ELj16EiiDF16_DF16_ffEEvbbT2_NS_24const_host_device_scalarIT6_EEPKT1_S7_PKS1_PKT3_PKT4_PT5_21rocsparse_index_base_b
    .private_segment_fixed_size: 0
    .sgpr_count:     34
    .sgpr_spill_count: 0
    .symbol:         _ZN9rocsparseL21csrmvt_general_kernelILj256ELj16EiiDF16_DF16_ffEEvbbT2_NS_24const_host_device_scalarIT6_EEPKT1_S7_PKS1_PKT3_PKT4_PT5_21rocsparse_index_base_b.kd
    .uniform_work_group_size: 1
    .uses_dynamic_stack: false
    .vgpr_count:     15
    .vgpr_spill_count: 0
    .wavefront_size: 64
  - .agpr_count:     0
    .args:
      - .offset:         0
        .size:           1
        .value_kind:     by_value
      - .offset:         1
        .size:           1
        .value_kind:     by_value
      - .offset:         4
        .size:           4
        .value_kind:     by_value
      - .offset:         8
        .size:           8
        .value_kind:     by_value
      - .address_space:  global
        .offset:         16
        .size:           8
        .value_kind:     global_buffer
      - .address_space:  global
        .offset:         24
        .size:           8
        .value_kind:     global_buffer
      - .actual_access:  read_only
        .address_space:  global
        .offset:         32
        .size:           8
        .value_kind:     global_buffer
      - .actual_access:  read_only
        .address_space:  global
        .offset:         40
        .size:           8
        .value_kind:     global_buffer
      - .actual_access:  read_only
        .address_space:  global
        .offset:         48
        .size:           8
        .value_kind:     global_buffer
      - .address_space:  global
        .offset:         56
        .size:           8
        .value_kind:     global_buffer
      - .offset:         64
        .size:           4
        .value_kind:     by_value
      - .offset:         68
        .size:           1
        .value_kind:     by_value
      - .offset:         72
        .size:           4
        .value_kind:     hidden_block_count_x
      - .offset:         76
        .size:           4
        .value_kind:     hidden_block_count_y
      - .offset:         80
        .size:           4
        .value_kind:     hidden_block_count_z
      - .offset:         84
        .size:           2
        .value_kind:     hidden_group_size_x
      - .offset:         86
        .size:           2
        .value_kind:     hidden_group_size_y
      - .offset:         88
        .size:           2
        .value_kind:     hidden_group_size_z
      - .offset:         90
        .size:           2
        .value_kind:     hidden_remainder_x
      - .offset:         92
        .size:           2
        .value_kind:     hidden_remainder_y
      - .offset:         94
        .size:           2
        .value_kind:     hidden_remainder_z
      - .offset:         112
        .size:           8
        .value_kind:     hidden_global_offset_x
      - .offset:         120
        .size:           8
        .value_kind:     hidden_global_offset_y
      - .offset:         128
        .size:           8
        .value_kind:     hidden_global_offset_z
      - .offset:         136
        .size:           2
        .value_kind:     hidden_grid_dims
    .group_segment_fixed_size: 0
    .kernarg_segment_align: 8
    .kernarg_segment_size: 328
    .language:       OpenCL C
    .language_version:
      - 2
      - 0
    .max_flat_workgroup_size: 256
    .name:           _ZN9rocsparseL21csrmvt_general_kernelILj256ELj32EiiDF16_DF16_ffEEvbbT2_NS_24const_host_device_scalarIT6_EEPKT1_S7_PKS1_PKT3_PKT4_PT5_21rocsparse_index_base_b
    .private_segment_fixed_size: 0
    .sgpr_count:     34
    .sgpr_spill_count: 0
    .symbol:         _ZN9rocsparseL21csrmvt_general_kernelILj256ELj32EiiDF16_DF16_ffEEvbbT2_NS_24const_host_device_scalarIT6_EEPKT1_S7_PKS1_PKT3_PKT4_PT5_21rocsparse_index_base_b.kd
    .uniform_work_group_size: 1
    .uses_dynamic_stack: false
    .vgpr_count:     15
    .vgpr_spill_count: 0
    .wavefront_size: 64
  - .agpr_count:     0
    .args:
      - .offset:         0
        .size:           1
        .value_kind:     by_value
      - .offset:         1
        .size:           1
        .value_kind:     by_value
      - .offset:         4
        .size:           4
        .value_kind:     by_value
      - .offset:         8
        .size:           8
        .value_kind:     by_value
      - .address_space:  global
        .offset:         16
        .size:           8
        .value_kind:     global_buffer
      - .address_space:  global
        .offset:         24
        .size:           8
        .value_kind:     global_buffer
      - .actual_access:  read_only
        .address_space:  global
        .offset:         32
        .size:           8
        .value_kind:     global_buffer
      - .actual_access:  read_only
        .address_space:  global
        .offset:         40
        .size:           8
        .value_kind:     global_buffer
      - .actual_access:  read_only
        .address_space:  global
        .offset:         48
        .size:           8
        .value_kind:     global_buffer
      - .address_space:  global
        .offset:         56
        .size:           8
        .value_kind:     global_buffer
      - .offset:         64
        .size:           4
        .value_kind:     by_value
      - .offset:         68
        .size:           1
        .value_kind:     by_value
      - .offset:         72
        .size:           4
        .value_kind:     hidden_block_count_x
      - .offset:         76
        .size:           4
        .value_kind:     hidden_block_count_y
      - .offset:         80
        .size:           4
        .value_kind:     hidden_block_count_z
      - .offset:         84
        .size:           2
        .value_kind:     hidden_group_size_x
      - .offset:         86
        .size:           2
        .value_kind:     hidden_group_size_y
      - .offset:         88
        .size:           2
        .value_kind:     hidden_group_size_z
      - .offset:         90
        .size:           2
        .value_kind:     hidden_remainder_x
      - .offset:         92
        .size:           2
        .value_kind:     hidden_remainder_y
      - .offset:         94
        .size:           2
        .value_kind:     hidden_remainder_z
      - .offset:         112
        .size:           8
        .value_kind:     hidden_global_offset_x
      - .offset:         120
        .size:           8
        .value_kind:     hidden_global_offset_y
      - .offset:         128
        .size:           8
        .value_kind:     hidden_global_offset_z
      - .offset:         136
        .size:           2
        .value_kind:     hidden_grid_dims
    .group_segment_fixed_size: 0
    .kernarg_segment_align: 8
    .kernarg_segment_size: 328
    .language:       OpenCL C
    .language_version:
      - 2
      - 0
    .max_flat_workgroup_size: 256
    .name:           _ZN9rocsparseL21csrmvt_general_kernelILj256ELj64EiiDF16_DF16_ffEEvbbT2_NS_24const_host_device_scalarIT6_EEPKT1_S7_PKS1_PKT3_PKT4_PT5_21rocsparse_index_base_b
    .private_segment_fixed_size: 0
    .sgpr_count:     34
    .sgpr_spill_count: 0
    .symbol:         _ZN9rocsparseL21csrmvt_general_kernelILj256ELj64EiiDF16_DF16_ffEEvbbT2_NS_24const_host_device_scalarIT6_EEPKT1_S7_PKS1_PKT3_PKT4_PT5_21rocsparse_index_base_b.kd
    .uniform_work_group_size: 1
    .uses_dynamic_stack: false
    .vgpr_count:     15
    .vgpr_spill_count: 0
    .wavefront_size: 64
  - .agpr_count:     0
    .args:
      - .offset:         0
        .size:           1
        .value_kind:     by_value
      - .offset:         4
        .size:           4
        .value_kind:     by_value
      - .offset:         8
        .size:           8
        .value_kind:     by_value
      - .address_space:  global
        .offset:         16
        .size:           8
        .value_kind:     global_buffer
      - .address_space:  global
        .offset:         24
        .size:           8
        .value_kind:     global_buffer
      - .actual_access:  read_only
        .address_space:  global
        .offset:         32
        .size:           8
        .value_kind:     global_buffer
      - .actual_access:  read_only
        .address_space:  global
        .offset:         40
        .size:           8
        .value_kind:     global_buffer
      - .actual_access:  read_only
        .address_space:  global
        .offset:         48
        .size:           8
        .value_kind:     global_buffer
      - .offset:         56
        .size:           8
        .value_kind:     by_value
      - .address_space:  global
        .offset:         64
        .size:           8
        .value_kind:     global_buffer
      - .offset:         72
        .size:           4
        .value_kind:     by_value
      - .offset:         76
        .size:           1
        .value_kind:     by_value
      - .offset:         80
        .size:           4
        .value_kind:     hidden_block_count_x
      - .offset:         84
        .size:           4
        .value_kind:     hidden_block_count_y
      - .offset:         88
        .size:           4
        .value_kind:     hidden_block_count_z
      - .offset:         92
        .size:           2
        .value_kind:     hidden_group_size_x
      - .offset:         94
        .size:           2
        .value_kind:     hidden_group_size_y
      - .offset:         96
        .size:           2
        .value_kind:     hidden_group_size_z
      - .offset:         98
        .size:           2
        .value_kind:     hidden_remainder_x
      - .offset:         100
        .size:           2
        .value_kind:     hidden_remainder_y
      - .offset:         102
        .size:           2
        .value_kind:     hidden_remainder_z
      - .offset:         120
        .size:           8
        .value_kind:     hidden_global_offset_x
      - .offset:         128
        .size:           8
        .value_kind:     hidden_global_offset_y
      - .offset:         136
        .size:           8
        .value_kind:     hidden_global_offset_z
      - .offset:         144
        .size:           2
        .value_kind:     hidden_grid_dims
    .group_segment_fixed_size: 0
    .kernarg_segment_align: 8
    .kernarg_segment_size: 336
    .language:       OpenCL C
    .language_version:
      - 2
      - 0
    .max_flat_workgroup_size: 256
    .name:           _ZN9rocsparseL21csrmvn_general_kernelILj256ELj2EliDF16_DF16_ffEEvbT2_NS_24const_host_device_scalarIT6_EEPKT1_S7_PKS1_PKT3_PKT4_S4_PT5_21rocsparse_index_base_b
    .private_segment_fixed_size: 0
    .sgpr_count:     30
    .sgpr_spill_count: 0
    .symbol:         _ZN9rocsparseL21csrmvn_general_kernelILj256ELj2EliDF16_DF16_ffEEvbT2_NS_24const_host_device_scalarIT6_EEPKT1_S7_PKS1_PKT3_PKT4_S4_PT5_21rocsparse_index_base_b.kd
    .uniform_work_group_size: 1
    .uses_dynamic_stack: false
    .vgpr_count:     20
    .vgpr_spill_count: 0
    .wavefront_size: 64
  - .agpr_count:     0
    .args:
      - .offset:         0
        .size:           1
        .value_kind:     by_value
      - .offset:         4
        .size:           4
        .value_kind:     by_value
      - .offset:         8
        .size:           8
        .value_kind:     by_value
      - .address_space:  global
        .offset:         16
        .size:           8
        .value_kind:     global_buffer
      - .address_space:  global
        .offset:         24
        .size:           8
        .value_kind:     global_buffer
      - .actual_access:  read_only
        .address_space:  global
        .offset:         32
        .size:           8
        .value_kind:     global_buffer
      - .actual_access:  read_only
        .address_space:  global
        .offset:         40
        .size:           8
        .value_kind:     global_buffer
      - .actual_access:  read_only
        .address_space:  global
        .offset:         48
        .size:           8
        .value_kind:     global_buffer
      - .offset:         56
        .size:           8
        .value_kind:     by_value
      - .address_space:  global
        .offset:         64
        .size:           8
        .value_kind:     global_buffer
      - .offset:         72
        .size:           4
        .value_kind:     by_value
      - .offset:         76
        .size:           1
        .value_kind:     by_value
      - .offset:         80
        .size:           4
        .value_kind:     hidden_block_count_x
      - .offset:         84
        .size:           4
        .value_kind:     hidden_block_count_y
      - .offset:         88
        .size:           4
        .value_kind:     hidden_block_count_z
      - .offset:         92
        .size:           2
        .value_kind:     hidden_group_size_x
      - .offset:         94
        .size:           2
        .value_kind:     hidden_group_size_y
      - .offset:         96
        .size:           2
        .value_kind:     hidden_group_size_z
      - .offset:         98
        .size:           2
        .value_kind:     hidden_remainder_x
      - .offset:         100
        .size:           2
        .value_kind:     hidden_remainder_y
      - .offset:         102
        .size:           2
        .value_kind:     hidden_remainder_z
      - .offset:         120
        .size:           8
        .value_kind:     hidden_global_offset_x
      - .offset:         128
        .size:           8
        .value_kind:     hidden_global_offset_y
      - .offset:         136
        .size:           8
        .value_kind:     hidden_global_offset_z
      - .offset:         144
        .size:           2
        .value_kind:     hidden_grid_dims
    .group_segment_fixed_size: 0
    .kernarg_segment_align: 8
    .kernarg_segment_size: 336
    .language:       OpenCL C
    .language_version:
      - 2
      - 0
    .max_flat_workgroup_size: 256
    .name:           _ZN9rocsparseL21csrmvn_general_kernelILj256ELj4EliDF16_DF16_ffEEvbT2_NS_24const_host_device_scalarIT6_EEPKT1_S7_PKS1_PKT3_PKT4_S4_PT5_21rocsparse_index_base_b
    .private_segment_fixed_size: 0
    .sgpr_count:     30
    .sgpr_spill_count: 0
    .symbol:         _ZN9rocsparseL21csrmvn_general_kernelILj256ELj4EliDF16_DF16_ffEEvbT2_NS_24const_host_device_scalarIT6_EEPKT1_S7_PKS1_PKT3_PKT4_S4_PT5_21rocsparse_index_base_b.kd
    .uniform_work_group_size: 1
    .uses_dynamic_stack: false
    .vgpr_count:     20
    .vgpr_spill_count: 0
    .wavefront_size: 64
  - .agpr_count:     0
    .args:
      - .offset:         0
        .size:           1
        .value_kind:     by_value
      - .offset:         4
        .size:           4
        .value_kind:     by_value
      - .offset:         8
        .size:           8
        .value_kind:     by_value
      - .address_space:  global
        .offset:         16
        .size:           8
        .value_kind:     global_buffer
      - .address_space:  global
        .offset:         24
        .size:           8
        .value_kind:     global_buffer
      - .actual_access:  read_only
        .address_space:  global
        .offset:         32
        .size:           8
        .value_kind:     global_buffer
      - .actual_access:  read_only
        .address_space:  global
        .offset:         40
        .size:           8
        .value_kind:     global_buffer
      - .actual_access:  read_only
        .address_space:  global
        .offset:         48
        .size:           8
        .value_kind:     global_buffer
      - .offset:         56
        .size:           8
        .value_kind:     by_value
      - .address_space:  global
        .offset:         64
        .size:           8
        .value_kind:     global_buffer
      - .offset:         72
        .size:           4
        .value_kind:     by_value
      - .offset:         76
        .size:           1
        .value_kind:     by_value
      - .offset:         80
        .size:           4
        .value_kind:     hidden_block_count_x
      - .offset:         84
        .size:           4
        .value_kind:     hidden_block_count_y
      - .offset:         88
        .size:           4
        .value_kind:     hidden_block_count_z
      - .offset:         92
        .size:           2
        .value_kind:     hidden_group_size_x
      - .offset:         94
        .size:           2
        .value_kind:     hidden_group_size_y
      - .offset:         96
        .size:           2
        .value_kind:     hidden_group_size_z
      - .offset:         98
        .size:           2
        .value_kind:     hidden_remainder_x
      - .offset:         100
        .size:           2
        .value_kind:     hidden_remainder_y
      - .offset:         102
        .size:           2
        .value_kind:     hidden_remainder_z
      - .offset:         120
        .size:           8
        .value_kind:     hidden_global_offset_x
      - .offset:         128
        .size:           8
        .value_kind:     hidden_global_offset_y
      - .offset:         136
        .size:           8
        .value_kind:     hidden_global_offset_z
      - .offset:         144
        .size:           2
        .value_kind:     hidden_grid_dims
    .group_segment_fixed_size: 0
    .kernarg_segment_align: 8
    .kernarg_segment_size: 336
    .language:       OpenCL C
    .language_version:
      - 2
      - 0
    .max_flat_workgroup_size: 256
    .name:           _ZN9rocsparseL21csrmvn_general_kernelILj256ELj8EliDF16_DF16_ffEEvbT2_NS_24const_host_device_scalarIT6_EEPKT1_S7_PKS1_PKT3_PKT4_S4_PT5_21rocsparse_index_base_b
    .private_segment_fixed_size: 0
    .sgpr_count:     30
    .sgpr_spill_count: 0
    .symbol:         _ZN9rocsparseL21csrmvn_general_kernelILj256ELj8EliDF16_DF16_ffEEvbT2_NS_24const_host_device_scalarIT6_EEPKT1_S7_PKS1_PKT3_PKT4_S4_PT5_21rocsparse_index_base_b.kd
    .uniform_work_group_size: 1
    .uses_dynamic_stack: false
    .vgpr_count:     20
    .vgpr_spill_count: 0
    .wavefront_size: 64
  - .agpr_count:     0
    .args:
      - .offset:         0
        .size:           1
        .value_kind:     by_value
      - .offset:         4
        .size:           4
        .value_kind:     by_value
      - .offset:         8
        .size:           8
        .value_kind:     by_value
      - .address_space:  global
        .offset:         16
        .size:           8
        .value_kind:     global_buffer
      - .address_space:  global
        .offset:         24
        .size:           8
        .value_kind:     global_buffer
      - .actual_access:  read_only
        .address_space:  global
        .offset:         32
        .size:           8
        .value_kind:     global_buffer
      - .actual_access:  read_only
        .address_space:  global
        .offset:         40
        .size:           8
        .value_kind:     global_buffer
      - .actual_access:  read_only
        .address_space:  global
        .offset:         48
        .size:           8
        .value_kind:     global_buffer
      - .offset:         56
        .size:           8
        .value_kind:     by_value
      - .address_space:  global
        .offset:         64
        .size:           8
        .value_kind:     global_buffer
      - .offset:         72
        .size:           4
        .value_kind:     by_value
      - .offset:         76
        .size:           1
        .value_kind:     by_value
      - .offset:         80
        .size:           4
        .value_kind:     hidden_block_count_x
      - .offset:         84
        .size:           4
        .value_kind:     hidden_block_count_y
      - .offset:         88
        .size:           4
        .value_kind:     hidden_block_count_z
      - .offset:         92
        .size:           2
        .value_kind:     hidden_group_size_x
      - .offset:         94
        .size:           2
        .value_kind:     hidden_group_size_y
      - .offset:         96
        .size:           2
        .value_kind:     hidden_group_size_z
      - .offset:         98
        .size:           2
        .value_kind:     hidden_remainder_x
      - .offset:         100
        .size:           2
        .value_kind:     hidden_remainder_y
      - .offset:         102
        .size:           2
        .value_kind:     hidden_remainder_z
      - .offset:         120
        .size:           8
        .value_kind:     hidden_global_offset_x
      - .offset:         128
        .size:           8
        .value_kind:     hidden_global_offset_y
      - .offset:         136
        .size:           8
        .value_kind:     hidden_global_offset_z
      - .offset:         144
        .size:           2
        .value_kind:     hidden_grid_dims
    .group_segment_fixed_size: 0
    .kernarg_segment_align: 8
    .kernarg_segment_size: 336
    .language:       OpenCL C
    .language_version:
      - 2
      - 0
    .max_flat_workgroup_size: 256
    .name:           _ZN9rocsparseL21csrmvn_general_kernelILj256ELj16EliDF16_DF16_ffEEvbT2_NS_24const_host_device_scalarIT6_EEPKT1_S7_PKS1_PKT3_PKT4_S4_PT5_21rocsparse_index_base_b
    .private_segment_fixed_size: 0
    .sgpr_count:     30
    .sgpr_spill_count: 0
    .symbol:         _ZN9rocsparseL21csrmvn_general_kernelILj256ELj16EliDF16_DF16_ffEEvbT2_NS_24const_host_device_scalarIT6_EEPKT1_S7_PKS1_PKT3_PKT4_S4_PT5_21rocsparse_index_base_b.kd
    .uniform_work_group_size: 1
    .uses_dynamic_stack: false
    .vgpr_count:     20
    .vgpr_spill_count: 0
    .wavefront_size: 64
  - .agpr_count:     0
    .args:
      - .offset:         0
        .size:           1
        .value_kind:     by_value
      - .offset:         4
        .size:           4
        .value_kind:     by_value
      - .offset:         8
        .size:           8
        .value_kind:     by_value
      - .address_space:  global
        .offset:         16
        .size:           8
        .value_kind:     global_buffer
      - .address_space:  global
        .offset:         24
        .size:           8
        .value_kind:     global_buffer
      - .actual_access:  read_only
        .address_space:  global
        .offset:         32
        .size:           8
        .value_kind:     global_buffer
      - .actual_access:  read_only
        .address_space:  global
        .offset:         40
        .size:           8
        .value_kind:     global_buffer
      - .actual_access:  read_only
        .address_space:  global
        .offset:         48
        .size:           8
        .value_kind:     global_buffer
      - .offset:         56
        .size:           8
        .value_kind:     by_value
      - .address_space:  global
        .offset:         64
        .size:           8
        .value_kind:     global_buffer
      - .offset:         72
        .size:           4
        .value_kind:     by_value
      - .offset:         76
        .size:           1
        .value_kind:     by_value
      - .offset:         80
        .size:           4
        .value_kind:     hidden_block_count_x
      - .offset:         84
        .size:           4
        .value_kind:     hidden_block_count_y
      - .offset:         88
        .size:           4
        .value_kind:     hidden_block_count_z
      - .offset:         92
        .size:           2
        .value_kind:     hidden_group_size_x
      - .offset:         94
        .size:           2
        .value_kind:     hidden_group_size_y
      - .offset:         96
        .size:           2
        .value_kind:     hidden_group_size_z
      - .offset:         98
        .size:           2
        .value_kind:     hidden_remainder_x
      - .offset:         100
        .size:           2
        .value_kind:     hidden_remainder_y
      - .offset:         102
        .size:           2
        .value_kind:     hidden_remainder_z
      - .offset:         120
        .size:           8
        .value_kind:     hidden_global_offset_x
      - .offset:         128
        .size:           8
        .value_kind:     hidden_global_offset_y
      - .offset:         136
        .size:           8
        .value_kind:     hidden_global_offset_z
      - .offset:         144
        .size:           2
        .value_kind:     hidden_grid_dims
    .group_segment_fixed_size: 0
    .kernarg_segment_align: 8
    .kernarg_segment_size: 336
    .language:       OpenCL C
    .language_version:
      - 2
      - 0
    .max_flat_workgroup_size: 256
    .name:           _ZN9rocsparseL21csrmvn_general_kernelILj256ELj32EliDF16_DF16_ffEEvbT2_NS_24const_host_device_scalarIT6_EEPKT1_S7_PKS1_PKT3_PKT4_S4_PT5_21rocsparse_index_base_b
    .private_segment_fixed_size: 0
    .sgpr_count:     30
    .sgpr_spill_count: 0
    .symbol:         _ZN9rocsparseL21csrmvn_general_kernelILj256ELj32EliDF16_DF16_ffEEvbT2_NS_24const_host_device_scalarIT6_EEPKT1_S7_PKS1_PKT3_PKT4_S4_PT5_21rocsparse_index_base_b.kd
    .uniform_work_group_size: 1
    .uses_dynamic_stack: false
    .vgpr_count:     20
    .vgpr_spill_count: 0
    .wavefront_size: 64
  - .agpr_count:     0
    .args:
      - .offset:         0
        .size:           1
        .value_kind:     by_value
      - .offset:         4
        .size:           4
        .value_kind:     by_value
      - .offset:         8
        .size:           8
        .value_kind:     by_value
      - .address_space:  global
        .offset:         16
        .size:           8
        .value_kind:     global_buffer
      - .address_space:  global
        .offset:         24
        .size:           8
        .value_kind:     global_buffer
      - .actual_access:  read_only
        .address_space:  global
        .offset:         32
        .size:           8
        .value_kind:     global_buffer
      - .actual_access:  read_only
        .address_space:  global
        .offset:         40
        .size:           8
        .value_kind:     global_buffer
      - .actual_access:  read_only
        .address_space:  global
        .offset:         48
        .size:           8
        .value_kind:     global_buffer
      - .offset:         56
        .size:           8
        .value_kind:     by_value
      - .address_space:  global
        .offset:         64
        .size:           8
        .value_kind:     global_buffer
      - .offset:         72
        .size:           4
        .value_kind:     by_value
      - .offset:         76
        .size:           1
        .value_kind:     by_value
      - .offset:         80
        .size:           4
        .value_kind:     hidden_block_count_x
      - .offset:         84
        .size:           4
        .value_kind:     hidden_block_count_y
      - .offset:         88
        .size:           4
        .value_kind:     hidden_block_count_z
      - .offset:         92
        .size:           2
        .value_kind:     hidden_group_size_x
      - .offset:         94
        .size:           2
        .value_kind:     hidden_group_size_y
      - .offset:         96
        .size:           2
        .value_kind:     hidden_group_size_z
      - .offset:         98
        .size:           2
        .value_kind:     hidden_remainder_x
      - .offset:         100
        .size:           2
        .value_kind:     hidden_remainder_y
      - .offset:         102
        .size:           2
        .value_kind:     hidden_remainder_z
      - .offset:         120
        .size:           8
        .value_kind:     hidden_global_offset_x
      - .offset:         128
        .size:           8
        .value_kind:     hidden_global_offset_y
      - .offset:         136
        .size:           8
        .value_kind:     hidden_global_offset_z
      - .offset:         144
        .size:           2
        .value_kind:     hidden_grid_dims
    .group_segment_fixed_size: 0
    .kernarg_segment_align: 8
    .kernarg_segment_size: 336
    .language:       OpenCL C
    .language_version:
      - 2
      - 0
    .max_flat_workgroup_size: 256
    .name:           _ZN9rocsparseL21csrmvn_general_kernelILj256ELj64EliDF16_DF16_ffEEvbT2_NS_24const_host_device_scalarIT6_EEPKT1_S7_PKS1_PKT3_PKT4_S4_PT5_21rocsparse_index_base_b
    .private_segment_fixed_size: 0
    .sgpr_count:     32
    .sgpr_spill_count: 0
    .symbol:         _ZN9rocsparseL21csrmvn_general_kernelILj256ELj64EliDF16_DF16_ffEEvbT2_NS_24const_host_device_scalarIT6_EEPKT1_S7_PKS1_PKT3_PKT4_S4_PT5_21rocsparse_index_base_b.kd
    .uniform_work_group_size: 1
    .uses_dynamic_stack: false
    .vgpr_count:     20
    .vgpr_spill_count: 0
    .wavefront_size: 64
  - .agpr_count:     0
    .args:
      - .offset:         0
        .size:           1
        .value_kind:     by_value
      - .offset:         1
        .size:           1
        .value_kind:     by_value
      - .offset:         4
        .size:           4
        .value_kind:     by_value
      - .offset:         8
        .size:           8
        .value_kind:     by_value
      - .address_space:  global
        .offset:         16
        .size:           8
        .value_kind:     global_buffer
      - .address_space:  global
        .offset:         24
        .size:           8
        .value_kind:     global_buffer
      - .actual_access:  read_only
        .address_space:  global
        .offset:         32
        .size:           8
        .value_kind:     global_buffer
      - .actual_access:  read_only
        .address_space:  global
        .offset:         40
        .size:           8
        .value_kind:     global_buffer
      - .actual_access:  read_only
        .address_space:  global
        .offset:         48
        .size:           8
        .value_kind:     global_buffer
      - .address_space:  global
        .offset:         56
        .size:           8
        .value_kind:     global_buffer
      - .offset:         64
        .size:           4
        .value_kind:     by_value
      - .offset:         68
        .size:           1
        .value_kind:     by_value
      - .offset:         72
        .size:           4
        .value_kind:     hidden_block_count_x
      - .offset:         76
        .size:           4
        .value_kind:     hidden_block_count_y
      - .offset:         80
        .size:           4
        .value_kind:     hidden_block_count_z
      - .offset:         84
        .size:           2
        .value_kind:     hidden_group_size_x
      - .offset:         86
        .size:           2
        .value_kind:     hidden_group_size_y
      - .offset:         88
        .size:           2
        .value_kind:     hidden_group_size_z
      - .offset:         90
        .size:           2
        .value_kind:     hidden_remainder_x
      - .offset:         92
        .size:           2
        .value_kind:     hidden_remainder_y
      - .offset:         94
        .size:           2
        .value_kind:     hidden_remainder_z
      - .offset:         112
        .size:           8
        .value_kind:     hidden_global_offset_x
      - .offset:         120
        .size:           8
        .value_kind:     hidden_global_offset_y
      - .offset:         128
        .size:           8
        .value_kind:     hidden_global_offset_z
      - .offset:         136
        .size:           2
        .value_kind:     hidden_grid_dims
    .group_segment_fixed_size: 0
    .kernarg_segment_align: 8
    .kernarg_segment_size: 328
    .language:       OpenCL C
    .language_version:
      - 2
      - 0
    .max_flat_workgroup_size: 256
    .name:           _ZN9rocsparseL21csrmvt_general_kernelILj256ELj4EliDF16_DF16_ffEEvbbT2_NS_24const_host_device_scalarIT6_EEPKT1_S7_PKS1_PKT3_PKT4_PT5_21rocsparse_index_base_b
    .private_segment_fixed_size: 0
    .sgpr_count:     34
    .sgpr_spill_count: 0
    .symbol:         _ZN9rocsparseL21csrmvt_general_kernelILj256ELj4EliDF16_DF16_ffEEvbbT2_NS_24const_host_device_scalarIT6_EEPKT1_S7_PKS1_PKT3_PKT4_PT5_21rocsparse_index_base_b.kd
    .uniform_work_group_size: 1
    .uses_dynamic_stack: false
    .vgpr_count:     19
    .vgpr_spill_count: 0
    .wavefront_size: 64
  - .agpr_count:     0
    .args:
      - .offset:         0
        .size:           1
        .value_kind:     by_value
      - .offset:         1
        .size:           1
        .value_kind:     by_value
      - .offset:         4
        .size:           4
        .value_kind:     by_value
      - .offset:         8
        .size:           8
        .value_kind:     by_value
      - .address_space:  global
        .offset:         16
        .size:           8
        .value_kind:     global_buffer
      - .address_space:  global
        .offset:         24
        .size:           8
        .value_kind:     global_buffer
      - .actual_access:  read_only
        .address_space:  global
        .offset:         32
        .size:           8
        .value_kind:     global_buffer
      - .actual_access:  read_only
        .address_space:  global
        .offset:         40
        .size:           8
        .value_kind:     global_buffer
      - .actual_access:  read_only
        .address_space:  global
        .offset:         48
        .size:           8
        .value_kind:     global_buffer
      - .address_space:  global
        .offset:         56
        .size:           8
        .value_kind:     global_buffer
      - .offset:         64
        .size:           4
        .value_kind:     by_value
      - .offset:         68
        .size:           1
        .value_kind:     by_value
      - .offset:         72
        .size:           4
        .value_kind:     hidden_block_count_x
      - .offset:         76
        .size:           4
        .value_kind:     hidden_block_count_y
      - .offset:         80
        .size:           4
        .value_kind:     hidden_block_count_z
      - .offset:         84
        .size:           2
        .value_kind:     hidden_group_size_x
      - .offset:         86
        .size:           2
        .value_kind:     hidden_group_size_y
      - .offset:         88
        .size:           2
        .value_kind:     hidden_group_size_z
      - .offset:         90
        .size:           2
        .value_kind:     hidden_remainder_x
      - .offset:         92
        .size:           2
        .value_kind:     hidden_remainder_y
      - .offset:         94
        .size:           2
        .value_kind:     hidden_remainder_z
      - .offset:         112
        .size:           8
        .value_kind:     hidden_global_offset_x
      - .offset:         120
        .size:           8
        .value_kind:     hidden_global_offset_y
      - .offset:         128
        .size:           8
        .value_kind:     hidden_global_offset_z
      - .offset:         136
        .size:           2
        .value_kind:     hidden_grid_dims
    .group_segment_fixed_size: 0
    .kernarg_segment_align: 8
    .kernarg_segment_size: 328
    .language:       OpenCL C
    .language_version:
      - 2
      - 0
    .max_flat_workgroup_size: 256
    .name:           _ZN9rocsparseL21csrmvt_general_kernelILj256ELj8EliDF16_DF16_ffEEvbbT2_NS_24const_host_device_scalarIT6_EEPKT1_S7_PKS1_PKT3_PKT4_PT5_21rocsparse_index_base_b
    .private_segment_fixed_size: 0
    .sgpr_count:     34
    .sgpr_spill_count: 0
    .symbol:         _ZN9rocsparseL21csrmvt_general_kernelILj256ELj8EliDF16_DF16_ffEEvbbT2_NS_24const_host_device_scalarIT6_EEPKT1_S7_PKS1_PKT3_PKT4_PT5_21rocsparse_index_base_b.kd
    .uniform_work_group_size: 1
    .uses_dynamic_stack: false
    .vgpr_count:     19
    .vgpr_spill_count: 0
    .wavefront_size: 64
  - .agpr_count:     0
    .args:
      - .offset:         0
        .size:           1
        .value_kind:     by_value
      - .offset:         1
        .size:           1
        .value_kind:     by_value
      - .offset:         4
        .size:           4
        .value_kind:     by_value
      - .offset:         8
        .size:           8
        .value_kind:     by_value
      - .address_space:  global
        .offset:         16
        .size:           8
        .value_kind:     global_buffer
      - .address_space:  global
        .offset:         24
        .size:           8
        .value_kind:     global_buffer
      - .actual_access:  read_only
        .address_space:  global
        .offset:         32
        .size:           8
        .value_kind:     global_buffer
      - .actual_access:  read_only
        .address_space:  global
        .offset:         40
        .size:           8
        .value_kind:     global_buffer
      - .actual_access:  read_only
        .address_space:  global
        .offset:         48
        .size:           8
        .value_kind:     global_buffer
      - .address_space:  global
        .offset:         56
        .size:           8
        .value_kind:     global_buffer
      - .offset:         64
        .size:           4
        .value_kind:     by_value
      - .offset:         68
        .size:           1
        .value_kind:     by_value
      - .offset:         72
        .size:           4
        .value_kind:     hidden_block_count_x
      - .offset:         76
        .size:           4
        .value_kind:     hidden_block_count_y
      - .offset:         80
        .size:           4
        .value_kind:     hidden_block_count_z
      - .offset:         84
        .size:           2
        .value_kind:     hidden_group_size_x
      - .offset:         86
        .size:           2
        .value_kind:     hidden_group_size_y
      - .offset:         88
        .size:           2
        .value_kind:     hidden_group_size_z
      - .offset:         90
        .size:           2
        .value_kind:     hidden_remainder_x
      - .offset:         92
        .size:           2
        .value_kind:     hidden_remainder_y
      - .offset:         94
        .size:           2
        .value_kind:     hidden_remainder_z
      - .offset:         112
        .size:           8
        .value_kind:     hidden_global_offset_x
      - .offset:         120
        .size:           8
        .value_kind:     hidden_global_offset_y
      - .offset:         128
        .size:           8
        .value_kind:     hidden_global_offset_z
      - .offset:         136
        .size:           2
        .value_kind:     hidden_grid_dims
    .group_segment_fixed_size: 0
    .kernarg_segment_align: 8
    .kernarg_segment_size: 328
    .language:       OpenCL C
    .language_version:
      - 2
      - 0
    .max_flat_workgroup_size: 256
    .name:           _ZN9rocsparseL21csrmvt_general_kernelILj256ELj16EliDF16_DF16_ffEEvbbT2_NS_24const_host_device_scalarIT6_EEPKT1_S7_PKS1_PKT3_PKT4_PT5_21rocsparse_index_base_b
    .private_segment_fixed_size: 0
    .sgpr_count:     34
    .sgpr_spill_count: 0
    .symbol:         _ZN9rocsparseL21csrmvt_general_kernelILj256ELj16EliDF16_DF16_ffEEvbbT2_NS_24const_host_device_scalarIT6_EEPKT1_S7_PKS1_PKT3_PKT4_PT5_21rocsparse_index_base_b.kd
    .uniform_work_group_size: 1
    .uses_dynamic_stack: false
    .vgpr_count:     19
    .vgpr_spill_count: 0
    .wavefront_size: 64
  - .agpr_count:     0
    .args:
      - .offset:         0
        .size:           1
        .value_kind:     by_value
      - .offset:         1
        .size:           1
        .value_kind:     by_value
      - .offset:         4
        .size:           4
        .value_kind:     by_value
      - .offset:         8
        .size:           8
        .value_kind:     by_value
      - .address_space:  global
        .offset:         16
        .size:           8
        .value_kind:     global_buffer
      - .address_space:  global
        .offset:         24
        .size:           8
        .value_kind:     global_buffer
      - .actual_access:  read_only
        .address_space:  global
        .offset:         32
        .size:           8
        .value_kind:     global_buffer
      - .actual_access:  read_only
        .address_space:  global
        .offset:         40
        .size:           8
        .value_kind:     global_buffer
      - .actual_access:  read_only
        .address_space:  global
        .offset:         48
        .size:           8
        .value_kind:     global_buffer
      - .address_space:  global
        .offset:         56
        .size:           8
        .value_kind:     global_buffer
      - .offset:         64
        .size:           4
        .value_kind:     by_value
      - .offset:         68
        .size:           1
        .value_kind:     by_value
      - .offset:         72
        .size:           4
        .value_kind:     hidden_block_count_x
      - .offset:         76
        .size:           4
        .value_kind:     hidden_block_count_y
      - .offset:         80
        .size:           4
        .value_kind:     hidden_block_count_z
      - .offset:         84
        .size:           2
        .value_kind:     hidden_group_size_x
      - .offset:         86
        .size:           2
        .value_kind:     hidden_group_size_y
      - .offset:         88
        .size:           2
        .value_kind:     hidden_group_size_z
      - .offset:         90
        .size:           2
        .value_kind:     hidden_remainder_x
      - .offset:         92
        .size:           2
        .value_kind:     hidden_remainder_y
      - .offset:         94
        .size:           2
        .value_kind:     hidden_remainder_z
      - .offset:         112
        .size:           8
        .value_kind:     hidden_global_offset_x
      - .offset:         120
        .size:           8
        .value_kind:     hidden_global_offset_y
      - .offset:         128
        .size:           8
        .value_kind:     hidden_global_offset_z
      - .offset:         136
        .size:           2
        .value_kind:     hidden_grid_dims
    .group_segment_fixed_size: 0
    .kernarg_segment_align: 8
    .kernarg_segment_size: 328
    .language:       OpenCL C
    .language_version:
      - 2
      - 0
    .max_flat_workgroup_size: 256
    .name:           _ZN9rocsparseL21csrmvt_general_kernelILj256ELj32EliDF16_DF16_ffEEvbbT2_NS_24const_host_device_scalarIT6_EEPKT1_S7_PKS1_PKT3_PKT4_PT5_21rocsparse_index_base_b
    .private_segment_fixed_size: 0
    .sgpr_count:     34
    .sgpr_spill_count: 0
    .symbol:         _ZN9rocsparseL21csrmvt_general_kernelILj256ELj32EliDF16_DF16_ffEEvbbT2_NS_24const_host_device_scalarIT6_EEPKT1_S7_PKS1_PKT3_PKT4_PT5_21rocsparse_index_base_b.kd
    .uniform_work_group_size: 1
    .uses_dynamic_stack: false
    .vgpr_count:     19
    .vgpr_spill_count: 0
    .wavefront_size: 64
  - .agpr_count:     0
    .args:
      - .offset:         0
        .size:           1
        .value_kind:     by_value
      - .offset:         1
        .size:           1
        .value_kind:     by_value
      - .offset:         4
        .size:           4
        .value_kind:     by_value
      - .offset:         8
        .size:           8
        .value_kind:     by_value
      - .address_space:  global
        .offset:         16
        .size:           8
        .value_kind:     global_buffer
      - .address_space:  global
        .offset:         24
        .size:           8
        .value_kind:     global_buffer
      - .actual_access:  read_only
        .address_space:  global
        .offset:         32
        .size:           8
        .value_kind:     global_buffer
      - .actual_access:  read_only
        .address_space:  global
        .offset:         40
        .size:           8
        .value_kind:     global_buffer
      - .actual_access:  read_only
        .address_space:  global
        .offset:         48
        .size:           8
        .value_kind:     global_buffer
      - .address_space:  global
        .offset:         56
        .size:           8
        .value_kind:     global_buffer
      - .offset:         64
        .size:           4
        .value_kind:     by_value
      - .offset:         68
        .size:           1
        .value_kind:     by_value
      - .offset:         72
        .size:           4
        .value_kind:     hidden_block_count_x
      - .offset:         76
        .size:           4
        .value_kind:     hidden_block_count_y
      - .offset:         80
        .size:           4
        .value_kind:     hidden_block_count_z
      - .offset:         84
        .size:           2
        .value_kind:     hidden_group_size_x
      - .offset:         86
        .size:           2
        .value_kind:     hidden_group_size_y
      - .offset:         88
        .size:           2
        .value_kind:     hidden_group_size_z
      - .offset:         90
        .size:           2
        .value_kind:     hidden_remainder_x
      - .offset:         92
        .size:           2
        .value_kind:     hidden_remainder_y
      - .offset:         94
        .size:           2
        .value_kind:     hidden_remainder_z
      - .offset:         112
        .size:           8
        .value_kind:     hidden_global_offset_x
      - .offset:         120
        .size:           8
        .value_kind:     hidden_global_offset_y
      - .offset:         128
        .size:           8
        .value_kind:     hidden_global_offset_z
      - .offset:         136
        .size:           2
        .value_kind:     hidden_grid_dims
    .group_segment_fixed_size: 0
    .kernarg_segment_align: 8
    .kernarg_segment_size: 328
    .language:       OpenCL C
    .language_version:
      - 2
      - 0
    .max_flat_workgroup_size: 256
    .name:           _ZN9rocsparseL21csrmvt_general_kernelILj256ELj64EliDF16_DF16_ffEEvbbT2_NS_24const_host_device_scalarIT6_EEPKT1_S7_PKS1_PKT3_PKT4_PT5_21rocsparse_index_base_b
    .private_segment_fixed_size: 0
    .sgpr_count:     34
    .sgpr_spill_count: 0
    .symbol:         _ZN9rocsparseL21csrmvt_general_kernelILj256ELj64EliDF16_DF16_ffEEvbbT2_NS_24const_host_device_scalarIT6_EEPKT1_S7_PKS1_PKT3_PKT4_PT5_21rocsparse_index_base_b.kd
    .uniform_work_group_size: 1
    .uses_dynamic_stack: false
    .vgpr_count:     19
    .vgpr_spill_count: 0
    .wavefront_size: 64
  - .agpr_count:     0
    .args:
      - .offset:         0
        .size:           1
        .value_kind:     by_value
      - .offset:         8
        .size:           8
        .value_kind:     by_value
      - .offset:         16
        .size:           8
        .value_kind:     by_value
      - .address_space:  global
        .offset:         24
        .size:           8
        .value_kind:     global_buffer
      - .address_space:  global
        .offset:         32
        .size:           8
        .value_kind:     global_buffer
      - .actual_access:  read_only
        .address_space:  global
        .offset:         40
        .size:           8
        .value_kind:     global_buffer
      - .actual_access:  read_only
        .address_space:  global
        .offset:         48
        .size:           8
        .value_kind:     global_buffer
      - .actual_access:  read_only
        .address_space:  global
        .offset:         56
        .size:           8
        .value_kind:     global_buffer
      - .offset:         64
        .size:           8
        .value_kind:     by_value
      - .address_space:  global
        .offset:         72
        .size:           8
        .value_kind:     global_buffer
      - .offset:         80
        .size:           4
        .value_kind:     by_value
      - .offset:         84
        .size:           1
        .value_kind:     by_value
      - .offset:         88
        .size:           4
        .value_kind:     hidden_block_count_x
      - .offset:         92
        .size:           4
        .value_kind:     hidden_block_count_y
      - .offset:         96
        .size:           4
        .value_kind:     hidden_block_count_z
      - .offset:         100
        .size:           2
        .value_kind:     hidden_group_size_x
      - .offset:         102
        .size:           2
        .value_kind:     hidden_group_size_y
      - .offset:         104
        .size:           2
        .value_kind:     hidden_group_size_z
      - .offset:         106
        .size:           2
        .value_kind:     hidden_remainder_x
      - .offset:         108
        .size:           2
        .value_kind:     hidden_remainder_y
      - .offset:         110
        .size:           2
        .value_kind:     hidden_remainder_z
      - .offset:         128
        .size:           8
        .value_kind:     hidden_global_offset_x
      - .offset:         136
        .size:           8
        .value_kind:     hidden_global_offset_y
      - .offset:         144
        .size:           8
        .value_kind:     hidden_global_offset_z
      - .offset:         152
        .size:           2
        .value_kind:     hidden_grid_dims
    .group_segment_fixed_size: 0
    .kernarg_segment_align: 8
    .kernarg_segment_size: 344
    .language:       OpenCL C
    .language_version:
      - 2
      - 0
    .max_flat_workgroup_size: 256
    .name:           _ZN9rocsparseL21csrmvn_general_kernelILj256ELj2EllDF16_DF16_ffEEvbT2_NS_24const_host_device_scalarIT6_EEPKT1_S7_PKS1_PKT3_PKT4_S4_PT5_21rocsparse_index_base_b
    .private_segment_fixed_size: 0
    .sgpr_count:     32
    .sgpr_spill_count: 0
    .symbol:         _ZN9rocsparseL21csrmvn_general_kernelILj256ELj2EllDF16_DF16_ffEEvbT2_NS_24const_host_device_scalarIT6_EEPKT1_S7_PKS1_PKT3_PKT4_S4_PT5_21rocsparse_index_base_b.kd
    .uniform_work_group_size: 1
    .uses_dynamic_stack: false
    .vgpr_count:     21
    .vgpr_spill_count: 0
    .wavefront_size: 64
  - .agpr_count:     0
    .args:
      - .offset:         0
        .size:           1
        .value_kind:     by_value
      - .offset:         8
        .size:           8
        .value_kind:     by_value
      - .offset:         16
        .size:           8
        .value_kind:     by_value
      - .address_space:  global
        .offset:         24
        .size:           8
        .value_kind:     global_buffer
      - .address_space:  global
        .offset:         32
        .size:           8
        .value_kind:     global_buffer
      - .actual_access:  read_only
        .address_space:  global
        .offset:         40
        .size:           8
        .value_kind:     global_buffer
      - .actual_access:  read_only
        .address_space:  global
        .offset:         48
        .size:           8
        .value_kind:     global_buffer
      - .actual_access:  read_only
        .address_space:  global
        .offset:         56
        .size:           8
        .value_kind:     global_buffer
      - .offset:         64
        .size:           8
        .value_kind:     by_value
      - .address_space:  global
        .offset:         72
        .size:           8
        .value_kind:     global_buffer
      - .offset:         80
        .size:           4
        .value_kind:     by_value
      - .offset:         84
        .size:           1
        .value_kind:     by_value
      - .offset:         88
        .size:           4
        .value_kind:     hidden_block_count_x
      - .offset:         92
        .size:           4
        .value_kind:     hidden_block_count_y
      - .offset:         96
        .size:           4
        .value_kind:     hidden_block_count_z
      - .offset:         100
        .size:           2
        .value_kind:     hidden_group_size_x
      - .offset:         102
        .size:           2
        .value_kind:     hidden_group_size_y
      - .offset:         104
        .size:           2
        .value_kind:     hidden_group_size_z
      - .offset:         106
        .size:           2
        .value_kind:     hidden_remainder_x
      - .offset:         108
        .size:           2
        .value_kind:     hidden_remainder_y
      - .offset:         110
        .size:           2
        .value_kind:     hidden_remainder_z
      - .offset:         128
        .size:           8
        .value_kind:     hidden_global_offset_x
      - .offset:         136
        .size:           8
        .value_kind:     hidden_global_offset_y
      - .offset:         144
        .size:           8
        .value_kind:     hidden_global_offset_z
      - .offset:         152
        .size:           2
        .value_kind:     hidden_grid_dims
    .group_segment_fixed_size: 0
    .kernarg_segment_align: 8
    .kernarg_segment_size: 344
    .language:       OpenCL C
    .language_version:
      - 2
      - 0
    .max_flat_workgroup_size: 256
    .name:           _ZN9rocsparseL21csrmvn_general_kernelILj256ELj4EllDF16_DF16_ffEEvbT2_NS_24const_host_device_scalarIT6_EEPKT1_S7_PKS1_PKT3_PKT4_S4_PT5_21rocsparse_index_base_b
    .private_segment_fixed_size: 0
    .sgpr_count:     32
    .sgpr_spill_count: 0
    .symbol:         _ZN9rocsparseL21csrmvn_general_kernelILj256ELj4EllDF16_DF16_ffEEvbT2_NS_24const_host_device_scalarIT6_EEPKT1_S7_PKS1_PKT3_PKT4_S4_PT5_21rocsparse_index_base_b.kd
    .uniform_work_group_size: 1
    .uses_dynamic_stack: false
    .vgpr_count:     20
    .vgpr_spill_count: 0
    .wavefront_size: 64
  - .agpr_count:     0
    .args:
      - .offset:         0
        .size:           1
        .value_kind:     by_value
      - .offset:         8
        .size:           8
        .value_kind:     by_value
      - .offset:         16
        .size:           8
        .value_kind:     by_value
      - .address_space:  global
        .offset:         24
        .size:           8
        .value_kind:     global_buffer
      - .address_space:  global
        .offset:         32
        .size:           8
        .value_kind:     global_buffer
      - .actual_access:  read_only
        .address_space:  global
        .offset:         40
        .size:           8
        .value_kind:     global_buffer
      - .actual_access:  read_only
        .address_space:  global
        .offset:         48
        .size:           8
        .value_kind:     global_buffer
      - .actual_access:  read_only
        .address_space:  global
        .offset:         56
        .size:           8
        .value_kind:     global_buffer
      - .offset:         64
        .size:           8
        .value_kind:     by_value
      - .address_space:  global
        .offset:         72
        .size:           8
        .value_kind:     global_buffer
      - .offset:         80
        .size:           4
        .value_kind:     by_value
      - .offset:         84
        .size:           1
        .value_kind:     by_value
      - .offset:         88
        .size:           4
        .value_kind:     hidden_block_count_x
      - .offset:         92
        .size:           4
        .value_kind:     hidden_block_count_y
      - .offset:         96
        .size:           4
        .value_kind:     hidden_block_count_z
      - .offset:         100
        .size:           2
        .value_kind:     hidden_group_size_x
      - .offset:         102
        .size:           2
        .value_kind:     hidden_group_size_y
      - .offset:         104
        .size:           2
        .value_kind:     hidden_group_size_z
      - .offset:         106
        .size:           2
        .value_kind:     hidden_remainder_x
      - .offset:         108
        .size:           2
        .value_kind:     hidden_remainder_y
      - .offset:         110
        .size:           2
        .value_kind:     hidden_remainder_z
      - .offset:         128
        .size:           8
        .value_kind:     hidden_global_offset_x
      - .offset:         136
        .size:           8
        .value_kind:     hidden_global_offset_y
      - .offset:         144
        .size:           8
        .value_kind:     hidden_global_offset_z
      - .offset:         152
        .size:           2
        .value_kind:     hidden_grid_dims
    .group_segment_fixed_size: 0
    .kernarg_segment_align: 8
    .kernarg_segment_size: 344
    .language:       OpenCL C
    .language_version:
      - 2
      - 0
    .max_flat_workgroup_size: 256
    .name:           _ZN9rocsparseL21csrmvn_general_kernelILj256ELj8EllDF16_DF16_ffEEvbT2_NS_24const_host_device_scalarIT6_EEPKT1_S7_PKS1_PKT3_PKT4_S4_PT5_21rocsparse_index_base_b
    .private_segment_fixed_size: 0
    .sgpr_count:     32
    .sgpr_spill_count: 0
    .symbol:         _ZN9rocsparseL21csrmvn_general_kernelILj256ELj8EllDF16_DF16_ffEEvbT2_NS_24const_host_device_scalarIT6_EEPKT1_S7_PKS1_PKT3_PKT4_S4_PT5_21rocsparse_index_base_b.kd
    .uniform_work_group_size: 1
    .uses_dynamic_stack: false
    .vgpr_count:     20
    .vgpr_spill_count: 0
    .wavefront_size: 64
  - .agpr_count:     0
    .args:
      - .offset:         0
        .size:           1
        .value_kind:     by_value
      - .offset:         8
        .size:           8
        .value_kind:     by_value
      - .offset:         16
        .size:           8
        .value_kind:     by_value
      - .address_space:  global
        .offset:         24
        .size:           8
        .value_kind:     global_buffer
      - .address_space:  global
        .offset:         32
        .size:           8
        .value_kind:     global_buffer
      - .actual_access:  read_only
        .address_space:  global
        .offset:         40
        .size:           8
        .value_kind:     global_buffer
      - .actual_access:  read_only
        .address_space:  global
        .offset:         48
        .size:           8
        .value_kind:     global_buffer
      - .actual_access:  read_only
        .address_space:  global
        .offset:         56
        .size:           8
        .value_kind:     global_buffer
      - .offset:         64
        .size:           8
        .value_kind:     by_value
      - .address_space:  global
        .offset:         72
        .size:           8
        .value_kind:     global_buffer
      - .offset:         80
        .size:           4
        .value_kind:     by_value
      - .offset:         84
        .size:           1
        .value_kind:     by_value
      - .offset:         88
        .size:           4
        .value_kind:     hidden_block_count_x
      - .offset:         92
        .size:           4
        .value_kind:     hidden_block_count_y
      - .offset:         96
        .size:           4
        .value_kind:     hidden_block_count_z
      - .offset:         100
        .size:           2
        .value_kind:     hidden_group_size_x
      - .offset:         102
        .size:           2
        .value_kind:     hidden_group_size_y
      - .offset:         104
        .size:           2
        .value_kind:     hidden_group_size_z
      - .offset:         106
        .size:           2
        .value_kind:     hidden_remainder_x
      - .offset:         108
        .size:           2
        .value_kind:     hidden_remainder_y
      - .offset:         110
        .size:           2
        .value_kind:     hidden_remainder_z
      - .offset:         128
        .size:           8
        .value_kind:     hidden_global_offset_x
      - .offset:         136
        .size:           8
        .value_kind:     hidden_global_offset_y
      - .offset:         144
        .size:           8
        .value_kind:     hidden_global_offset_z
      - .offset:         152
        .size:           2
        .value_kind:     hidden_grid_dims
    .group_segment_fixed_size: 0
    .kernarg_segment_align: 8
    .kernarg_segment_size: 344
    .language:       OpenCL C
    .language_version:
      - 2
      - 0
    .max_flat_workgroup_size: 256
    .name:           _ZN9rocsparseL21csrmvn_general_kernelILj256ELj16EllDF16_DF16_ffEEvbT2_NS_24const_host_device_scalarIT6_EEPKT1_S7_PKS1_PKT3_PKT4_S4_PT5_21rocsparse_index_base_b
    .private_segment_fixed_size: 0
    .sgpr_count:     32
    .sgpr_spill_count: 0
    .symbol:         _ZN9rocsparseL21csrmvn_general_kernelILj256ELj16EllDF16_DF16_ffEEvbT2_NS_24const_host_device_scalarIT6_EEPKT1_S7_PKS1_PKT3_PKT4_S4_PT5_21rocsparse_index_base_b.kd
    .uniform_work_group_size: 1
    .uses_dynamic_stack: false
    .vgpr_count:     20
    .vgpr_spill_count: 0
    .wavefront_size: 64
  - .agpr_count:     0
    .args:
      - .offset:         0
        .size:           1
        .value_kind:     by_value
      - .offset:         8
        .size:           8
        .value_kind:     by_value
      - .offset:         16
        .size:           8
        .value_kind:     by_value
      - .address_space:  global
        .offset:         24
        .size:           8
        .value_kind:     global_buffer
      - .address_space:  global
        .offset:         32
        .size:           8
        .value_kind:     global_buffer
      - .actual_access:  read_only
        .address_space:  global
        .offset:         40
        .size:           8
        .value_kind:     global_buffer
      - .actual_access:  read_only
        .address_space:  global
        .offset:         48
        .size:           8
        .value_kind:     global_buffer
      - .actual_access:  read_only
        .address_space:  global
        .offset:         56
        .size:           8
        .value_kind:     global_buffer
      - .offset:         64
        .size:           8
        .value_kind:     by_value
      - .address_space:  global
        .offset:         72
        .size:           8
        .value_kind:     global_buffer
      - .offset:         80
        .size:           4
        .value_kind:     by_value
      - .offset:         84
        .size:           1
        .value_kind:     by_value
      - .offset:         88
        .size:           4
        .value_kind:     hidden_block_count_x
      - .offset:         92
        .size:           4
        .value_kind:     hidden_block_count_y
      - .offset:         96
        .size:           4
        .value_kind:     hidden_block_count_z
      - .offset:         100
        .size:           2
        .value_kind:     hidden_group_size_x
      - .offset:         102
        .size:           2
        .value_kind:     hidden_group_size_y
      - .offset:         104
        .size:           2
        .value_kind:     hidden_group_size_z
      - .offset:         106
        .size:           2
        .value_kind:     hidden_remainder_x
      - .offset:         108
        .size:           2
        .value_kind:     hidden_remainder_y
      - .offset:         110
        .size:           2
        .value_kind:     hidden_remainder_z
      - .offset:         128
        .size:           8
        .value_kind:     hidden_global_offset_x
      - .offset:         136
        .size:           8
        .value_kind:     hidden_global_offset_y
      - .offset:         144
        .size:           8
        .value_kind:     hidden_global_offset_z
      - .offset:         152
        .size:           2
        .value_kind:     hidden_grid_dims
    .group_segment_fixed_size: 0
    .kernarg_segment_align: 8
    .kernarg_segment_size: 344
    .language:       OpenCL C
    .language_version:
      - 2
      - 0
    .max_flat_workgroup_size: 256
    .name:           _ZN9rocsparseL21csrmvn_general_kernelILj256ELj32EllDF16_DF16_ffEEvbT2_NS_24const_host_device_scalarIT6_EEPKT1_S7_PKS1_PKT3_PKT4_S4_PT5_21rocsparse_index_base_b
    .private_segment_fixed_size: 0
    .sgpr_count:     32
    .sgpr_spill_count: 0
    .symbol:         _ZN9rocsparseL21csrmvn_general_kernelILj256ELj32EllDF16_DF16_ffEEvbT2_NS_24const_host_device_scalarIT6_EEPKT1_S7_PKS1_PKT3_PKT4_S4_PT5_21rocsparse_index_base_b.kd
    .uniform_work_group_size: 1
    .uses_dynamic_stack: false
    .vgpr_count:     20
    .vgpr_spill_count: 0
    .wavefront_size: 64
  - .agpr_count:     0
    .args:
      - .offset:         0
        .size:           1
        .value_kind:     by_value
      - .offset:         8
        .size:           8
        .value_kind:     by_value
      - .offset:         16
        .size:           8
        .value_kind:     by_value
      - .address_space:  global
        .offset:         24
        .size:           8
        .value_kind:     global_buffer
      - .address_space:  global
        .offset:         32
        .size:           8
        .value_kind:     global_buffer
      - .actual_access:  read_only
        .address_space:  global
        .offset:         40
        .size:           8
        .value_kind:     global_buffer
      - .actual_access:  read_only
        .address_space:  global
        .offset:         48
        .size:           8
        .value_kind:     global_buffer
      - .actual_access:  read_only
        .address_space:  global
        .offset:         56
        .size:           8
        .value_kind:     global_buffer
      - .offset:         64
        .size:           8
        .value_kind:     by_value
      - .address_space:  global
        .offset:         72
        .size:           8
        .value_kind:     global_buffer
      - .offset:         80
        .size:           4
        .value_kind:     by_value
      - .offset:         84
        .size:           1
        .value_kind:     by_value
      - .offset:         88
        .size:           4
        .value_kind:     hidden_block_count_x
      - .offset:         92
        .size:           4
        .value_kind:     hidden_block_count_y
      - .offset:         96
        .size:           4
        .value_kind:     hidden_block_count_z
      - .offset:         100
        .size:           2
        .value_kind:     hidden_group_size_x
      - .offset:         102
        .size:           2
        .value_kind:     hidden_group_size_y
      - .offset:         104
        .size:           2
        .value_kind:     hidden_group_size_z
      - .offset:         106
        .size:           2
        .value_kind:     hidden_remainder_x
      - .offset:         108
        .size:           2
        .value_kind:     hidden_remainder_y
      - .offset:         110
        .size:           2
        .value_kind:     hidden_remainder_z
      - .offset:         128
        .size:           8
        .value_kind:     hidden_global_offset_x
      - .offset:         136
        .size:           8
        .value_kind:     hidden_global_offset_y
      - .offset:         144
        .size:           8
        .value_kind:     hidden_global_offset_z
      - .offset:         152
        .size:           2
        .value_kind:     hidden_grid_dims
    .group_segment_fixed_size: 0
    .kernarg_segment_align: 8
    .kernarg_segment_size: 344
    .language:       OpenCL C
    .language_version:
      - 2
      - 0
    .max_flat_workgroup_size: 256
    .name:           _ZN9rocsparseL21csrmvn_general_kernelILj256ELj64EllDF16_DF16_ffEEvbT2_NS_24const_host_device_scalarIT6_EEPKT1_S7_PKS1_PKT3_PKT4_S4_PT5_21rocsparse_index_base_b
    .private_segment_fixed_size: 0
    .sgpr_count:     34
    .sgpr_spill_count: 0
    .symbol:         _ZN9rocsparseL21csrmvn_general_kernelILj256ELj64EllDF16_DF16_ffEEvbT2_NS_24const_host_device_scalarIT6_EEPKT1_S7_PKS1_PKT3_PKT4_S4_PT5_21rocsparse_index_base_b.kd
    .uniform_work_group_size: 1
    .uses_dynamic_stack: false
    .vgpr_count:     20
    .vgpr_spill_count: 0
    .wavefront_size: 64
  - .agpr_count:     0
    .args:
      - .offset:         0
        .size:           1
        .value_kind:     by_value
      - .offset:         1
        .size:           1
        .value_kind:     by_value
      - .offset:         8
        .size:           8
        .value_kind:     by_value
      - .offset:         16
        .size:           8
        .value_kind:     by_value
      - .address_space:  global
        .offset:         24
        .size:           8
        .value_kind:     global_buffer
      - .address_space:  global
        .offset:         32
        .size:           8
        .value_kind:     global_buffer
      - .actual_access:  read_only
        .address_space:  global
        .offset:         40
        .size:           8
        .value_kind:     global_buffer
      - .actual_access:  read_only
        .address_space:  global
        .offset:         48
        .size:           8
        .value_kind:     global_buffer
      - .actual_access:  read_only
        .address_space:  global
        .offset:         56
        .size:           8
        .value_kind:     global_buffer
      - .address_space:  global
        .offset:         64
        .size:           8
        .value_kind:     global_buffer
      - .offset:         72
        .size:           4
        .value_kind:     by_value
      - .offset:         76
        .size:           1
        .value_kind:     by_value
      - .offset:         80
        .size:           4
        .value_kind:     hidden_block_count_x
      - .offset:         84
        .size:           4
        .value_kind:     hidden_block_count_y
      - .offset:         88
        .size:           4
        .value_kind:     hidden_block_count_z
      - .offset:         92
        .size:           2
        .value_kind:     hidden_group_size_x
      - .offset:         94
        .size:           2
        .value_kind:     hidden_group_size_y
      - .offset:         96
        .size:           2
        .value_kind:     hidden_group_size_z
      - .offset:         98
        .size:           2
        .value_kind:     hidden_remainder_x
      - .offset:         100
        .size:           2
        .value_kind:     hidden_remainder_y
      - .offset:         102
        .size:           2
        .value_kind:     hidden_remainder_z
      - .offset:         120
        .size:           8
        .value_kind:     hidden_global_offset_x
      - .offset:         128
        .size:           8
        .value_kind:     hidden_global_offset_y
      - .offset:         136
        .size:           8
        .value_kind:     hidden_global_offset_z
      - .offset:         144
        .size:           2
        .value_kind:     hidden_grid_dims
    .group_segment_fixed_size: 0
    .kernarg_segment_align: 8
    .kernarg_segment_size: 336
    .language:       OpenCL C
    .language_version:
      - 2
      - 0
    .max_flat_workgroup_size: 256
    .name:           _ZN9rocsparseL21csrmvt_general_kernelILj256ELj4EllDF16_DF16_ffEEvbbT2_NS_24const_host_device_scalarIT6_EEPKT1_S7_PKS1_PKT3_PKT4_PT5_21rocsparse_index_base_b
    .private_segment_fixed_size: 0
    .sgpr_count:     34
    .sgpr_spill_count: 0
    .symbol:         _ZN9rocsparseL21csrmvt_general_kernelILj256ELj4EllDF16_DF16_ffEEvbbT2_NS_24const_host_device_scalarIT6_EEPKT1_S7_PKS1_PKT3_PKT4_PT5_21rocsparse_index_base_b.kd
    .uniform_work_group_size: 1
    .uses_dynamic_stack: false
    .vgpr_count:     21
    .vgpr_spill_count: 0
    .wavefront_size: 64
  - .agpr_count:     0
    .args:
      - .offset:         0
        .size:           1
        .value_kind:     by_value
      - .offset:         1
        .size:           1
        .value_kind:     by_value
      - .offset:         8
        .size:           8
        .value_kind:     by_value
      - .offset:         16
        .size:           8
        .value_kind:     by_value
      - .address_space:  global
        .offset:         24
        .size:           8
        .value_kind:     global_buffer
      - .address_space:  global
        .offset:         32
        .size:           8
        .value_kind:     global_buffer
      - .actual_access:  read_only
        .address_space:  global
        .offset:         40
        .size:           8
        .value_kind:     global_buffer
      - .actual_access:  read_only
        .address_space:  global
        .offset:         48
        .size:           8
        .value_kind:     global_buffer
      - .actual_access:  read_only
        .address_space:  global
        .offset:         56
        .size:           8
        .value_kind:     global_buffer
      - .address_space:  global
        .offset:         64
        .size:           8
        .value_kind:     global_buffer
      - .offset:         72
        .size:           4
        .value_kind:     by_value
      - .offset:         76
        .size:           1
        .value_kind:     by_value
      - .offset:         80
        .size:           4
        .value_kind:     hidden_block_count_x
      - .offset:         84
        .size:           4
        .value_kind:     hidden_block_count_y
      - .offset:         88
        .size:           4
        .value_kind:     hidden_block_count_z
      - .offset:         92
        .size:           2
        .value_kind:     hidden_group_size_x
      - .offset:         94
        .size:           2
        .value_kind:     hidden_group_size_y
      - .offset:         96
        .size:           2
        .value_kind:     hidden_group_size_z
      - .offset:         98
        .size:           2
        .value_kind:     hidden_remainder_x
      - .offset:         100
        .size:           2
        .value_kind:     hidden_remainder_y
      - .offset:         102
        .size:           2
        .value_kind:     hidden_remainder_z
      - .offset:         120
        .size:           8
        .value_kind:     hidden_global_offset_x
      - .offset:         128
        .size:           8
        .value_kind:     hidden_global_offset_y
      - .offset:         136
        .size:           8
        .value_kind:     hidden_global_offset_z
      - .offset:         144
        .size:           2
        .value_kind:     hidden_grid_dims
    .group_segment_fixed_size: 0
    .kernarg_segment_align: 8
    .kernarg_segment_size: 336
    .language:       OpenCL C
    .language_version:
      - 2
      - 0
    .max_flat_workgroup_size: 256
    .name:           _ZN9rocsparseL21csrmvt_general_kernelILj256ELj8EllDF16_DF16_ffEEvbbT2_NS_24const_host_device_scalarIT6_EEPKT1_S7_PKS1_PKT3_PKT4_PT5_21rocsparse_index_base_b
    .private_segment_fixed_size: 0
    .sgpr_count:     34
    .sgpr_spill_count: 0
    .symbol:         _ZN9rocsparseL21csrmvt_general_kernelILj256ELj8EllDF16_DF16_ffEEvbbT2_NS_24const_host_device_scalarIT6_EEPKT1_S7_PKS1_PKT3_PKT4_PT5_21rocsparse_index_base_b.kd
    .uniform_work_group_size: 1
    .uses_dynamic_stack: false
    .vgpr_count:     21
    .vgpr_spill_count: 0
    .wavefront_size: 64
  - .agpr_count:     0
    .args:
      - .offset:         0
        .size:           1
        .value_kind:     by_value
      - .offset:         1
        .size:           1
        .value_kind:     by_value
      - .offset:         8
        .size:           8
        .value_kind:     by_value
      - .offset:         16
        .size:           8
        .value_kind:     by_value
      - .address_space:  global
        .offset:         24
        .size:           8
        .value_kind:     global_buffer
      - .address_space:  global
        .offset:         32
        .size:           8
        .value_kind:     global_buffer
      - .actual_access:  read_only
        .address_space:  global
        .offset:         40
        .size:           8
        .value_kind:     global_buffer
      - .actual_access:  read_only
        .address_space:  global
        .offset:         48
        .size:           8
        .value_kind:     global_buffer
      - .actual_access:  read_only
        .address_space:  global
        .offset:         56
        .size:           8
        .value_kind:     global_buffer
      - .address_space:  global
        .offset:         64
        .size:           8
        .value_kind:     global_buffer
      - .offset:         72
        .size:           4
        .value_kind:     by_value
      - .offset:         76
        .size:           1
        .value_kind:     by_value
      - .offset:         80
        .size:           4
        .value_kind:     hidden_block_count_x
      - .offset:         84
        .size:           4
        .value_kind:     hidden_block_count_y
      - .offset:         88
        .size:           4
        .value_kind:     hidden_block_count_z
      - .offset:         92
        .size:           2
        .value_kind:     hidden_group_size_x
      - .offset:         94
        .size:           2
        .value_kind:     hidden_group_size_y
      - .offset:         96
        .size:           2
        .value_kind:     hidden_group_size_z
      - .offset:         98
        .size:           2
        .value_kind:     hidden_remainder_x
      - .offset:         100
        .size:           2
        .value_kind:     hidden_remainder_y
      - .offset:         102
        .size:           2
        .value_kind:     hidden_remainder_z
      - .offset:         120
        .size:           8
        .value_kind:     hidden_global_offset_x
      - .offset:         128
        .size:           8
        .value_kind:     hidden_global_offset_y
      - .offset:         136
        .size:           8
        .value_kind:     hidden_global_offset_z
      - .offset:         144
        .size:           2
        .value_kind:     hidden_grid_dims
    .group_segment_fixed_size: 0
    .kernarg_segment_align: 8
    .kernarg_segment_size: 336
    .language:       OpenCL C
    .language_version:
      - 2
      - 0
    .max_flat_workgroup_size: 256
    .name:           _ZN9rocsparseL21csrmvt_general_kernelILj256ELj16EllDF16_DF16_ffEEvbbT2_NS_24const_host_device_scalarIT6_EEPKT1_S7_PKS1_PKT3_PKT4_PT5_21rocsparse_index_base_b
    .private_segment_fixed_size: 0
    .sgpr_count:     34
    .sgpr_spill_count: 0
    .symbol:         _ZN9rocsparseL21csrmvt_general_kernelILj256ELj16EllDF16_DF16_ffEEvbbT2_NS_24const_host_device_scalarIT6_EEPKT1_S7_PKS1_PKT3_PKT4_PT5_21rocsparse_index_base_b.kd
    .uniform_work_group_size: 1
    .uses_dynamic_stack: false
    .vgpr_count:     21
    .vgpr_spill_count: 0
    .wavefront_size: 64
  - .agpr_count:     0
    .args:
      - .offset:         0
        .size:           1
        .value_kind:     by_value
      - .offset:         1
        .size:           1
        .value_kind:     by_value
      - .offset:         8
        .size:           8
        .value_kind:     by_value
      - .offset:         16
        .size:           8
        .value_kind:     by_value
      - .address_space:  global
        .offset:         24
        .size:           8
        .value_kind:     global_buffer
      - .address_space:  global
        .offset:         32
        .size:           8
        .value_kind:     global_buffer
      - .actual_access:  read_only
        .address_space:  global
        .offset:         40
        .size:           8
        .value_kind:     global_buffer
      - .actual_access:  read_only
        .address_space:  global
        .offset:         48
        .size:           8
        .value_kind:     global_buffer
      - .actual_access:  read_only
        .address_space:  global
        .offset:         56
        .size:           8
        .value_kind:     global_buffer
      - .address_space:  global
        .offset:         64
        .size:           8
        .value_kind:     global_buffer
      - .offset:         72
        .size:           4
        .value_kind:     by_value
      - .offset:         76
        .size:           1
        .value_kind:     by_value
      - .offset:         80
        .size:           4
        .value_kind:     hidden_block_count_x
      - .offset:         84
        .size:           4
        .value_kind:     hidden_block_count_y
      - .offset:         88
        .size:           4
        .value_kind:     hidden_block_count_z
      - .offset:         92
        .size:           2
        .value_kind:     hidden_group_size_x
      - .offset:         94
        .size:           2
        .value_kind:     hidden_group_size_y
      - .offset:         96
        .size:           2
        .value_kind:     hidden_group_size_z
      - .offset:         98
        .size:           2
        .value_kind:     hidden_remainder_x
      - .offset:         100
        .size:           2
        .value_kind:     hidden_remainder_y
      - .offset:         102
        .size:           2
        .value_kind:     hidden_remainder_z
      - .offset:         120
        .size:           8
        .value_kind:     hidden_global_offset_x
      - .offset:         128
        .size:           8
        .value_kind:     hidden_global_offset_y
      - .offset:         136
        .size:           8
        .value_kind:     hidden_global_offset_z
      - .offset:         144
        .size:           2
        .value_kind:     hidden_grid_dims
    .group_segment_fixed_size: 0
    .kernarg_segment_align: 8
    .kernarg_segment_size: 336
    .language:       OpenCL C
    .language_version:
      - 2
      - 0
    .max_flat_workgroup_size: 256
    .name:           _ZN9rocsparseL21csrmvt_general_kernelILj256ELj32EllDF16_DF16_ffEEvbbT2_NS_24const_host_device_scalarIT6_EEPKT1_S7_PKS1_PKT3_PKT4_PT5_21rocsparse_index_base_b
    .private_segment_fixed_size: 0
    .sgpr_count:     34
    .sgpr_spill_count: 0
    .symbol:         _ZN9rocsparseL21csrmvt_general_kernelILj256ELj32EllDF16_DF16_ffEEvbbT2_NS_24const_host_device_scalarIT6_EEPKT1_S7_PKS1_PKT3_PKT4_PT5_21rocsparse_index_base_b.kd
    .uniform_work_group_size: 1
    .uses_dynamic_stack: false
    .vgpr_count:     21
    .vgpr_spill_count: 0
    .wavefront_size: 64
  - .agpr_count:     0
    .args:
      - .offset:         0
        .size:           1
        .value_kind:     by_value
      - .offset:         1
        .size:           1
        .value_kind:     by_value
      - .offset:         8
        .size:           8
        .value_kind:     by_value
      - .offset:         16
        .size:           8
        .value_kind:     by_value
      - .address_space:  global
        .offset:         24
        .size:           8
        .value_kind:     global_buffer
      - .address_space:  global
        .offset:         32
        .size:           8
        .value_kind:     global_buffer
      - .actual_access:  read_only
        .address_space:  global
        .offset:         40
        .size:           8
        .value_kind:     global_buffer
      - .actual_access:  read_only
        .address_space:  global
        .offset:         48
        .size:           8
        .value_kind:     global_buffer
      - .actual_access:  read_only
        .address_space:  global
        .offset:         56
        .size:           8
        .value_kind:     global_buffer
      - .address_space:  global
        .offset:         64
        .size:           8
        .value_kind:     global_buffer
      - .offset:         72
        .size:           4
        .value_kind:     by_value
      - .offset:         76
        .size:           1
        .value_kind:     by_value
      - .offset:         80
        .size:           4
        .value_kind:     hidden_block_count_x
      - .offset:         84
        .size:           4
        .value_kind:     hidden_block_count_y
      - .offset:         88
        .size:           4
        .value_kind:     hidden_block_count_z
      - .offset:         92
        .size:           2
        .value_kind:     hidden_group_size_x
      - .offset:         94
        .size:           2
        .value_kind:     hidden_group_size_y
      - .offset:         96
        .size:           2
        .value_kind:     hidden_group_size_z
      - .offset:         98
        .size:           2
        .value_kind:     hidden_remainder_x
      - .offset:         100
        .size:           2
        .value_kind:     hidden_remainder_y
      - .offset:         102
        .size:           2
        .value_kind:     hidden_remainder_z
      - .offset:         120
        .size:           8
        .value_kind:     hidden_global_offset_x
      - .offset:         128
        .size:           8
        .value_kind:     hidden_global_offset_y
      - .offset:         136
        .size:           8
        .value_kind:     hidden_global_offset_z
      - .offset:         144
        .size:           2
        .value_kind:     hidden_grid_dims
    .group_segment_fixed_size: 0
    .kernarg_segment_align: 8
    .kernarg_segment_size: 336
    .language:       OpenCL C
    .language_version:
      - 2
      - 0
    .max_flat_workgroup_size: 256
    .name:           _ZN9rocsparseL21csrmvt_general_kernelILj256ELj64EllDF16_DF16_ffEEvbbT2_NS_24const_host_device_scalarIT6_EEPKT1_S7_PKS1_PKT3_PKT4_PT5_21rocsparse_index_base_b
    .private_segment_fixed_size: 0
    .sgpr_count:     34
    .sgpr_spill_count: 0
    .symbol:         _ZN9rocsparseL21csrmvt_general_kernelILj256ELj64EllDF16_DF16_ffEEvbbT2_NS_24const_host_device_scalarIT6_EEPKT1_S7_PKS1_PKT3_PKT4_PT5_21rocsparse_index_base_b.kd
    .uniform_work_group_size: 1
    .uses_dynamic_stack: false
    .vgpr_count:     21
    .vgpr_spill_count: 0
    .wavefront_size: 64
  - .agpr_count:     0
    .args:
      - .offset:         0
        .size:           1
        .value_kind:     by_value
      - .offset:         4
        .size:           4
        .value_kind:     by_value
      - .offset:         8
        .size:           8
        .value_kind:     by_value
      - .address_space:  global
        .offset:         16
        .size:           8
        .value_kind:     global_buffer
      - .address_space:  global
        .offset:         24
        .size:           8
        .value_kind:     global_buffer
      - .actual_access:  read_only
        .address_space:  global
        .offset:         32
        .size:           8
        .value_kind:     global_buffer
      - .actual_access:  read_only
        .address_space:  global
        .offset:         40
        .size:           8
        .value_kind:     global_buffer
      - .actual_access:  read_only
        .address_space:  global
        .offset:         48
        .size:           8
        .value_kind:     global_buffer
      - .offset:         56
        .size:           8
        .value_kind:     by_value
      - .address_space:  global
        .offset:         64
        .size:           8
        .value_kind:     global_buffer
      - .offset:         72
        .size:           4
        .value_kind:     by_value
      - .offset:         76
        .size:           1
        .value_kind:     by_value
      - .offset:         80
        .size:           4
        .value_kind:     hidden_block_count_x
      - .offset:         84
        .size:           4
        .value_kind:     hidden_block_count_y
      - .offset:         88
        .size:           4
        .value_kind:     hidden_block_count_z
      - .offset:         92
        .size:           2
        .value_kind:     hidden_group_size_x
      - .offset:         94
        .size:           2
        .value_kind:     hidden_group_size_y
      - .offset:         96
        .size:           2
        .value_kind:     hidden_group_size_z
      - .offset:         98
        .size:           2
        .value_kind:     hidden_remainder_x
      - .offset:         100
        .size:           2
        .value_kind:     hidden_remainder_y
      - .offset:         102
        .size:           2
        .value_kind:     hidden_remainder_z
      - .offset:         120
        .size:           8
        .value_kind:     hidden_global_offset_x
      - .offset:         128
        .size:           8
        .value_kind:     hidden_global_offset_y
      - .offset:         136
        .size:           8
        .value_kind:     hidden_global_offset_z
      - .offset:         144
        .size:           2
        .value_kind:     hidden_grid_dims
    .group_segment_fixed_size: 0
    .kernarg_segment_align: 8
    .kernarg_segment_size: 336
    .language:       OpenCL C
    .language_version:
      - 2
      - 0
    .max_flat_workgroup_size: 256
    .name:           _ZN9rocsparseL21csrmvn_general_kernelILj256ELj2Eii18rocsparse_bfloat16S1_ffEEvbT2_NS_24const_host_device_scalarIT6_EEPKT1_S8_PKS2_PKT3_PKT4_S5_PT5_21rocsparse_index_base_b
    .private_segment_fixed_size: 0
    .sgpr_count:     31
    .sgpr_spill_count: 0
    .symbol:         _ZN9rocsparseL21csrmvn_general_kernelILj256ELj2Eii18rocsparse_bfloat16S1_ffEEvbT2_NS_24const_host_device_scalarIT6_EEPKT1_S8_PKS2_PKT3_PKT4_S5_PT5_21rocsparse_index_base_b.kd
    .uniform_work_group_size: 1
    .uses_dynamic_stack: false
    .vgpr_count:     15
    .vgpr_spill_count: 0
    .wavefront_size: 64
  - .agpr_count:     0
    .args:
      - .offset:         0
        .size:           1
        .value_kind:     by_value
      - .offset:         4
        .size:           4
        .value_kind:     by_value
      - .offset:         8
        .size:           8
        .value_kind:     by_value
      - .address_space:  global
        .offset:         16
        .size:           8
        .value_kind:     global_buffer
      - .address_space:  global
        .offset:         24
        .size:           8
        .value_kind:     global_buffer
      - .actual_access:  read_only
        .address_space:  global
        .offset:         32
        .size:           8
        .value_kind:     global_buffer
      - .actual_access:  read_only
        .address_space:  global
        .offset:         40
        .size:           8
        .value_kind:     global_buffer
      - .actual_access:  read_only
        .address_space:  global
        .offset:         48
        .size:           8
        .value_kind:     global_buffer
      - .offset:         56
        .size:           8
        .value_kind:     by_value
      - .address_space:  global
        .offset:         64
        .size:           8
        .value_kind:     global_buffer
      - .offset:         72
        .size:           4
        .value_kind:     by_value
      - .offset:         76
        .size:           1
        .value_kind:     by_value
      - .offset:         80
        .size:           4
        .value_kind:     hidden_block_count_x
      - .offset:         84
        .size:           4
        .value_kind:     hidden_block_count_y
      - .offset:         88
        .size:           4
        .value_kind:     hidden_block_count_z
      - .offset:         92
        .size:           2
        .value_kind:     hidden_group_size_x
      - .offset:         94
        .size:           2
        .value_kind:     hidden_group_size_y
      - .offset:         96
        .size:           2
        .value_kind:     hidden_group_size_z
      - .offset:         98
        .size:           2
        .value_kind:     hidden_remainder_x
      - .offset:         100
        .size:           2
        .value_kind:     hidden_remainder_y
      - .offset:         102
        .size:           2
        .value_kind:     hidden_remainder_z
      - .offset:         120
        .size:           8
        .value_kind:     hidden_global_offset_x
      - .offset:         128
        .size:           8
        .value_kind:     hidden_global_offset_y
      - .offset:         136
        .size:           8
        .value_kind:     hidden_global_offset_z
      - .offset:         144
        .size:           2
        .value_kind:     hidden_grid_dims
    .group_segment_fixed_size: 0
    .kernarg_segment_align: 8
    .kernarg_segment_size: 336
    .language:       OpenCL C
    .language_version:
      - 2
      - 0
    .max_flat_workgroup_size: 256
    .name:           _ZN9rocsparseL21csrmvn_general_kernelILj256ELj4Eii18rocsparse_bfloat16S1_ffEEvbT2_NS_24const_host_device_scalarIT6_EEPKT1_S8_PKS2_PKT3_PKT4_S5_PT5_21rocsparse_index_base_b
    .private_segment_fixed_size: 0
    .sgpr_count:     31
    .sgpr_spill_count: 0
    .symbol:         _ZN9rocsparseL21csrmvn_general_kernelILj256ELj4Eii18rocsparse_bfloat16S1_ffEEvbT2_NS_24const_host_device_scalarIT6_EEPKT1_S8_PKS2_PKT3_PKT4_S5_PT5_21rocsparse_index_base_b.kd
    .uniform_work_group_size: 1
    .uses_dynamic_stack: false
    .vgpr_count:     15
    .vgpr_spill_count: 0
    .wavefront_size: 64
  - .agpr_count:     0
    .args:
      - .offset:         0
        .size:           1
        .value_kind:     by_value
      - .offset:         4
        .size:           4
        .value_kind:     by_value
      - .offset:         8
        .size:           8
        .value_kind:     by_value
      - .address_space:  global
        .offset:         16
        .size:           8
        .value_kind:     global_buffer
      - .address_space:  global
        .offset:         24
        .size:           8
        .value_kind:     global_buffer
      - .actual_access:  read_only
        .address_space:  global
        .offset:         32
        .size:           8
        .value_kind:     global_buffer
      - .actual_access:  read_only
        .address_space:  global
        .offset:         40
        .size:           8
        .value_kind:     global_buffer
      - .actual_access:  read_only
        .address_space:  global
        .offset:         48
        .size:           8
        .value_kind:     global_buffer
      - .offset:         56
        .size:           8
        .value_kind:     by_value
      - .address_space:  global
        .offset:         64
        .size:           8
        .value_kind:     global_buffer
      - .offset:         72
        .size:           4
        .value_kind:     by_value
      - .offset:         76
        .size:           1
        .value_kind:     by_value
      - .offset:         80
        .size:           4
        .value_kind:     hidden_block_count_x
      - .offset:         84
        .size:           4
        .value_kind:     hidden_block_count_y
      - .offset:         88
        .size:           4
        .value_kind:     hidden_block_count_z
      - .offset:         92
        .size:           2
        .value_kind:     hidden_group_size_x
      - .offset:         94
        .size:           2
        .value_kind:     hidden_group_size_y
      - .offset:         96
        .size:           2
        .value_kind:     hidden_group_size_z
      - .offset:         98
        .size:           2
        .value_kind:     hidden_remainder_x
      - .offset:         100
        .size:           2
        .value_kind:     hidden_remainder_y
      - .offset:         102
        .size:           2
        .value_kind:     hidden_remainder_z
      - .offset:         120
        .size:           8
        .value_kind:     hidden_global_offset_x
      - .offset:         128
        .size:           8
        .value_kind:     hidden_global_offset_y
      - .offset:         136
        .size:           8
        .value_kind:     hidden_global_offset_z
      - .offset:         144
        .size:           2
        .value_kind:     hidden_grid_dims
    .group_segment_fixed_size: 0
    .kernarg_segment_align: 8
    .kernarg_segment_size: 336
    .language:       OpenCL C
    .language_version:
      - 2
      - 0
    .max_flat_workgroup_size: 256
    .name:           _ZN9rocsparseL21csrmvn_general_kernelILj256ELj8Eii18rocsparse_bfloat16S1_ffEEvbT2_NS_24const_host_device_scalarIT6_EEPKT1_S8_PKS2_PKT3_PKT4_S5_PT5_21rocsparse_index_base_b
    .private_segment_fixed_size: 0
    .sgpr_count:     31
    .sgpr_spill_count: 0
    .symbol:         _ZN9rocsparseL21csrmvn_general_kernelILj256ELj8Eii18rocsparse_bfloat16S1_ffEEvbT2_NS_24const_host_device_scalarIT6_EEPKT1_S8_PKS2_PKT3_PKT4_S5_PT5_21rocsparse_index_base_b.kd
    .uniform_work_group_size: 1
    .uses_dynamic_stack: false
    .vgpr_count:     15
    .vgpr_spill_count: 0
    .wavefront_size: 64
  - .agpr_count:     0
    .args:
      - .offset:         0
        .size:           1
        .value_kind:     by_value
      - .offset:         4
        .size:           4
        .value_kind:     by_value
      - .offset:         8
        .size:           8
        .value_kind:     by_value
      - .address_space:  global
        .offset:         16
        .size:           8
        .value_kind:     global_buffer
      - .address_space:  global
        .offset:         24
        .size:           8
        .value_kind:     global_buffer
      - .actual_access:  read_only
        .address_space:  global
        .offset:         32
        .size:           8
        .value_kind:     global_buffer
      - .actual_access:  read_only
        .address_space:  global
        .offset:         40
        .size:           8
        .value_kind:     global_buffer
      - .actual_access:  read_only
        .address_space:  global
        .offset:         48
        .size:           8
        .value_kind:     global_buffer
      - .offset:         56
        .size:           8
        .value_kind:     by_value
      - .address_space:  global
        .offset:         64
        .size:           8
        .value_kind:     global_buffer
      - .offset:         72
        .size:           4
        .value_kind:     by_value
      - .offset:         76
        .size:           1
        .value_kind:     by_value
      - .offset:         80
        .size:           4
        .value_kind:     hidden_block_count_x
      - .offset:         84
        .size:           4
        .value_kind:     hidden_block_count_y
      - .offset:         88
        .size:           4
        .value_kind:     hidden_block_count_z
      - .offset:         92
        .size:           2
        .value_kind:     hidden_group_size_x
      - .offset:         94
        .size:           2
        .value_kind:     hidden_group_size_y
      - .offset:         96
        .size:           2
        .value_kind:     hidden_group_size_z
      - .offset:         98
        .size:           2
        .value_kind:     hidden_remainder_x
      - .offset:         100
        .size:           2
        .value_kind:     hidden_remainder_y
      - .offset:         102
        .size:           2
        .value_kind:     hidden_remainder_z
      - .offset:         120
        .size:           8
        .value_kind:     hidden_global_offset_x
      - .offset:         128
        .size:           8
        .value_kind:     hidden_global_offset_y
      - .offset:         136
        .size:           8
        .value_kind:     hidden_global_offset_z
      - .offset:         144
        .size:           2
        .value_kind:     hidden_grid_dims
    .group_segment_fixed_size: 0
    .kernarg_segment_align: 8
    .kernarg_segment_size: 336
    .language:       OpenCL C
    .language_version:
      - 2
      - 0
    .max_flat_workgroup_size: 256
    .name:           _ZN9rocsparseL21csrmvn_general_kernelILj256ELj16Eii18rocsparse_bfloat16S1_ffEEvbT2_NS_24const_host_device_scalarIT6_EEPKT1_S8_PKS2_PKT3_PKT4_S5_PT5_21rocsparse_index_base_b
    .private_segment_fixed_size: 0
    .sgpr_count:     31
    .sgpr_spill_count: 0
    .symbol:         _ZN9rocsparseL21csrmvn_general_kernelILj256ELj16Eii18rocsparse_bfloat16S1_ffEEvbT2_NS_24const_host_device_scalarIT6_EEPKT1_S8_PKS2_PKT3_PKT4_S5_PT5_21rocsparse_index_base_b.kd
    .uniform_work_group_size: 1
    .uses_dynamic_stack: false
    .vgpr_count:     15
    .vgpr_spill_count: 0
    .wavefront_size: 64
  - .agpr_count:     0
    .args:
      - .offset:         0
        .size:           1
        .value_kind:     by_value
      - .offset:         4
        .size:           4
        .value_kind:     by_value
      - .offset:         8
        .size:           8
        .value_kind:     by_value
      - .address_space:  global
        .offset:         16
        .size:           8
        .value_kind:     global_buffer
      - .address_space:  global
        .offset:         24
        .size:           8
        .value_kind:     global_buffer
      - .actual_access:  read_only
        .address_space:  global
        .offset:         32
        .size:           8
        .value_kind:     global_buffer
      - .actual_access:  read_only
        .address_space:  global
        .offset:         40
        .size:           8
        .value_kind:     global_buffer
      - .actual_access:  read_only
        .address_space:  global
        .offset:         48
        .size:           8
        .value_kind:     global_buffer
      - .offset:         56
        .size:           8
        .value_kind:     by_value
      - .address_space:  global
        .offset:         64
        .size:           8
        .value_kind:     global_buffer
      - .offset:         72
        .size:           4
        .value_kind:     by_value
      - .offset:         76
        .size:           1
        .value_kind:     by_value
      - .offset:         80
        .size:           4
        .value_kind:     hidden_block_count_x
      - .offset:         84
        .size:           4
        .value_kind:     hidden_block_count_y
      - .offset:         88
        .size:           4
        .value_kind:     hidden_block_count_z
      - .offset:         92
        .size:           2
        .value_kind:     hidden_group_size_x
      - .offset:         94
        .size:           2
        .value_kind:     hidden_group_size_y
      - .offset:         96
        .size:           2
        .value_kind:     hidden_group_size_z
      - .offset:         98
        .size:           2
        .value_kind:     hidden_remainder_x
      - .offset:         100
        .size:           2
        .value_kind:     hidden_remainder_y
      - .offset:         102
        .size:           2
        .value_kind:     hidden_remainder_z
      - .offset:         120
        .size:           8
        .value_kind:     hidden_global_offset_x
      - .offset:         128
        .size:           8
        .value_kind:     hidden_global_offset_y
      - .offset:         136
        .size:           8
        .value_kind:     hidden_global_offset_z
      - .offset:         144
        .size:           2
        .value_kind:     hidden_grid_dims
    .group_segment_fixed_size: 0
    .kernarg_segment_align: 8
    .kernarg_segment_size: 336
    .language:       OpenCL C
    .language_version:
      - 2
      - 0
    .max_flat_workgroup_size: 256
    .name:           _ZN9rocsparseL21csrmvn_general_kernelILj256ELj32Eii18rocsparse_bfloat16S1_ffEEvbT2_NS_24const_host_device_scalarIT6_EEPKT1_S8_PKS2_PKT3_PKT4_S5_PT5_21rocsparse_index_base_b
    .private_segment_fixed_size: 0
    .sgpr_count:     31
    .sgpr_spill_count: 0
    .symbol:         _ZN9rocsparseL21csrmvn_general_kernelILj256ELj32Eii18rocsparse_bfloat16S1_ffEEvbT2_NS_24const_host_device_scalarIT6_EEPKT1_S8_PKS2_PKT3_PKT4_S5_PT5_21rocsparse_index_base_b.kd
    .uniform_work_group_size: 1
    .uses_dynamic_stack: false
    .vgpr_count:     15
    .vgpr_spill_count: 0
    .wavefront_size: 64
  - .agpr_count:     0
    .args:
      - .offset:         0
        .size:           1
        .value_kind:     by_value
      - .offset:         4
        .size:           4
        .value_kind:     by_value
      - .offset:         8
        .size:           8
        .value_kind:     by_value
      - .address_space:  global
        .offset:         16
        .size:           8
        .value_kind:     global_buffer
      - .address_space:  global
        .offset:         24
        .size:           8
        .value_kind:     global_buffer
      - .actual_access:  read_only
        .address_space:  global
        .offset:         32
        .size:           8
        .value_kind:     global_buffer
      - .actual_access:  read_only
        .address_space:  global
        .offset:         40
        .size:           8
        .value_kind:     global_buffer
      - .actual_access:  read_only
        .address_space:  global
        .offset:         48
        .size:           8
        .value_kind:     global_buffer
      - .offset:         56
        .size:           8
        .value_kind:     by_value
      - .address_space:  global
        .offset:         64
        .size:           8
        .value_kind:     global_buffer
      - .offset:         72
        .size:           4
        .value_kind:     by_value
      - .offset:         76
        .size:           1
        .value_kind:     by_value
      - .offset:         80
        .size:           4
        .value_kind:     hidden_block_count_x
      - .offset:         84
        .size:           4
        .value_kind:     hidden_block_count_y
      - .offset:         88
        .size:           4
        .value_kind:     hidden_block_count_z
      - .offset:         92
        .size:           2
        .value_kind:     hidden_group_size_x
      - .offset:         94
        .size:           2
        .value_kind:     hidden_group_size_y
      - .offset:         96
        .size:           2
        .value_kind:     hidden_group_size_z
      - .offset:         98
        .size:           2
        .value_kind:     hidden_remainder_x
      - .offset:         100
        .size:           2
        .value_kind:     hidden_remainder_y
      - .offset:         102
        .size:           2
        .value_kind:     hidden_remainder_z
      - .offset:         120
        .size:           8
        .value_kind:     hidden_global_offset_x
      - .offset:         128
        .size:           8
        .value_kind:     hidden_global_offset_y
      - .offset:         136
        .size:           8
        .value_kind:     hidden_global_offset_z
      - .offset:         144
        .size:           2
        .value_kind:     hidden_grid_dims
    .group_segment_fixed_size: 0
    .kernarg_segment_align: 8
    .kernarg_segment_size: 336
    .language:       OpenCL C
    .language_version:
      - 2
      - 0
    .max_flat_workgroup_size: 256
    .name:           _ZN9rocsparseL21csrmvn_general_kernelILj256ELj64Eii18rocsparse_bfloat16S1_ffEEvbT2_NS_24const_host_device_scalarIT6_EEPKT1_S8_PKS2_PKT3_PKT4_S5_PT5_21rocsparse_index_base_b
    .private_segment_fixed_size: 0
    .sgpr_count:     31
    .sgpr_spill_count: 0
    .symbol:         _ZN9rocsparseL21csrmvn_general_kernelILj256ELj64Eii18rocsparse_bfloat16S1_ffEEvbT2_NS_24const_host_device_scalarIT6_EEPKT1_S8_PKS2_PKT3_PKT4_S5_PT5_21rocsparse_index_base_b.kd
    .uniform_work_group_size: 1
    .uses_dynamic_stack: false
    .vgpr_count:     15
    .vgpr_spill_count: 0
    .wavefront_size: 64
  - .agpr_count:     0
    .args:
      - .offset:         0
        .size:           1
        .value_kind:     by_value
      - .offset:         1
        .size:           1
        .value_kind:     by_value
      - .offset:         4
        .size:           4
        .value_kind:     by_value
      - .offset:         8
        .size:           8
        .value_kind:     by_value
      - .address_space:  global
        .offset:         16
        .size:           8
        .value_kind:     global_buffer
      - .address_space:  global
        .offset:         24
        .size:           8
        .value_kind:     global_buffer
      - .actual_access:  read_only
        .address_space:  global
        .offset:         32
        .size:           8
        .value_kind:     global_buffer
      - .actual_access:  read_only
        .address_space:  global
        .offset:         40
        .size:           8
        .value_kind:     global_buffer
      - .actual_access:  read_only
        .address_space:  global
        .offset:         48
        .size:           8
        .value_kind:     global_buffer
      - .address_space:  global
        .offset:         56
        .size:           8
        .value_kind:     global_buffer
      - .offset:         64
        .size:           4
        .value_kind:     by_value
      - .offset:         68
        .size:           1
        .value_kind:     by_value
      - .offset:         72
        .size:           4
        .value_kind:     hidden_block_count_x
      - .offset:         76
        .size:           4
        .value_kind:     hidden_block_count_y
      - .offset:         80
        .size:           4
        .value_kind:     hidden_block_count_z
      - .offset:         84
        .size:           2
        .value_kind:     hidden_group_size_x
      - .offset:         86
        .size:           2
        .value_kind:     hidden_group_size_y
      - .offset:         88
        .size:           2
        .value_kind:     hidden_group_size_z
      - .offset:         90
        .size:           2
        .value_kind:     hidden_remainder_x
      - .offset:         92
        .size:           2
        .value_kind:     hidden_remainder_y
      - .offset:         94
        .size:           2
        .value_kind:     hidden_remainder_z
      - .offset:         112
        .size:           8
        .value_kind:     hidden_global_offset_x
      - .offset:         120
        .size:           8
        .value_kind:     hidden_global_offset_y
      - .offset:         128
        .size:           8
        .value_kind:     hidden_global_offset_z
      - .offset:         136
        .size:           2
        .value_kind:     hidden_grid_dims
    .group_segment_fixed_size: 0
    .kernarg_segment_align: 8
    .kernarg_segment_size: 328
    .language:       OpenCL C
    .language_version:
      - 2
      - 0
    .max_flat_workgroup_size: 256
    .name:           _ZN9rocsparseL21csrmvt_general_kernelILj256ELj4Eii18rocsparse_bfloat16S1_ffEEvbbT2_NS_24const_host_device_scalarIT6_EEPKT1_S8_PKS2_PKT3_PKT4_PT5_21rocsparse_index_base_b
    .private_segment_fixed_size: 0
    .sgpr_count:     34
    .sgpr_spill_count: 0
    .symbol:         _ZN9rocsparseL21csrmvt_general_kernelILj256ELj4Eii18rocsparse_bfloat16S1_ffEEvbbT2_NS_24const_host_device_scalarIT6_EEPKT1_S8_PKS2_PKT3_PKT4_PT5_21rocsparse_index_base_b.kd
    .uniform_work_group_size: 1
    .uses_dynamic_stack: false
    .vgpr_count:     15
    .vgpr_spill_count: 0
    .wavefront_size: 64
  - .agpr_count:     0
    .args:
      - .offset:         0
        .size:           1
        .value_kind:     by_value
      - .offset:         1
        .size:           1
        .value_kind:     by_value
      - .offset:         4
        .size:           4
        .value_kind:     by_value
      - .offset:         8
        .size:           8
        .value_kind:     by_value
      - .address_space:  global
        .offset:         16
        .size:           8
        .value_kind:     global_buffer
      - .address_space:  global
        .offset:         24
        .size:           8
        .value_kind:     global_buffer
      - .actual_access:  read_only
        .address_space:  global
        .offset:         32
        .size:           8
        .value_kind:     global_buffer
      - .actual_access:  read_only
        .address_space:  global
        .offset:         40
        .size:           8
        .value_kind:     global_buffer
      - .actual_access:  read_only
        .address_space:  global
        .offset:         48
        .size:           8
        .value_kind:     global_buffer
      - .address_space:  global
        .offset:         56
        .size:           8
        .value_kind:     global_buffer
      - .offset:         64
        .size:           4
        .value_kind:     by_value
      - .offset:         68
        .size:           1
        .value_kind:     by_value
      - .offset:         72
        .size:           4
        .value_kind:     hidden_block_count_x
      - .offset:         76
        .size:           4
        .value_kind:     hidden_block_count_y
      - .offset:         80
        .size:           4
        .value_kind:     hidden_block_count_z
      - .offset:         84
        .size:           2
        .value_kind:     hidden_group_size_x
      - .offset:         86
        .size:           2
        .value_kind:     hidden_group_size_y
      - .offset:         88
        .size:           2
        .value_kind:     hidden_group_size_z
      - .offset:         90
        .size:           2
        .value_kind:     hidden_remainder_x
      - .offset:         92
        .size:           2
        .value_kind:     hidden_remainder_y
      - .offset:         94
        .size:           2
        .value_kind:     hidden_remainder_z
      - .offset:         112
        .size:           8
        .value_kind:     hidden_global_offset_x
      - .offset:         120
        .size:           8
        .value_kind:     hidden_global_offset_y
      - .offset:         128
        .size:           8
        .value_kind:     hidden_global_offset_z
      - .offset:         136
        .size:           2
        .value_kind:     hidden_grid_dims
    .group_segment_fixed_size: 0
    .kernarg_segment_align: 8
    .kernarg_segment_size: 328
    .language:       OpenCL C
    .language_version:
      - 2
      - 0
    .max_flat_workgroup_size: 256
    .name:           _ZN9rocsparseL21csrmvt_general_kernelILj256ELj8Eii18rocsparse_bfloat16S1_ffEEvbbT2_NS_24const_host_device_scalarIT6_EEPKT1_S8_PKS2_PKT3_PKT4_PT5_21rocsparse_index_base_b
    .private_segment_fixed_size: 0
    .sgpr_count:     34
    .sgpr_spill_count: 0
    .symbol:         _ZN9rocsparseL21csrmvt_general_kernelILj256ELj8Eii18rocsparse_bfloat16S1_ffEEvbbT2_NS_24const_host_device_scalarIT6_EEPKT1_S8_PKS2_PKT3_PKT4_PT5_21rocsparse_index_base_b.kd
    .uniform_work_group_size: 1
    .uses_dynamic_stack: false
    .vgpr_count:     15
    .vgpr_spill_count: 0
    .wavefront_size: 64
  - .agpr_count:     0
    .args:
      - .offset:         0
        .size:           1
        .value_kind:     by_value
      - .offset:         1
        .size:           1
        .value_kind:     by_value
      - .offset:         4
        .size:           4
        .value_kind:     by_value
      - .offset:         8
        .size:           8
        .value_kind:     by_value
      - .address_space:  global
        .offset:         16
        .size:           8
        .value_kind:     global_buffer
      - .address_space:  global
        .offset:         24
        .size:           8
        .value_kind:     global_buffer
      - .actual_access:  read_only
        .address_space:  global
        .offset:         32
        .size:           8
        .value_kind:     global_buffer
      - .actual_access:  read_only
        .address_space:  global
        .offset:         40
        .size:           8
        .value_kind:     global_buffer
      - .actual_access:  read_only
        .address_space:  global
        .offset:         48
        .size:           8
        .value_kind:     global_buffer
      - .address_space:  global
        .offset:         56
        .size:           8
        .value_kind:     global_buffer
      - .offset:         64
        .size:           4
        .value_kind:     by_value
      - .offset:         68
        .size:           1
        .value_kind:     by_value
      - .offset:         72
        .size:           4
        .value_kind:     hidden_block_count_x
      - .offset:         76
        .size:           4
        .value_kind:     hidden_block_count_y
      - .offset:         80
        .size:           4
        .value_kind:     hidden_block_count_z
      - .offset:         84
        .size:           2
        .value_kind:     hidden_group_size_x
      - .offset:         86
        .size:           2
        .value_kind:     hidden_group_size_y
      - .offset:         88
        .size:           2
        .value_kind:     hidden_group_size_z
      - .offset:         90
        .size:           2
        .value_kind:     hidden_remainder_x
      - .offset:         92
        .size:           2
        .value_kind:     hidden_remainder_y
      - .offset:         94
        .size:           2
        .value_kind:     hidden_remainder_z
      - .offset:         112
        .size:           8
        .value_kind:     hidden_global_offset_x
      - .offset:         120
        .size:           8
        .value_kind:     hidden_global_offset_y
      - .offset:         128
        .size:           8
        .value_kind:     hidden_global_offset_z
      - .offset:         136
        .size:           2
        .value_kind:     hidden_grid_dims
    .group_segment_fixed_size: 0
    .kernarg_segment_align: 8
    .kernarg_segment_size: 328
    .language:       OpenCL C
    .language_version:
      - 2
      - 0
    .max_flat_workgroup_size: 256
    .name:           _ZN9rocsparseL21csrmvt_general_kernelILj256ELj16Eii18rocsparse_bfloat16S1_ffEEvbbT2_NS_24const_host_device_scalarIT6_EEPKT1_S8_PKS2_PKT3_PKT4_PT5_21rocsparse_index_base_b
    .private_segment_fixed_size: 0
    .sgpr_count:     34
    .sgpr_spill_count: 0
    .symbol:         _ZN9rocsparseL21csrmvt_general_kernelILj256ELj16Eii18rocsparse_bfloat16S1_ffEEvbbT2_NS_24const_host_device_scalarIT6_EEPKT1_S8_PKS2_PKT3_PKT4_PT5_21rocsparse_index_base_b.kd
    .uniform_work_group_size: 1
    .uses_dynamic_stack: false
    .vgpr_count:     15
    .vgpr_spill_count: 0
    .wavefront_size: 64
  - .agpr_count:     0
    .args:
      - .offset:         0
        .size:           1
        .value_kind:     by_value
      - .offset:         1
        .size:           1
        .value_kind:     by_value
      - .offset:         4
        .size:           4
        .value_kind:     by_value
      - .offset:         8
        .size:           8
        .value_kind:     by_value
      - .address_space:  global
        .offset:         16
        .size:           8
        .value_kind:     global_buffer
      - .address_space:  global
        .offset:         24
        .size:           8
        .value_kind:     global_buffer
      - .actual_access:  read_only
        .address_space:  global
        .offset:         32
        .size:           8
        .value_kind:     global_buffer
      - .actual_access:  read_only
        .address_space:  global
        .offset:         40
        .size:           8
        .value_kind:     global_buffer
      - .actual_access:  read_only
        .address_space:  global
        .offset:         48
        .size:           8
        .value_kind:     global_buffer
      - .address_space:  global
        .offset:         56
        .size:           8
        .value_kind:     global_buffer
      - .offset:         64
        .size:           4
        .value_kind:     by_value
      - .offset:         68
        .size:           1
        .value_kind:     by_value
      - .offset:         72
        .size:           4
        .value_kind:     hidden_block_count_x
      - .offset:         76
        .size:           4
        .value_kind:     hidden_block_count_y
      - .offset:         80
        .size:           4
        .value_kind:     hidden_block_count_z
      - .offset:         84
        .size:           2
        .value_kind:     hidden_group_size_x
      - .offset:         86
        .size:           2
        .value_kind:     hidden_group_size_y
      - .offset:         88
        .size:           2
        .value_kind:     hidden_group_size_z
      - .offset:         90
        .size:           2
        .value_kind:     hidden_remainder_x
      - .offset:         92
        .size:           2
        .value_kind:     hidden_remainder_y
      - .offset:         94
        .size:           2
        .value_kind:     hidden_remainder_z
      - .offset:         112
        .size:           8
        .value_kind:     hidden_global_offset_x
      - .offset:         120
        .size:           8
        .value_kind:     hidden_global_offset_y
      - .offset:         128
        .size:           8
        .value_kind:     hidden_global_offset_z
      - .offset:         136
        .size:           2
        .value_kind:     hidden_grid_dims
    .group_segment_fixed_size: 0
    .kernarg_segment_align: 8
    .kernarg_segment_size: 328
    .language:       OpenCL C
    .language_version:
      - 2
      - 0
    .max_flat_workgroup_size: 256
    .name:           _ZN9rocsparseL21csrmvt_general_kernelILj256ELj32Eii18rocsparse_bfloat16S1_ffEEvbbT2_NS_24const_host_device_scalarIT6_EEPKT1_S8_PKS2_PKT3_PKT4_PT5_21rocsparse_index_base_b
    .private_segment_fixed_size: 0
    .sgpr_count:     34
    .sgpr_spill_count: 0
    .symbol:         _ZN9rocsparseL21csrmvt_general_kernelILj256ELj32Eii18rocsparse_bfloat16S1_ffEEvbbT2_NS_24const_host_device_scalarIT6_EEPKT1_S8_PKS2_PKT3_PKT4_PT5_21rocsparse_index_base_b.kd
    .uniform_work_group_size: 1
    .uses_dynamic_stack: false
    .vgpr_count:     15
    .vgpr_spill_count: 0
    .wavefront_size: 64
  - .agpr_count:     0
    .args:
      - .offset:         0
        .size:           1
        .value_kind:     by_value
      - .offset:         1
        .size:           1
        .value_kind:     by_value
      - .offset:         4
        .size:           4
        .value_kind:     by_value
      - .offset:         8
        .size:           8
        .value_kind:     by_value
      - .address_space:  global
        .offset:         16
        .size:           8
        .value_kind:     global_buffer
      - .address_space:  global
        .offset:         24
        .size:           8
        .value_kind:     global_buffer
      - .actual_access:  read_only
        .address_space:  global
        .offset:         32
        .size:           8
        .value_kind:     global_buffer
      - .actual_access:  read_only
        .address_space:  global
        .offset:         40
        .size:           8
        .value_kind:     global_buffer
      - .actual_access:  read_only
        .address_space:  global
        .offset:         48
        .size:           8
        .value_kind:     global_buffer
      - .address_space:  global
        .offset:         56
        .size:           8
        .value_kind:     global_buffer
      - .offset:         64
        .size:           4
        .value_kind:     by_value
      - .offset:         68
        .size:           1
        .value_kind:     by_value
      - .offset:         72
        .size:           4
        .value_kind:     hidden_block_count_x
      - .offset:         76
        .size:           4
        .value_kind:     hidden_block_count_y
      - .offset:         80
        .size:           4
        .value_kind:     hidden_block_count_z
      - .offset:         84
        .size:           2
        .value_kind:     hidden_group_size_x
      - .offset:         86
        .size:           2
        .value_kind:     hidden_group_size_y
      - .offset:         88
        .size:           2
        .value_kind:     hidden_group_size_z
      - .offset:         90
        .size:           2
        .value_kind:     hidden_remainder_x
      - .offset:         92
        .size:           2
        .value_kind:     hidden_remainder_y
      - .offset:         94
        .size:           2
        .value_kind:     hidden_remainder_z
      - .offset:         112
        .size:           8
        .value_kind:     hidden_global_offset_x
      - .offset:         120
        .size:           8
        .value_kind:     hidden_global_offset_y
      - .offset:         128
        .size:           8
        .value_kind:     hidden_global_offset_z
      - .offset:         136
        .size:           2
        .value_kind:     hidden_grid_dims
    .group_segment_fixed_size: 0
    .kernarg_segment_align: 8
    .kernarg_segment_size: 328
    .language:       OpenCL C
    .language_version:
      - 2
      - 0
    .max_flat_workgroup_size: 256
    .name:           _ZN9rocsparseL21csrmvt_general_kernelILj256ELj64Eii18rocsparse_bfloat16S1_ffEEvbbT2_NS_24const_host_device_scalarIT6_EEPKT1_S8_PKS2_PKT3_PKT4_PT5_21rocsparse_index_base_b
    .private_segment_fixed_size: 0
    .sgpr_count:     34
    .sgpr_spill_count: 0
    .symbol:         _ZN9rocsparseL21csrmvt_general_kernelILj256ELj64Eii18rocsparse_bfloat16S1_ffEEvbbT2_NS_24const_host_device_scalarIT6_EEPKT1_S8_PKS2_PKT3_PKT4_PT5_21rocsparse_index_base_b.kd
    .uniform_work_group_size: 1
    .uses_dynamic_stack: false
    .vgpr_count:     15
    .vgpr_spill_count: 0
    .wavefront_size: 64
  - .agpr_count:     0
    .args:
      - .offset:         0
        .size:           1
        .value_kind:     by_value
      - .offset:         4
        .size:           4
        .value_kind:     by_value
      - .offset:         8
        .size:           8
        .value_kind:     by_value
      - .address_space:  global
        .offset:         16
        .size:           8
        .value_kind:     global_buffer
      - .address_space:  global
        .offset:         24
        .size:           8
        .value_kind:     global_buffer
      - .actual_access:  read_only
        .address_space:  global
        .offset:         32
        .size:           8
        .value_kind:     global_buffer
      - .actual_access:  read_only
        .address_space:  global
        .offset:         40
        .size:           8
        .value_kind:     global_buffer
      - .actual_access:  read_only
        .address_space:  global
        .offset:         48
        .size:           8
        .value_kind:     global_buffer
      - .offset:         56
        .size:           8
        .value_kind:     by_value
      - .address_space:  global
        .offset:         64
        .size:           8
        .value_kind:     global_buffer
      - .offset:         72
        .size:           4
        .value_kind:     by_value
      - .offset:         76
        .size:           1
        .value_kind:     by_value
      - .offset:         80
        .size:           4
        .value_kind:     hidden_block_count_x
      - .offset:         84
        .size:           4
        .value_kind:     hidden_block_count_y
      - .offset:         88
        .size:           4
        .value_kind:     hidden_block_count_z
      - .offset:         92
        .size:           2
        .value_kind:     hidden_group_size_x
      - .offset:         94
        .size:           2
        .value_kind:     hidden_group_size_y
      - .offset:         96
        .size:           2
        .value_kind:     hidden_group_size_z
      - .offset:         98
        .size:           2
        .value_kind:     hidden_remainder_x
      - .offset:         100
        .size:           2
        .value_kind:     hidden_remainder_y
      - .offset:         102
        .size:           2
        .value_kind:     hidden_remainder_z
      - .offset:         120
        .size:           8
        .value_kind:     hidden_global_offset_x
      - .offset:         128
        .size:           8
        .value_kind:     hidden_global_offset_y
      - .offset:         136
        .size:           8
        .value_kind:     hidden_global_offset_z
      - .offset:         144
        .size:           2
        .value_kind:     hidden_grid_dims
    .group_segment_fixed_size: 0
    .kernarg_segment_align: 8
    .kernarg_segment_size: 336
    .language:       OpenCL C
    .language_version:
      - 2
      - 0
    .max_flat_workgroup_size: 256
    .name:           _ZN9rocsparseL21csrmvn_general_kernelILj256ELj2Eli18rocsparse_bfloat16S1_ffEEvbT2_NS_24const_host_device_scalarIT6_EEPKT1_S8_PKS2_PKT3_PKT4_S5_PT5_21rocsparse_index_base_b
    .private_segment_fixed_size: 0
    .sgpr_count:     30
    .sgpr_spill_count: 0
    .symbol:         _ZN9rocsparseL21csrmvn_general_kernelILj256ELj2Eli18rocsparse_bfloat16S1_ffEEvbT2_NS_24const_host_device_scalarIT6_EEPKT1_S8_PKS2_PKT3_PKT4_S5_PT5_21rocsparse_index_base_b.kd
    .uniform_work_group_size: 1
    .uses_dynamic_stack: false
    .vgpr_count:     20
    .vgpr_spill_count: 0
    .wavefront_size: 64
  - .agpr_count:     0
    .args:
      - .offset:         0
        .size:           1
        .value_kind:     by_value
      - .offset:         4
        .size:           4
        .value_kind:     by_value
      - .offset:         8
        .size:           8
        .value_kind:     by_value
      - .address_space:  global
        .offset:         16
        .size:           8
        .value_kind:     global_buffer
      - .address_space:  global
        .offset:         24
        .size:           8
        .value_kind:     global_buffer
      - .actual_access:  read_only
        .address_space:  global
        .offset:         32
        .size:           8
        .value_kind:     global_buffer
      - .actual_access:  read_only
        .address_space:  global
        .offset:         40
        .size:           8
        .value_kind:     global_buffer
      - .actual_access:  read_only
        .address_space:  global
        .offset:         48
        .size:           8
        .value_kind:     global_buffer
      - .offset:         56
        .size:           8
        .value_kind:     by_value
      - .address_space:  global
        .offset:         64
        .size:           8
        .value_kind:     global_buffer
      - .offset:         72
        .size:           4
        .value_kind:     by_value
      - .offset:         76
        .size:           1
        .value_kind:     by_value
      - .offset:         80
        .size:           4
        .value_kind:     hidden_block_count_x
      - .offset:         84
        .size:           4
        .value_kind:     hidden_block_count_y
      - .offset:         88
        .size:           4
        .value_kind:     hidden_block_count_z
      - .offset:         92
        .size:           2
        .value_kind:     hidden_group_size_x
      - .offset:         94
        .size:           2
        .value_kind:     hidden_group_size_y
      - .offset:         96
        .size:           2
        .value_kind:     hidden_group_size_z
      - .offset:         98
        .size:           2
        .value_kind:     hidden_remainder_x
      - .offset:         100
        .size:           2
        .value_kind:     hidden_remainder_y
      - .offset:         102
        .size:           2
        .value_kind:     hidden_remainder_z
      - .offset:         120
        .size:           8
        .value_kind:     hidden_global_offset_x
      - .offset:         128
        .size:           8
        .value_kind:     hidden_global_offset_y
      - .offset:         136
        .size:           8
        .value_kind:     hidden_global_offset_z
      - .offset:         144
        .size:           2
        .value_kind:     hidden_grid_dims
    .group_segment_fixed_size: 0
    .kernarg_segment_align: 8
    .kernarg_segment_size: 336
    .language:       OpenCL C
    .language_version:
      - 2
      - 0
    .max_flat_workgroup_size: 256
    .name:           _ZN9rocsparseL21csrmvn_general_kernelILj256ELj4Eli18rocsparse_bfloat16S1_ffEEvbT2_NS_24const_host_device_scalarIT6_EEPKT1_S8_PKS2_PKT3_PKT4_S5_PT5_21rocsparse_index_base_b
    .private_segment_fixed_size: 0
    .sgpr_count:     30
    .sgpr_spill_count: 0
    .symbol:         _ZN9rocsparseL21csrmvn_general_kernelILj256ELj4Eli18rocsparse_bfloat16S1_ffEEvbT2_NS_24const_host_device_scalarIT6_EEPKT1_S8_PKS2_PKT3_PKT4_S5_PT5_21rocsparse_index_base_b.kd
    .uniform_work_group_size: 1
    .uses_dynamic_stack: false
    .vgpr_count:     20
    .vgpr_spill_count: 0
    .wavefront_size: 64
  - .agpr_count:     0
    .args:
      - .offset:         0
        .size:           1
        .value_kind:     by_value
      - .offset:         4
        .size:           4
        .value_kind:     by_value
      - .offset:         8
        .size:           8
        .value_kind:     by_value
      - .address_space:  global
        .offset:         16
        .size:           8
        .value_kind:     global_buffer
      - .address_space:  global
        .offset:         24
        .size:           8
        .value_kind:     global_buffer
      - .actual_access:  read_only
        .address_space:  global
        .offset:         32
        .size:           8
        .value_kind:     global_buffer
      - .actual_access:  read_only
        .address_space:  global
        .offset:         40
        .size:           8
        .value_kind:     global_buffer
      - .actual_access:  read_only
        .address_space:  global
        .offset:         48
        .size:           8
        .value_kind:     global_buffer
      - .offset:         56
        .size:           8
        .value_kind:     by_value
      - .address_space:  global
        .offset:         64
        .size:           8
        .value_kind:     global_buffer
      - .offset:         72
        .size:           4
        .value_kind:     by_value
      - .offset:         76
        .size:           1
        .value_kind:     by_value
      - .offset:         80
        .size:           4
        .value_kind:     hidden_block_count_x
      - .offset:         84
        .size:           4
        .value_kind:     hidden_block_count_y
      - .offset:         88
        .size:           4
        .value_kind:     hidden_block_count_z
      - .offset:         92
        .size:           2
        .value_kind:     hidden_group_size_x
      - .offset:         94
        .size:           2
        .value_kind:     hidden_group_size_y
      - .offset:         96
        .size:           2
        .value_kind:     hidden_group_size_z
      - .offset:         98
        .size:           2
        .value_kind:     hidden_remainder_x
      - .offset:         100
        .size:           2
        .value_kind:     hidden_remainder_y
      - .offset:         102
        .size:           2
        .value_kind:     hidden_remainder_z
      - .offset:         120
        .size:           8
        .value_kind:     hidden_global_offset_x
      - .offset:         128
        .size:           8
        .value_kind:     hidden_global_offset_y
      - .offset:         136
        .size:           8
        .value_kind:     hidden_global_offset_z
      - .offset:         144
        .size:           2
        .value_kind:     hidden_grid_dims
    .group_segment_fixed_size: 0
    .kernarg_segment_align: 8
    .kernarg_segment_size: 336
    .language:       OpenCL C
    .language_version:
      - 2
      - 0
    .max_flat_workgroup_size: 256
    .name:           _ZN9rocsparseL21csrmvn_general_kernelILj256ELj8Eli18rocsparse_bfloat16S1_ffEEvbT2_NS_24const_host_device_scalarIT6_EEPKT1_S8_PKS2_PKT3_PKT4_S5_PT5_21rocsparse_index_base_b
    .private_segment_fixed_size: 0
    .sgpr_count:     30
    .sgpr_spill_count: 0
    .symbol:         _ZN9rocsparseL21csrmvn_general_kernelILj256ELj8Eli18rocsparse_bfloat16S1_ffEEvbT2_NS_24const_host_device_scalarIT6_EEPKT1_S8_PKS2_PKT3_PKT4_S5_PT5_21rocsparse_index_base_b.kd
    .uniform_work_group_size: 1
    .uses_dynamic_stack: false
    .vgpr_count:     20
    .vgpr_spill_count: 0
    .wavefront_size: 64
  - .agpr_count:     0
    .args:
      - .offset:         0
        .size:           1
        .value_kind:     by_value
      - .offset:         4
        .size:           4
        .value_kind:     by_value
      - .offset:         8
        .size:           8
        .value_kind:     by_value
      - .address_space:  global
        .offset:         16
        .size:           8
        .value_kind:     global_buffer
      - .address_space:  global
        .offset:         24
        .size:           8
        .value_kind:     global_buffer
      - .actual_access:  read_only
        .address_space:  global
        .offset:         32
        .size:           8
        .value_kind:     global_buffer
      - .actual_access:  read_only
        .address_space:  global
        .offset:         40
        .size:           8
        .value_kind:     global_buffer
      - .actual_access:  read_only
        .address_space:  global
        .offset:         48
        .size:           8
        .value_kind:     global_buffer
      - .offset:         56
        .size:           8
        .value_kind:     by_value
      - .address_space:  global
        .offset:         64
        .size:           8
        .value_kind:     global_buffer
      - .offset:         72
        .size:           4
        .value_kind:     by_value
      - .offset:         76
        .size:           1
        .value_kind:     by_value
      - .offset:         80
        .size:           4
        .value_kind:     hidden_block_count_x
      - .offset:         84
        .size:           4
        .value_kind:     hidden_block_count_y
      - .offset:         88
        .size:           4
        .value_kind:     hidden_block_count_z
      - .offset:         92
        .size:           2
        .value_kind:     hidden_group_size_x
      - .offset:         94
        .size:           2
        .value_kind:     hidden_group_size_y
      - .offset:         96
        .size:           2
        .value_kind:     hidden_group_size_z
      - .offset:         98
        .size:           2
        .value_kind:     hidden_remainder_x
      - .offset:         100
        .size:           2
        .value_kind:     hidden_remainder_y
      - .offset:         102
        .size:           2
        .value_kind:     hidden_remainder_z
      - .offset:         120
        .size:           8
        .value_kind:     hidden_global_offset_x
      - .offset:         128
        .size:           8
        .value_kind:     hidden_global_offset_y
      - .offset:         136
        .size:           8
        .value_kind:     hidden_global_offset_z
      - .offset:         144
        .size:           2
        .value_kind:     hidden_grid_dims
    .group_segment_fixed_size: 0
    .kernarg_segment_align: 8
    .kernarg_segment_size: 336
    .language:       OpenCL C
    .language_version:
      - 2
      - 0
    .max_flat_workgroup_size: 256
    .name:           _ZN9rocsparseL21csrmvn_general_kernelILj256ELj16Eli18rocsparse_bfloat16S1_ffEEvbT2_NS_24const_host_device_scalarIT6_EEPKT1_S8_PKS2_PKT3_PKT4_S5_PT5_21rocsparse_index_base_b
    .private_segment_fixed_size: 0
    .sgpr_count:     30
    .sgpr_spill_count: 0
    .symbol:         _ZN9rocsparseL21csrmvn_general_kernelILj256ELj16Eli18rocsparse_bfloat16S1_ffEEvbT2_NS_24const_host_device_scalarIT6_EEPKT1_S8_PKS2_PKT3_PKT4_S5_PT5_21rocsparse_index_base_b.kd
    .uniform_work_group_size: 1
    .uses_dynamic_stack: false
    .vgpr_count:     20
    .vgpr_spill_count: 0
    .wavefront_size: 64
  - .agpr_count:     0
    .args:
      - .offset:         0
        .size:           1
        .value_kind:     by_value
      - .offset:         4
        .size:           4
        .value_kind:     by_value
      - .offset:         8
        .size:           8
        .value_kind:     by_value
      - .address_space:  global
        .offset:         16
        .size:           8
        .value_kind:     global_buffer
      - .address_space:  global
        .offset:         24
        .size:           8
        .value_kind:     global_buffer
      - .actual_access:  read_only
        .address_space:  global
        .offset:         32
        .size:           8
        .value_kind:     global_buffer
      - .actual_access:  read_only
        .address_space:  global
        .offset:         40
        .size:           8
        .value_kind:     global_buffer
      - .actual_access:  read_only
        .address_space:  global
        .offset:         48
        .size:           8
        .value_kind:     global_buffer
      - .offset:         56
        .size:           8
        .value_kind:     by_value
      - .address_space:  global
        .offset:         64
        .size:           8
        .value_kind:     global_buffer
      - .offset:         72
        .size:           4
        .value_kind:     by_value
      - .offset:         76
        .size:           1
        .value_kind:     by_value
      - .offset:         80
        .size:           4
        .value_kind:     hidden_block_count_x
      - .offset:         84
        .size:           4
        .value_kind:     hidden_block_count_y
      - .offset:         88
        .size:           4
        .value_kind:     hidden_block_count_z
      - .offset:         92
        .size:           2
        .value_kind:     hidden_group_size_x
      - .offset:         94
        .size:           2
        .value_kind:     hidden_group_size_y
      - .offset:         96
        .size:           2
        .value_kind:     hidden_group_size_z
      - .offset:         98
        .size:           2
        .value_kind:     hidden_remainder_x
      - .offset:         100
        .size:           2
        .value_kind:     hidden_remainder_y
      - .offset:         102
        .size:           2
        .value_kind:     hidden_remainder_z
      - .offset:         120
        .size:           8
        .value_kind:     hidden_global_offset_x
      - .offset:         128
        .size:           8
        .value_kind:     hidden_global_offset_y
      - .offset:         136
        .size:           8
        .value_kind:     hidden_global_offset_z
      - .offset:         144
        .size:           2
        .value_kind:     hidden_grid_dims
    .group_segment_fixed_size: 0
    .kernarg_segment_align: 8
    .kernarg_segment_size: 336
    .language:       OpenCL C
    .language_version:
      - 2
      - 0
    .max_flat_workgroup_size: 256
    .name:           _ZN9rocsparseL21csrmvn_general_kernelILj256ELj32Eli18rocsparse_bfloat16S1_ffEEvbT2_NS_24const_host_device_scalarIT6_EEPKT1_S8_PKS2_PKT3_PKT4_S5_PT5_21rocsparse_index_base_b
    .private_segment_fixed_size: 0
    .sgpr_count:     30
    .sgpr_spill_count: 0
    .symbol:         _ZN9rocsparseL21csrmvn_general_kernelILj256ELj32Eli18rocsparse_bfloat16S1_ffEEvbT2_NS_24const_host_device_scalarIT6_EEPKT1_S8_PKS2_PKT3_PKT4_S5_PT5_21rocsparse_index_base_b.kd
    .uniform_work_group_size: 1
    .uses_dynamic_stack: false
    .vgpr_count:     20
    .vgpr_spill_count: 0
    .wavefront_size: 64
  - .agpr_count:     0
    .args:
      - .offset:         0
        .size:           1
        .value_kind:     by_value
      - .offset:         4
        .size:           4
        .value_kind:     by_value
      - .offset:         8
        .size:           8
        .value_kind:     by_value
      - .address_space:  global
        .offset:         16
        .size:           8
        .value_kind:     global_buffer
      - .address_space:  global
        .offset:         24
        .size:           8
        .value_kind:     global_buffer
      - .actual_access:  read_only
        .address_space:  global
        .offset:         32
        .size:           8
        .value_kind:     global_buffer
      - .actual_access:  read_only
        .address_space:  global
        .offset:         40
        .size:           8
        .value_kind:     global_buffer
      - .actual_access:  read_only
        .address_space:  global
        .offset:         48
        .size:           8
        .value_kind:     global_buffer
      - .offset:         56
        .size:           8
        .value_kind:     by_value
      - .address_space:  global
        .offset:         64
        .size:           8
        .value_kind:     global_buffer
      - .offset:         72
        .size:           4
        .value_kind:     by_value
      - .offset:         76
        .size:           1
        .value_kind:     by_value
      - .offset:         80
        .size:           4
        .value_kind:     hidden_block_count_x
      - .offset:         84
        .size:           4
        .value_kind:     hidden_block_count_y
      - .offset:         88
        .size:           4
        .value_kind:     hidden_block_count_z
      - .offset:         92
        .size:           2
        .value_kind:     hidden_group_size_x
      - .offset:         94
        .size:           2
        .value_kind:     hidden_group_size_y
      - .offset:         96
        .size:           2
        .value_kind:     hidden_group_size_z
      - .offset:         98
        .size:           2
        .value_kind:     hidden_remainder_x
      - .offset:         100
        .size:           2
        .value_kind:     hidden_remainder_y
      - .offset:         102
        .size:           2
        .value_kind:     hidden_remainder_z
      - .offset:         120
        .size:           8
        .value_kind:     hidden_global_offset_x
      - .offset:         128
        .size:           8
        .value_kind:     hidden_global_offset_y
      - .offset:         136
        .size:           8
        .value_kind:     hidden_global_offset_z
      - .offset:         144
        .size:           2
        .value_kind:     hidden_grid_dims
    .group_segment_fixed_size: 0
    .kernarg_segment_align: 8
    .kernarg_segment_size: 336
    .language:       OpenCL C
    .language_version:
      - 2
      - 0
    .max_flat_workgroup_size: 256
    .name:           _ZN9rocsparseL21csrmvn_general_kernelILj256ELj64Eli18rocsparse_bfloat16S1_ffEEvbT2_NS_24const_host_device_scalarIT6_EEPKT1_S8_PKS2_PKT3_PKT4_S5_PT5_21rocsparse_index_base_b
    .private_segment_fixed_size: 0
    .sgpr_count:     32
    .sgpr_spill_count: 0
    .symbol:         _ZN9rocsparseL21csrmvn_general_kernelILj256ELj64Eli18rocsparse_bfloat16S1_ffEEvbT2_NS_24const_host_device_scalarIT6_EEPKT1_S8_PKS2_PKT3_PKT4_S5_PT5_21rocsparse_index_base_b.kd
    .uniform_work_group_size: 1
    .uses_dynamic_stack: false
    .vgpr_count:     20
    .vgpr_spill_count: 0
    .wavefront_size: 64
  - .agpr_count:     0
    .args:
      - .offset:         0
        .size:           1
        .value_kind:     by_value
      - .offset:         1
        .size:           1
        .value_kind:     by_value
      - .offset:         4
        .size:           4
        .value_kind:     by_value
      - .offset:         8
        .size:           8
        .value_kind:     by_value
      - .address_space:  global
        .offset:         16
        .size:           8
        .value_kind:     global_buffer
      - .address_space:  global
        .offset:         24
        .size:           8
        .value_kind:     global_buffer
      - .actual_access:  read_only
        .address_space:  global
        .offset:         32
        .size:           8
        .value_kind:     global_buffer
      - .actual_access:  read_only
        .address_space:  global
        .offset:         40
        .size:           8
        .value_kind:     global_buffer
      - .actual_access:  read_only
        .address_space:  global
        .offset:         48
        .size:           8
        .value_kind:     global_buffer
      - .address_space:  global
        .offset:         56
        .size:           8
        .value_kind:     global_buffer
      - .offset:         64
        .size:           4
        .value_kind:     by_value
      - .offset:         68
        .size:           1
        .value_kind:     by_value
      - .offset:         72
        .size:           4
        .value_kind:     hidden_block_count_x
      - .offset:         76
        .size:           4
        .value_kind:     hidden_block_count_y
      - .offset:         80
        .size:           4
        .value_kind:     hidden_block_count_z
      - .offset:         84
        .size:           2
        .value_kind:     hidden_group_size_x
      - .offset:         86
        .size:           2
        .value_kind:     hidden_group_size_y
      - .offset:         88
        .size:           2
        .value_kind:     hidden_group_size_z
      - .offset:         90
        .size:           2
        .value_kind:     hidden_remainder_x
      - .offset:         92
        .size:           2
        .value_kind:     hidden_remainder_y
      - .offset:         94
        .size:           2
        .value_kind:     hidden_remainder_z
      - .offset:         112
        .size:           8
        .value_kind:     hidden_global_offset_x
      - .offset:         120
        .size:           8
        .value_kind:     hidden_global_offset_y
      - .offset:         128
        .size:           8
        .value_kind:     hidden_global_offset_z
      - .offset:         136
        .size:           2
        .value_kind:     hidden_grid_dims
    .group_segment_fixed_size: 0
    .kernarg_segment_align: 8
    .kernarg_segment_size: 328
    .language:       OpenCL C
    .language_version:
      - 2
      - 0
    .max_flat_workgroup_size: 256
    .name:           _ZN9rocsparseL21csrmvt_general_kernelILj256ELj4Eli18rocsparse_bfloat16S1_ffEEvbbT2_NS_24const_host_device_scalarIT6_EEPKT1_S8_PKS2_PKT3_PKT4_PT5_21rocsparse_index_base_b
    .private_segment_fixed_size: 0
    .sgpr_count:     34
    .sgpr_spill_count: 0
    .symbol:         _ZN9rocsparseL21csrmvt_general_kernelILj256ELj4Eli18rocsparse_bfloat16S1_ffEEvbbT2_NS_24const_host_device_scalarIT6_EEPKT1_S8_PKS2_PKT3_PKT4_PT5_21rocsparse_index_base_b.kd
    .uniform_work_group_size: 1
    .uses_dynamic_stack: false
    .vgpr_count:     19
    .vgpr_spill_count: 0
    .wavefront_size: 64
  - .agpr_count:     0
    .args:
      - .offset:         0
        .size:           1
        .value_kind:     by_value
      - .offset:         1
        .size:           1
        .value_kind:     by_value
      - .offset:         4
        .size:           4
        .value_kind:     by_value
      - .offset:         8
        .size:           8
        .value_kind:     by_value
      - .address_space:  global
        .offset:         16
        .size:           8
        .value_kind:     global_buffer
      - .address_space:  global
        .offset:         24
        .size:           8
        .value_kind:     global_buffer
      - .actual_access:  read_only
        .address_space:  global
        .offset:         32
        .size:           8
        .value_kind:     global_buffer
      - .actual_access:  read_only
        .address_space:  global
        .offset:         40
        .size:           8
        .value_kind:     global_buffer
      - .actual_access:  read_only
        .address_space:  global
        .offset:         48
        .size:           8
        .value_kind:     global_buffer
      - .address_space:  global
        .offset:         56
        .size:           8
        .value_kind:     global_buffer
      - .offset:         64
        .size:           4
        .value_kind:     by_value
      - .offset:         68
        .size:           1
        .value_kind:     by_value
      - .offset:         72
        .size:           4
        .value_kind:     hidden_block_count_x
      - .offset:         76
        .size:           4
        .value_kind:     hidden_block_count_y
      - .offset:         80
        .size:           4
        .value_kind:     hidden_block_count_z
      - .offset:         84
        .size:           2
        .value_kind:     hidden_group_size_x
      - .offset:         86
        .size:           2
        .value_kind:     hidden_group_size_y
      - .offset:         88
        .size:           2
        .value_kind:     hidden_group_size_z
      - .offset:         90
        .size:           2
        .value_kind:     hidden_remainder_x
      - .offset:         92
        .size:           2
        .value_kind:     hidden_remainder_y
      - .offset:         94
        .size:           2
        .value_kind:     hidden_remainder_z
      - .offset:         112
        .size:           8
        .value_kind:     hidden_global_offset_x
      - .offset:         120
        .size:           8
        .value_kind:     hidden_global_offset_y
      - .offset:         128
        .size:           8
        .value_kind:     hidden_global_offset_z
      - .offset:         136
        .size:           2
        .value_kind:     hidden_grid_dims
    .group_segment_fixed_size: 0
    .kernarg_segment_align: 8
    .kernarg_segment_size: 328
    .language:       OpenCL C
    .language_version:
      - 2
      - 0
    .max_flat_workgroup_size: 256
    .name:           _ZN9rocsparseL21csrmvt_general_kernelILj256ELj8Eli18rocsparse_bfloat16S1_ffEEvbbT2_NS_24const_host_device_scalarIT6_EEPKT1_S8_PKS2_PKT3_PKT4_PT5_21rocsparse_index_base_b
    .private_segment_fixed_size: 0
    .sgpr_count:     34
    .sgpr_spill_count: 0
    .symbol:         _ZN9rocsparseL21csrmvt_general_kernelILj256ELj8Eli18rocsparse_bfloat16S1_ffEEvbbT2_NS_24const_host_device_scalarIT6_EEPKT1_S8_PKS2_PKT3_PKT4_PT5_21rocsparse_index_base_b.kd
    .uniform_work_group_size: 1
    .uses_dynamic_stack: false
    .vgpr_count:     19
    .vgpr_spill_count: 0
    .wavefront_size: 64
  - .agpr_count:     0
    .args:
      - .offset:         0
        .size:           1
        .value_kind:     by_value
      - .offset:         1
        .size:           1
        .value_kind:     by_value
      - .offset:         4
        .size:           4
        .value_kind:     by_value
      - .offset:         8
        .size:           8
        .value_kind:     by_value
      - .address_space:  global
        .offset:         16
        .size:           8
        .value_kind:     global_buffer
      - .address_space:  global
        .offset:         24
        .size:           8
        .value_kind:     global_buffer
      - .actual_access:  read_only
        .address_space:  global
        .offset:         32
        .size:           8
        .value_kind:     global_buffer
      - .actual_access:  read_only
        .address_space:  global
        .offset:         40
        .size:           8
        .value_kind:     global_buffer
      - .actual_access:  read_only
        .address_space:  global
        .offset:         48
        .size:           8
        .value_kind:     global_buffer
      - .address_space:  global
        .offset:         56
        .size:           8
        .value_kind:     global_buffer
      - .offset:         64
        .size:           4
        .value_kind:     by_value
      - .offset:         68
        .size:           1
        .value_kind:     by_value
      - .offset:         72
        .size:           4
        .value_kind:     hidden_block_count_x
      - .offset:         76
        .size:           4
        .value_kind:     hidden_block_count_y
      - .offset:         80
        .size:           4
        .value_kind:     hidden_block_count_z
      - .offset:         84
        .size:           2
        .value_kind:     hidden_group_size_x
      - .offset:         86
        .size:           2
        .value_kind:     hidden_group_size_y
      - .offset:         88
        .size:           2
        .value_kind:     hidden_group_size_z
      - .offset:         90
        .size:           2
        .value_kind:     hidden_remainder_x
      - .offset:         92
        .size:           2
        .value_kind:     hidden_remainder_y
      - .offset:         94
        .size:           2
        .value_kind:     hidden_remainder_z
      - .offset:         112
        .size:           8
        .value_kind:     hidden_global_offset_x
      - .offset:         120
        .size:           8
        .value_kind:     hidden_global_offset_y
      - .offset:         128
        .size:           8
        .value_kind:     hidden_global_offset_z
      - .offset:         136
        .size:           2
        .value_kind:     hidden_grid_dims
    .group_segment_fixed_size: 0
    .kernarg_segment_align: 8
    .kernarg_segment_size: 328
    .language:       OpenCL C
    .language_version:
      - 2
      - 0
    .max_flat_workgroup_size: 256
    .name:           _ZN9rocsparseL21csrmvt_general_kernelILj256ELj16Eli18rocsparse_bfloat16S1_ffEEvbbT2_NS_24const_host_device_scalarIT6_EEPKT1_S8_PKS2_PKT3_PKT4_PT5_21rocsparse_index_base_b
    .private_segment_fixed_size: 0
    .sgpr_count:     34
    .sgpr_spill_count: 0
    .symbol:         _ZN9rocsparseL21csrmvt_general_kernelILj256ELj16Eli18rocsparse_bfloat16S1_ffEEvbbT2_NS_24const_host_device_scalarIT6_EEPKT1_S8_PKS2_PKT3_PKT4_PT5_21rocsparse_index_base_b.kd
    .uniform_work_group_size: 1
    .uses_dynamic_stack: false
    .vgpr_count:     19
    .vgpr_spill_count: 0
    .wavefront_size: 64
  - .agpr_count:     0
    .args:
      - .offset:         0
        .size:           1
        .value_kind:     by_value
      - .offset:         1
        .size:           1
        .value_kind:     by_value
      - .offset:         4
        .size:           4
        .value_kind:     by_value
      - .offset:         8
        .size:           8
        .value_kind:     by_value
      - .address_space:  global
        .offset:         16
        .size:           8
        .value_kind:     global_buffer
      - .address_space:  global
        .offset:         24
        .size:           8
        .value_kind:     global_buffer
      - .actual_access:  read_only
        .address_space:  global
        .offset:         32
        .size:           8
        .value_kind:     global_buffer
      - .actual_access:  read_only
        .address_space:  global
        .offset:         40
        .size:           8
        .value_kind:     global_buffer
      - .actual_access:  read_only
        .address_space:  global
        .offset:         48
        .size:           8
        .value_kind:     global_buffer
      - .address_space:  global
        .offset:         56
        .size:           8
        .value_kind:     global_buffer
      - .offset:         64
        .size:           4
        .value_kind:     by_value
      - .offset:         68
        .size:           1
        .value_kind:     by_value
      - .offset:         72
        .size:           4
        .value_kind:     hidden_block_count_x
      - .offset:         76
        .size:           4
        .value_kind:     hidden_block_count_y
      - .offset:         80
        .size:           4
        .value_kind:     hidden_block_count_z
      - .offset:         84
        .size:           2
        .value_kind:     hidden_group_size_x
      - .offset:         86
        .size:           2
        .value_kind:     hidden_group_size_y
      - .offset:         88
        .size:           2
        .value_kind:     hidden_group_size_z
      - .offset:         90
        .size:           2
        .value_kind:     hidden_remainder_x
      - .offset:         92
        .size:           2
        .value_kind:     hidden_remainder_y
      - .offset:         94
        .size:           2
        .value_kind:     hidden_remainder_z
      - .offset:         112
        .size:           8
        .value_kind:     hidden_global_offset_x
      - .offset:         120
        .size:           8
        .value_kind:     hidden_global_offset_y
      - .offset:         128
        .size:           8
        .value_kind:     hidden_global_offset_z
      - .offset:         136
        .size:           2
        .value_kind:     hidden_grid_dims
    .group_segment_fixed_size: 0
    .kernarg_segment_align: 8
    .kernarg_segment_size: 328
    .language:       OpenCL C
    .language_version:
      - 2
      - 0
    .max_flat_workgroup_size: 256
    .name:           _ZN9rocsparseL21csrmvt_general_kernelILj256ELj32Eli18rocsparse_bfloat16S1_ffEEvbbT2_NS_24const_host_device_scalarIT6_EEPKT1_S8_PKS2_PKT3_PKT4_PT5_21rocsparse_index_base_b
    .private_segment_fixed_size: 0
    .sgpr_count:     34
    .sgpr_spill_count: 0
    .symbol:         _ZN9rocsparseL21csrmvt_general_kernelILj256ELj32Eli18rocsparse_bfloat16S1_ffEEvbbT2_NS_24const_host_device_scalarIT6_EEPKT1_S8_PKS2_PKT3_PKT4_PT5_21rocsparse_index_base_b.kd
    .uniform_work_group_size: 1
    .uses_dynamic_stack: false
    .vgpr_count:     19
    .vgpr_spill_count: 0
    .wavefront_size: 64
  - .agpr_count:     0
    .args:
      - .offset:         0
        .size:           1
        .value_kind:     by_value
      - .offset:         1
        .size:           1
        .value_kind:     by_value
      - .offset:         4
        .size:           4
        .value_kind:     by_value
      - .offset:         8
        .size:           8
        .value_kind:     by_value
      - .address_space:  global
        .offset:         16
        .size:           8
        .value_kind:     global_buffer
      - .address_space:  global
        .offset:         24
        .size:           8
        .value_kind:     global_buffer
      - .actual_access:  read_only
        .address_space:  global
        .offset:         32
        .size:           8
        .value_kind:     global_buffer
      - .actual_access:  read_only
        .address_space:  global
        .offset:         40
        .size:           8
        .value_kind:     global_buffer
      - .actual_access:  read_only
        .address_space:  global
        .offset:         48
        .size:           8
        .value_kind:     global_buffer
      - .address_space:  global
        .offset:         56
        .size:           8
        .value_kind:     global_buffer
      - .offset:         64
        .size:           4
        .value_kind:     by_value
      - .offset:         68
        .size:           1
        .value_kind:     by_value
      - .offset:         72
        .size:           4
        .value_kind:     hidden_block_count_x
      - .offset:         76
        .size:           4
        .value_kind:     hidden_block_count_y
      - .offset:         80
        .size:           4
        .value_kind:     hidden_block_count_z
      - .offset:         84
        .size:           2
        .value_kind:     hidden_group_size_x
      - .offset:         86
        .size:           2
        .value_kind:     hidden_group_size_y
      - .offset:         88
        .size:           2
        .value_kind:     hidden_group_size_z
      - .offset:         90
        .size:           2
        .value_kind:     hidden_remainder_x
      - .offset:         92
        .size:           2
        .value_kind:     hidden_remainder_y
      - .offset:         94
        .size:           2
        .value_kind:     hidden_remainder_z
      - .offset:         112
        .size:           8
        .value_kind:     hidden_global_offset_x
      - .offset:         120
        .size:           8
        .value_kind:     hidden_global_offset_y
      - .offset:         128
        .size:           8
        .value_kind:     hidden_global_offset_z
      - .offset:         136
        .size:           2
        .value_kind:     hidden_grid_dims
    .group_segment_fixed_size: 0
    .kernarg_segment_align: 8
    .kernarg_segment_size: 328
    .language:       OpenCL C
    .language_version:
      - 2
      - 0
    .max_flat_workgroup_size: 256
    .name:           _ZN9rocsparseL21csrmvt_general_kernelILj256ELj64Eli18rocsparse_bfloat16S1_ffEEvbbT2_NS_24const_host_device_scalarIT6_EEPKT1_S8_PKS2_PKT3_PKT4_PT5_21rocsparse_index_base_b
    .private_segment_fixed_size: 0
    .sgpr_count:     34
    .sgpr_spill_count: 0
    .symbol:         _ZN9rocsparseL21csrmvt_general_kernelILj256ELj64Eli18rocsparse_bfloat16S1_ffEEvbbT2_NS_24const_host_device_scalarIT6_EEPKT1_S8_PKS2_PKT3_PKT4_PT5_21rocsparse_index_base_b.kd
    .uniform_work_group_size: 1
    .uses_dynamic_stack: false
    .vgpr_count:     19
    .vgpr_spill_count: 0
    .wavefront_size: 64
  - .agpr_count:     0
    .args:
      - .offset:         0
        .size:           1
        .value_kind:     by_value
      - .offset:         8
        .size:           8
        .value_kind:     by_value
      - .offset:         16
        .size:           8
        .value_kind:     by_value
      - .address_space:  global
        .offset:         24
        .size:           8
        .value_kind:     global_buffer
      - .address_space:  global
        .offset:         32
        .size:           8
        .value_kind:     global_buffer
      - .actual_access:  read_only
        .address_space:  global
        .offset:         40
        .size:           8
        .value_kind:     global_buffer
      - .actual_access:  read_only
        .address_space:  global
        .offset:         48
        .size:           8
        .value_kind:     global_buffer
      - .actual_access:  read_only
        .address_space:  global
        .offset:         56
        .size:           8
        .value_kind:     global_buffer
      - .offset:         64
        .size:           8
        .value_kind:     by_value
      - .address_space:  global
        .offset:         72
        .size:           8
        .value_kind:     global_buffer
      - .offset:         80
        .size:           4
        .value_kind:     by_value
      - .offset:         84
        .size:           1
        .value_kind:     by_value
      - .offset:         88
        .size:           4
        .value_kind:     hidden_block_count_x
      - .offset:         92
        .size:           4
        .value_kind:     hidden_block_count_y
      - .offset:         96
        .size:           4
        .value_kind:     hidden_block_count_z
      - .offset:         100
        .size:           2
        .value_kind:     hidden_group_size_x
      - .offset:         102
        .size:           2
        .value_kind:     hidden_group_size_y
      - .offset:         104
        .size:           2
        .value_kind:     hidden_group_size_z
      - .offset:         106
        .size:           2
        .value_kind:     hidden_remainder_x
      - .offset:         108
        .size:           2
        .value_kind:     hidden_remainder_y
      - .offset:         110
        .size:           2
        .value_kind:     hidden_remainder_z
      - .offset:         128
        .size:           8
        .value_kind:     hidden_global_offset_x
      - .offset:         136
        .size:           8
        .value_kind:     hidden_global_offset_y
      - .offset:         144
        .size:           8
        .value_kind:     hidden_global_offset_z
      - .offset:         152
        .size:           2
        .value_kind:     hidden_grid_dims
    .group_segment_fixed_size: 0
    .kernarg_segment_align: 8
    .kernarg_segment_size: 344
    .language:       OpenCL C
    .language_version:
      - 2
      - 0
    .max_flat_workgroup_size: 256
    .name:           _ZN9rocsparseL21csrmvn_general_kernelILj256ELj2Ell18rocsparse_bfloat16S1_ffEEvbT2_NS_24const_host_device_scalarIT6_EEPKT1_S8_PKS2_PKT3_PKT4_S5_PT5_21rocsparse_index_base_b
    .private_segment_fixed_size: 0
    .sgpr_count:     32
    .sgpr_spill_count: 0
    .symbol:         _ZN9rocsparseL21csrmvn_general_kernelILj256ELj2Ell18rocsparse_bfloat16S1_ffEEvbT2_NS_24const_host_device_scalarIT6_EEPKT1_S8_PKS2_PKT3_PKT4_S5_PT5_21rocsparse_index_base_b.kd
    .uniform_work_group_size: 1
    .uses_dynamic_stack: false
    .vgpr_count:     21
    .vgpr_spill_count: 0
    .wavefront_size: 64
  - .agpr_count:     0
    .args:
      - .offset:         0
        .size:           1
        .value_kind:     by_value
      - .offset:         8
        .size:           8
        .value_kind:     by_value
      - .offset:         16
        .size:           8
        .value_kind:     by_value
      - .address_space:  global
        .offset:         24
        .size:           8
        .value_kind:     global_buffer
      - .address_space:  global
        .offset:         32
        .size:           8
        .value_kind:     global_buffer
      - .actual_access:  read_only
        .address_space:  global
        .offset:         40
        .size:           8
        .value_kind:     global_buffer
      - .actual_access:  read_only
        .address_space:  global
        .offset:         48
        .size:           8
        .value_kind:     global_buffer
      - .actual_access:  read_only
        .address_space:  global
        .offset:         56
        .size:           8
        .value_kind:     global_buffer
      - .offset:         64
        .size:           8
        .value_kind:     by_value
      - .address_space:  global
        .offset:         72
        .size:           8
        .value_kind:     global_buffer
      - .offset:         80
        .size:           4
        .value_kind:     by_value
      - .offset:         84
        .size:           1
        .value_kind:     by_value
      - .offset:         88
        .size:           4
        .value_kind:     hidden_block_count_x
      - .offset:         92
        .size:           4
        .value_kind:     hidden_block_count_y
      - .offset:         96
        .size:           4
        .value_kind:     hidden_block_count_z
      - .offset:         100
        .size:           2
        .value_kind:     hidden_group_size_x
      - .offset:         102
        .size:           2
        .value_kind:     hidden_group_size_y
      - .offset:         104
        .size:           2
        .value_kind:     hidden_group_size_z
      - .offset:         106
        .size:           2
        .value_kind:     hidden_remainder_x
      - .offset:         108
        .size:           2
        .value_kind:     hidden_remainder_y
      - .offset:         110
        .size:           2
        .value_kind:     hidden_remainder_z
      - .offset:         128
        .size:           8
        .value_kind:     hidden_global_offset_x
      - .offset:         136
        .size:           8
        .value_kind:     hidden_global_offset_y
      - .offset:         144
        .size:           8
        .value_kind:     hidden_global_offset_z
      - .offset:         152
        .size:           2
        .value_kind:     hidden_grid_dims
    .group_segment_fixed_size: 0
    .kernarg_segment_align: 8
    .kernarg_segment_size: 344
    .language:       OpenCL C
    .language_version:
      - 2
      - 0
    .max_flat_workgroup_size: 256
    .name:           _ZN9rocsparseL21csrmvn_general_kernelILj256ELj4Ell18rocsparse_bfloat16S1_ffEEvbT2_NS_24const_host_device_scalarIT6_EEPKT1_S8_PKS2_PKT3_PKT4_S5_PT5_21rocsparse_index_base_b
    .private_segment_fixed_size: 0
    .sgpr_count:     32
    .sgpr_spill_count: 0
    .symbol:         _ZN9rocsparseL21csrmvn_general_kernelILj256ELj4Ell18rocsparse_bfloat16S1_ffEEvbT2_NS_24const_host_device_scalarIT6_EEPKT1_S8_PKS2_PKT3_PKT4_S5_PT5_21rocsparse_index_base_b.kd
    .uniform_work_group_size: 1
    .uses_dynamic_stack: false
    .vgpr_count:     20
    .vgpr_spill_count: 0
    .wavefront_size: 64
  - .agpr_count:     0
    .args:
      - .offset:         0
        .size:           1
        .value_kind:     by_value
      - .offset:         8
        .size:           8
        .value_kind:     by_value
      - .offset:         16
        .size:           8
        .value_kind:     by_value
      - .address_space:  global
        .offset:         24
        .size:           8
        .value_kind:     global_buffer
      - .address_space:  global
        .offset:         32
        .size:           8
        .value_kind:     global_buffer
      - .actual_access:  read_only
        .address_space:  global
        .offset:         40
        .size:           8
        .value_kind:     global_buffer
      - .actual_access:  read_only
        .address_space:  global
        .offset:         48
        .size:           8
        .value_kind:     global_buffer
      - .actual_access:  read_only
        .address_space:  global
        .offset:         56
        .size:           8
        .value_kind:     global_buffer
      - .offset:         64
        .size:           8
        .value_kind:     by_value
      - .address_space:  global
        .offset:         72
        .size:           8
        .value_kind:     global_buffer
      - .offset:         80
        .size:           4
        .value_kind:     by_value
      - .offset:         84
        .size:           1
        .value_kind:     by_value
      - .offset:         88
        .size:           4
        .value_kind:     hidden_block_count_x
      - .offset:         92
        .size:           4
        .value_kind:     hidden_block_count_y
      - .offset:         96
        .size:           4
        .value_kind:     hidden_block_count_z
      - .offset:         100
        .size:           2
        .value_kind:     hidden_group_size_x
      - .offset:         102
        .size:           2
        .value_kind:     hidden_group_size_y
      - .offset:         104
        .size:           2
        .value_kind:     hidden_group_size_z
      - .offset:         106
        .size:           2
        .value_kind:     hidden_remainder_x
      - .offset:         108
        .size:           2
        .value_kind:     hidden_remainder_y
      - .offset:         110
        .size:           2
        .value_kind:     hidden_remainder_z
      - .offset:         128
        .size:           8
        .value_kind:     hidden_global_offset_x
      - .offset:         136
        .size:           8
        .value_kind:     hidden_global_offset_y
      - .offset:         144
        .size:           8
        .value_kind:     hidden_global_offset_z
      - .offset:         152
        .size:           2
        .value_kind:     hidden_grid_dims
    .group_segment_fixed_size: 0
    .kernarg_segment_align: 8
    .kernarg_segment_size: 344
    .language:       OpenCL C
    .language_version:
      - 2
      - 0
    .max_flat_workgroup_size: 256
    .name:           _ZN9rocsparseL21csrmvn_general_kernelILj256ELj8Ell18rocsparse_bfloat16S1_ffEEvbT2_NS_24const_host_device_scalarIT6_EEPKT1_S8_PKS2_PKT3_PKT4_S5_PT5_21rocsparse_index_base_b
    .private_segment_fixed_size: 0
    .sgpr_count:     32
    .sgpr_spill_count: 0
    .symbol:         _ZN9rocsparseL21csrmvn_general_kernelILj256ELj8Ell18rocsparse_bfloat16S1_ffEEvbT2_NS_24const_host_device_scalarIT6_EEPKT1_S8_PKS2_PKT3_PKT4_S5_PT5_21rocsparse_index_base_b.kd
    .uniform_work_group_size: 1
    .uses_dynamic_stack: false
    .vgpr_count:     20
    .vgpr_spill_count: 0
    .wavefront_size: 64
  - .agpr_count:     0
    .args:
      - .offset:         0
        .size:           1
        .value_kind:     by_value
      - .offset:         8
        .size:           8
        .value_kind:     by_value
      - .offset:         16
        .size:           8
        .value_kind:     by_value
      - .address_space:  global
        .offset:         24
        .size:           8
        .value_kind:     global_buffer
      - .address_space:  global
        .offset:         32
        .size:           8
        .value_kind:     global_buffer
      - .actual_access:  read_only
        .address_space:  global
        .offset:         40
        .size:           8
        .value_kind:     global_buffer
      - .actual_access:  read_only
        .address_space:  global
        .offset:         48
        .size:           8
        .value_kind:     global_buffer
      - .actual_access:  read_only
        .address_space:  global
        .offset:         56
        .size:           8
        .value_kind:     global_buffer
      - .offset:         64
        .size:           8
        .value_kind:     by_value
      - .address_space:  global
        .offset:         72
        .size:           8
        .value_kind:     global_buffer
      - .offset:         80
        .size:           4
        .value_kind:     by_value
      - .offset:         84
        .size:           1
        .value_kind:     by_value
      - .offset:         88
        .size:           4
        .value_kind:     hidden_block_count_x
      - .offset:         92
        .size:           4
        .value_kind:     hidden_block_count_y
      - .offset:         96
        .size:           4
        .value_kind:     hidden_block_count_z
      - .offset:         100
        .size:           2
        .value_kind:     hidden_group_size_x
      - .offset:         102
        .size:           2
        .value_kind:     hidden_group_size_y
      - .offset:         104
        .size:           2
        .value_kind:     hidden_group_size_z
      - .offset:         106
        .size:           2
        .value_kind:     hidden_remainder_x
      - .offset:         108
        .size:           2
        .value_kind:     hidden_remainder_y
      - .offset:         110
        .size:           2
        .value_kind:     hidden_remainder_z
      - .offset:         128
        .size:           8
        .value_kind:     hidden_global_offset_x
      - .offset:         136
        .size:           8
        .value_kind:     hidden_global_offset_y
      - .offset:         144
        .size:           8
        .value_kind:     hidden_global_offset_z
      - .offset:         152
        .size:           2
        .value_kind:     hidden_grid_dims
    .group_segment_fixed_size: 0
    .kernarg_segment_align: 8
    .kernarg_segment_size: 344
    .language:       OpenCL C
    .language_version:
      - 2
      - 0
    .max_flat_workgroup_size: 256
    .name:           _ZN9rocsparseL21csrmvn_general_kernelILj256ELj16Ell18rocsparse_bfloat16S1_ffEEvbT2_NS_24const_host_device_scalarIT6_EEPKT1_S8_PKS2_PKT3_PKT4_S5_PT5_21rocsparse_index_base_b
    .private_segment_fixed_size: 0
    .sgpr_count:     32
    .sgpr_spill_count: 0
    .symbol:         _ZN9rocsparseL21csrmvn_general_kernelILj256ELj16Ell18rocsparse_bfloat16S1_ffEEvbT2_NS_24const_host_device_scalarIT6_EEPKT1_S8_PKS2_PKT3_PKT4_S5_PT5_21rocsparse_index_base_b.kd
    .uniform_work_group_size: 1
    .uses_dynamic_stack: false
    .vgpr_count:     20
    .vgpr_spill_count: 0
    .wavefront_size: 64
  - .agpr_count:     0
    .args:
      - .offset:         0
        .size:           1
        .value_kind:     by_value
      - .offset:         8
        .size:           8
        .value_kind:     by_value
      - .offset:         16
        .size:           8
        .value_kind:     by_value
      - .address_space:  global
        .offset:         24
        .size:           8
        .value_kind:     global_buffer
      - .address_space:  global
        .offset:         32
        .size:           8
        .value_kind:     global_buffer
      - .actual_access:  read_only
        .address_space:  global
        .offset:         40
        .size:           8
        .value_kind:     global_buffer
      - .actual_access:  read_only
        .address_space:  global
        .offset:         48
        .size:           8
        .value_kind:     global_buffer
      - .actual_access:  read_only
        .address_space:  global
        .offset:         56
        .size:           8
        .value_kind:     global_buffer
      - .offset:         64
        .size:           8
        .value_kind:     by_value
      - .address_space:  global
        .offset:         72
        .size:           8
        .value_kind:     global_buffer
      - .offset:         80
        .size:           4
        .value_kind:     by_value
      - .offset:         84
        .size:           1
        .value_kind:     by_value
      - .offset:         88
        .size:           4
        .value_kind:     hidden_block_count_x
      - .offset:         92
        .size:           4
        .value_kind:     hidden_block_count_y
      - .offset:         96
        .size:           4
        .value_kind:     hidden_block_count_z
      - .offset:         100
        .size:           2
        .value_kind:     hidden_group_size_x
      - .offset:         102
        .size:           2
        .value_kind:     hidden_group_size_y
      - .offset:         104
        .size:           2
        .value_kind:     hidden_group_size_z
      - .offset:         106
        .size:           2
        .value_kind:     hidden_remainder_x
      - .offset:         108
        .size:           2
        .value_kind:     hidden_remainder_y
      - .offset:         110
        .size:           2
        .value_kind:     hidden_remainder_z
      - .offset:         128
        .size:           8
        .value_kind:     hidden_global_offset_x
      - .offset:         136
        .size:           8
        .value_kind:     hidden_global_offset_y
      - .offset:         144
        .size:           8
        .value_kind:     hidden_global_offset_z
      - .offset:         152
        .size:           2
        .value_kind:     hidden_grid_dims
    .group_segment_fixed_size: 0
    .kernarg_segment_align: 8
    .kernarg_segment_size: 344
    .language:       OpenCL C
    .language_version:
      - 2
      - 0
    .max_flat_workgroup_size: 256
    .name:           _ZN9rocsparseL21csrmvn_general_kernelILj256ELj32Ell18rocsparse_bfloat16S1_ffEEvbT2_NS_24const_host_device_scalarIT6_EEPKT1_S8_PKS2_PKT3_PKT4_S5_PT5_21rocsparse_index_base_b
    .private_segment_fixed_size: 0
    .sgpr_count:     32
    .sgpr_spill_count: 0
    .symbol:         _ZN9rocsparseL21csrmvn_general_kernelILj256ELj32Ell18rocsparse_bfloat16S1_ffEEvbT2_NS_24const_host_device_scalarIT6_EEPKT1_S8_PKS2_PKT3_PKT4_S5_PT5_21rocsparse_index_base_b.kd
    .uniform_work_group_size: 1
    .uses_dynamic_stack: false
    .vgpr_count:     20
    .vgpr_spill_count: 0
    .wavefront_size: 64
  - .agpr_count:     0
    .args:
      - .offset:         0
        .size:           1
        .value_kind:     by_value
      - .offset:         8
        .size:           8
        .value_kind:     by_value
      - .offset:         16
        .size:           8
        .value_kind:     by_value
      - .address_space:  global
        .offset:         24
        .size:           8
        .value_kind:     global_buffer
      - .address_space:  global
        .offset:         32
        .size:           8
        .value_kind:     global_buffer
      - .actual_access:  read_only
        .address_space:  global
        .offset:         40
        .size:           8
        .value_kind:     global_buffer
      - .actual_access:  read_only
        .address_space:  global
        .offset:         48
        .size:           8
        .value_kind:     global_buffer
      - .actual_access:  read_only
        .address_space:  global
        .offset:         56
        .size:           8
        .value_kind:     global_buffer
      - .offset:         64
        .size:           8
        .value_kind:     by_value
      - .address_space:  global
        .offset:         72
        .size:           8
        .value_kind:     global_buffer
      - .offset:         80
        .size:           4
        .value_kind:     by_value
      - .offset:         84
        .size:           1
        .value_kind:     by_value
      - .offset:         88
        .size:           4
        .value_kind:     hidden_block_count_x
      - .offset:         92
        .size:           4
        .value_kind:     hidden_block_count_y
      - .offset:         96
        .size:           4
        .value_kind:     hidden_block_count_z
      - .offset:         100
        .size:           2
        .value_kind:     hidden_group_size_x
      - .offset:         102
        .size:           2
        .value_kind:     hidden_group_size_y
      - .offset:         104
        .size:           2
        .value_kind:     hidden_group_size_z
      - .offset:         106
        .size:           2
        .value_kind:     hidden_remainder_x
      - .offset:         108
        .size:           2
        .value_kind:     hidden_remainder_y
      - .offset:         110
        .size:           2
        .value_kind:     hidden_remainder_z
      - .offset:         128
        .size:           8
        .value_kind:     hidden_global_offset_x
      - .offset:         136
        .size:           8
        .value_kind:     hidden_global_offset_y
      - .offset:         144
        .size:           8
        .value_kind:     hidden_global_offset_z
      - .offset:         152
        .size:           2
        .value_kind:     hidden_grid_dims
    .group_segment_fixed_size: 0
    .kernarg_segment_align: 8
    .kernarg_segment_size: 344
    .language:       OpenCL C
    .language_version:
      - 2
      - 0
    .max_flat_workgroup_size: 256
    .name:           _ZN9rocsparseL21csrmvn_general_kernelILj256ELj64Ell18rocsparse_bfloat16S1_ffEEvbT2_NS_24const_host_device_scalarIT6_EEPKT1_S8_PKS2_PKT3_PKT4_S5_PT5_21rocsparse_index_base_b
    .private_segment_fixed_size: 0
    .sgpr_count:     34
    .sgpr_spill_count: 0
    .symbol:         _ZN9rocsparseL21csrmvn_general_kernelILj256ELj64Ell18rocsparse_bfloat16S1_ffEEvbT2_NS_24const_host_device_scalarIT6_EEPKT1_S8_PKS2_PKT3_PKT4_S5_PT5_21rocsparse_index_base_b.kd
    .uniform_work_group_size: 1
    .uses_dynamic_stack: false
    .vgpr_count:     20
    .vgpr_spill_count: 0
    .wavefront_size: 64
  - .agpr_count:     0
    .args:
      - .offset:         0
        .size:           1
        .value_kind:     by_value
      - .offset:         1
        .size:           1
        .value_kind:     by_value
      - .offset:         8
        .size:           8
        .value_kind:     by_value
      - .offset:         16
        .size:           8
        .value_kind:     by_value
      - .address_space:  global
        .offset:         24
        .size:           8
        .value_kind:     global_buffer
      - .address_space:  global
        .offset:         32
        .size:           8
        .value_kind:     global_buffer
      - .actual_access:  read_only
        .address_space:  global
        .offset:         40
        .size:           8
        .value_kind:     global_buffer
      - .actual_access:  read_only
        .address_space:  global
        .offset:         48
        .size:           8
        .value_kind:     global_buffer
      - .actual_access:  read_only
        .address_space:  global
        .offset:         56
        .size:           8
        .value_kind:     global_buffer
      - .address_space:  global
        .offset:         64
        .size:           8
        .value_kind:     global_buffer
      - .offset:         72
        .size:           4
        .value_kind:     by_value
      - .offset:         76
        .size:           1
        .value_kind:     by_value
      - .offset:         80
        .size:           4
        .value_kind:     hidden_block_count_x
      - .offset:         84
        .size:           4
        .value_kind:     hidden_block_count_y
      - .offset:         88
        .size:           4
        .value_kind:     hidden_block_count_z
      - .offset:         92
        .size:           2
        .value_kind:     hidden_group_size_x
      - .offset:         94
        .size:           2
        .value_kind:     hidden_group_size_y
      - .offset:         96
        .size:           2
        .value_kind:     hidden_group_size_z
      - .offset:         98
        .size:           2
        .value_kind:     hidden_remainder_x
      - .offset:         100
        .size:           2
        .value_kind:     hidden_remainder_y
      - .offset:         102
        .size:           2
        .value_kind:     hidden_remainder_z
      - .offset:         120
        .size:           8
        .value_kind:     hidden_global_offset_x
      - .offset:         128
        .size:           8
        .value_kind:     hidden_global_offset_y
      - .offset:         136
        .size:           8
        .value_kind:     hidden_global_offset_z
      - .offset:         144
        .size:           2
        .value_kind:     hidden_grid_dims
    .group_segment_fixed_size: 0
    .kernarg_segment_align: 8
    .kernarg_segment_size: 336
    .language:       OpenCL C
    .language_version:
      - 2
      - 0
    .max_flat_workgroup_size: 256
    .name:           _ZN9rocsparseL21csrmvt_general_kernelILj256ELj4Ell18rocsparse_bfloat16S1_ffEEvbbT2_NS_24const_host_device_scalarIT6_EEPKT1_S8_PKS2_PKT3_PKT4_PT5_21rocsparse_index_base_b
    .private_segment_fixed_size: 0
    .sgpr_count:     34
    .sgpr_spill_count: 0
    .symbol:         _ZN9rocsparseL21csrmvt_general_kernelILj256ELj4Ell18rocsparse_bfloat16S1_ffEEvbbT2_NS_24const_host_device_scalarIT6_EEPKT1_S8_PKS2_PKT3_PKT4_PT5_21rocsparse_index_base_b.kd
    .uniform_work_group_size: 1
    .uses_dynamic_stack: false
    .vgpr_count:     21
    .vgpr_spill_count: 0
    .wavefront_size: 64
  - .agpr_count:     0
    .args:
      - .offset:         0
        .size:           1
        .value_kind:     by_value
      - .offset:         1
        .size:           1
        .value_kind:     by_value
      - .offset:         8
        .size:           8
        .value_kind:     by_value
      - .offset:         16
        .size:           8
        .value_kind:     by_value
      - .address_space:  global
        .offset:         24
        .size:           8
        .value_kind:     global_buffer
      - .address_space:  global
        .offset:         32
        .size:           8
        .value_kind:     global_buffer
      - .actual_access:  read_only
        .address_space:  global
        .offset:         40
        .size:           8
        .value_kind:     global_buffer
      - .actual_access:  read_only
        .address_space:  global
        .offset:         48
        .size:           8
        .value_kind:     global_buffer
      - .actual_access:  read_only
        .address_space:  global
        .offset:         56
        .size:           8
        .value_kind:     global_buffer
      - .address_space:  global
        .offset:         64
        .size:           8
        .value_kind:     global_buffer
      - .offset:         72
        .size:           4
        .value_kind:     by_value
      - .offset:         76
        .size:           1
        .value_kind:     by_value
      - .offset:         80
        .size:           4
        .value_kind:     hidden_block_count_x
      - .offset:         84
        .size:           4
        .value_kind:     hidden_block_count_y
      - .offset:         88
        .size:           4
        .value_kind:     hidden_block_count_z
      - .offset:         92
        .size:           2
        .value_kind:     hidden_group_size_x
      - .offset:         94
        .size:           2
        .value_kind:     hidden_group_size_y
      - .offset:         96
        .size:           2
        .value_kind:     hidden_group_size_z
      - .offset:         98
        .size:           2
        .value_kind:     hidden_remainder_x
      - .offset:         100
        .size:           2
        .value_kind:     hidden_remainder_y
      - .offset:         102
        .size:           2
        .value_kind:     hidden_remainder_z
      - .offset:         120
        .size:           8
        .value_kind:     hidden_global_offset_x
      - .offset:         128
        .size:           8
        .value_kind:     hidden_global_offset_y
      - .offset:         136
        .size:           8
        .value_kind:     hidden_global_offset_z
      - .offset:         144
        .size:           2
        .value_kind:     hidden_grid_dims
    .group_segment_fixed_size: 0
    .kernarg_segment_align: 8
    .kernarg_segment_size: 336
    .language:       OpenCL C
    .language_version:
      - 2
      - 0
    .max_flat_workgroup_size: 256
    .name:           _ZN9rocsparseL21csrmvt_general_kernelILj256ELj8Ell18rocsparse_bfloat16S1_ffEEvbbT2_NS_24const_host_device_scalarIT6_EEPKT1_S8_PKS2_PKT3_PKT4_PT5_21rocsparse_index_base_b
    .private_segment_fixed_size: 0
    .sgpr_count:     34
    .sgpr_spill_count: 0
    .symbol:         _ZN9rocsparseL21csrmvt_general_kernelILj256ELj8Ell18rocsparse_bfloat16S1_ffEEvbbT2_NS_24const_host_device_scalarIT6_EEPKT1_S8_PKS2_PKT3_PKT4_PT5_21rocsparse_index_base_b.kd
    .uniform_work_group_size: 1
    .uses_dynamic_stack: false
    .vgpr_count:     21
    .vgpr_spill_count: 0
    .wavefront_size: 64
  - .agpr_count:     0
    .args:
      - .offset:         0
        .size:           1
        .value_kind:     by_value
      - .offset:         1
        .size:           1
        .value_kind:     by_value
      - .offset:         8
        .size:           8
        .value_kind:     by_value
      - .offset:         16
        .size:           8
        .value_kind:     by_value
      - .address_space:  global
        .offset:         24
        .size:           8
        .value_kind:     global_buffer
      - .address_space:  global
        .offset:         32
        .size:           8
        .value_kind:     global_buffer
      - .actual_access:  read_only
        .address_space:  global
        .offset:         40
        .size:           8
        .value_kind:     global_buffer
      - .actual_access:  read_only
        .address_space:  global
        .offset:         48
        .size:           8
        .value_kind:     global_buffer
      - .actual_access:  read_only
        .address_space:  global
        .offset:         56
        .size:           8
        .value_kind:     global_buffer
      - .address_space:  global
        .offset:         64
        .size:           8
        .value_kind:     global_buffer
      - .offset:         72
        .size:           4
        .value_kind:     by_value
      - .offset:         76
        .size:           1
        .value_kind:     by_value
      - .offset:         80
        .size:           4
        .value_kind:     hidden_block_count_x
      - .offset:         84
        .size:           4
        .value_kind:     hidden_block_count_y
      - .offset:         88
        .size:           4
        .value_kind:     hidden_block_count_z
      - .offset:         92
        .size:           2
        .value_kind:     hidden_group_size_x
      - .offset:         94
        .size:           2
        .value_kind:     hidden_group_size_y
      - .offset:         96
        .size:           2
        .value_kind:     hidden_group_size_z
      - .offset:         98
        .size:           2
        .value_kind:     hidden_remainder_x
      - .offset:         100
        .size:           2
        .value_kind:     hidden_remainder_y
      - .offset:         102
        .size:           2
        .value_kind:     hidden_remainder_z
      - .offset:         120
        .size:           8
        .value_kind:     hidden_global_offset_x
      - .offset:         128
        .size:           8
        .value_kind:     hidden_global_offset_y
      - .offset:         136
        .size:           8
        .value_kind:     hidden_global_offset_z
      - .offset:         144
        .size:           2
        .value_kind:     hidden_grid_dims
    .group_segment_fixed_size: 0
    .kernarg_segment_align: 8
    .kernarg_segment_size: 336
    .language:       OpenCL C
    .language_version:
      - 2
      - 0
    .max_flat_workgroup_size: 256
    .name:           _ZN9rocsparseL21csrmvt_general_kernelILj256ELj16Ell18rocsparse_bfloat16S1_ffEEvbbT2_NS_24const_host_device_scalarIT6_EEPKT1_S8_PKS2_PKT3_PKT4_PT5_21rocsparse_index_base_b
    .private_segment_fixed_size: 0
    .sgpr_count:     34
    .sgpr_spill_count: 0
    .symbol:         _ZN9rocsparseL21csrmvt_general_kernelILj256ELj16Ell18rocsparse_bfloat16S1_ffEEvbbT2_NS_24const_host_device_scalarIT6_EEPKT1_S8_PKS2_PKT3_PKT4_PT5_21rocsparse_index_base_b.kd
    .uniform_work_group_size: 1
    .uses_dynamic_stack: false
    .vgpr_count:     21
    .vgpr_spill_count: 0
    .wavefront_size: 64
  - .agpr_count:     0
    .args:
      - .offset:         0
        .size:           1
        .value_kind:     by_value
      - .offset:         1
        .size:           1
        .value_kind:     by_value
      - .offset:         8
        .size:           8
        .value_kind:     by_value
      - .offset:         16
        .size:           8
        .value_kind:     by_value
      - .address_space:  global
        .offset:         24
        .size:           8
        .value_kind:     global_buffer
      - .address_space:  global
        .offset:         32
        .size:           8
        .value_kind:     global_buffer
      - .actual_access:  read_only
        .address_space:  global
        .offset:         40
        .size:           8
        .value_kind:     global_buffer
      - .actual_access:  read_only
        .address_space:  global
        .offset:         48
        .size:           8
        .value_kind:     global_buffer
      - .actual_access:  read_only
        .address_space:  global
        .offset:         56
        .size:           8
        .value_kind:     global_buffer
      - .address_space:  global
        .offset:         64
        .size:           8
        .value_kind:     global_buffer
      - .offset:         72
        .size:           4
        .value_kind:     by_value
      - .offset:         76
        .size:           1
        .value_kind:     by_value
      - .offset:         80
        .size:           4
        .value_kind:     hidden_block_count_x
      - .offset:         84
        .size:           4
        .value_kind:     hidden_block_count_y
      - .offset:         88
        .size:           4
        .value_kind:     hidden_block_count_z
      - .offset:         92
        .size:           2
        .value_kind:     hidden_group_size_x
      - .offset:         94
        .size:           2
        .value_kind:     hidden_group_size_y
      - .offset:         96
        .size:           2
        .value_kind:     hidden_group_size_z
      - .offset:         98
        .size:           2
        .value_kind:     hidden_remainder_x
      - .offset:         100
        .size:           2
        .value_kind:     hidden_remainder_y
      - .offset:         102
        .size:           2
        .value_kind:     hidden_remainder_z
      - .offset:         120
        .size:           8
        .value_kind:     hidden_global_offset_x
      - .offset:         128
        .size:           8
        .value_kind:     hidden_global_offset_y
      - .offset:         136
        .size:           8
        .value_kind:     hidden_global_offset_z
      - .offset:         144
        .size:           2
        .value_kind:     hidden_grid_dims
    .group_segment_fixed_size: 0
    .kernarg_segment_align: 8
    .kernarg_segment_size: 336
    .language:       OpenCL C
    .language_version:
      - 2
      - 0
    .max_flat_workgroup_size: 256
    .name:           _ZN9rocsparseL21csrmvt_general_kernelILj256ELj32Ell18rocsparse_bfloat16S1_ffEEvbbT2_NS_24const_host_device_scalarIT6_EEPKT1_S8_PKS2_PKT3_PKT4_PT5_21rocsparse_index_base_b
    .private_segment_fixed_size: 0
    .sgpr_count:     34
    .sgpr_spill_count: 0
    .symbol:         _ZN9rocsparseL21csrmvt_general_kernelILj256ELj32Ell18rocsparse_bfloat16S1_ffEEvbbT2_NS_24const_host_device_scalarIT6_EEPKT1_S8_PKS2_PKT3_PKT4_PT5_21rocsparse_index_base_b.kd
    .uniform_work_group_size: 1
    .uses_dynamic_stack: false
    .vgpr_count:     21
    .vgpr_spill_count: 0
    .wavefront_size: 64
  - .agpr_count:     0
    .args:
      - .offset:         0
        .size:           1
        .value_kind:     by_value
      - .offset:         1
        .size:           1
        .value_kind:     by_value
      - .offset:         8
        .size:           8
        .value_kind:     by_value
      - .offset:         16
        .size:           8
        .value_kind:     by_value
      - .address_space:  global
        .offset:         24
        .size:           8
        .value_kind:     global_buffer
      - .address_space:  global
        .offset:         32
        .size:           8
        .value_kind:     global_buffer
      - .actual_access:  read_only
        .address_space:  global
        .offset:         40
        .size:           8
        .value_kind:     global_buffer
      - .actual_access:  read_only
        .address_space:  global
        .offset:         48
        .size:           8
        .value_kind:     global_buffer
      - .actual_access:  read_only
        .address_space:  global
        .offset:         56
        .size:           8
        .value_kind:     global_buffer
      - .address_space:  global
        .offset:         64
        .size:           8
        .value_kind:     global_buffer
      - .offset:         72
        .size:           4
        .value_kind:     by_value
      - .offset:         76
        .size:           1
        .value_kind:     by_value
      - .offset:         80
        .size:           4
        .value_kind:     hidden_block_count_x
      - .offset:         84
        .size:           4
        .value_kind:     hidden_block_count_y
      - .offset:         88
        .size:           4
        .value_kind:     hidden_block_count_z
      - .offset:         92
        .size:           2
        .value_kind:     hidden_group_size_x
      - .offset:         94
        .size:           2
        .value_kind:     hidden_group_size_y
      - .offset:         96
        .size:           2
        .value_kind:     hidden_group_size_z
      - .offset:         98
        .size:           2
        .value_kind:     hidden_remainder_x
      - .offset:         100
        .size:           2
        .value_kind:     hidden_remainder_y
      - .offset:         102
        .size:           2
        .value_kind:     hidden_remainder_z
      - .offset:         120
        .size:           8
        .value_kind:     hidden_global_offset_x
      - .offset:         128
        .size:           8
        .value_kind:     hidden_global_offset_y
      - .offset:         136
        .size:           8
        .value_kind:     hidden_global_offset_z
      - .offset:         144
        .size:           2
        .value_kind:     hidden_grid_dims
    .group_segment_fixed_size: 0
    .kernarg_segment_align: 8
    .kernarg_segment_size: 336
    .language:       OpenCL C
    .language_version:
      - 2
      - 0
    .max_flat_workgroup_size: 256
    .name:           _ZN9rocsparseL21csrmvt_general_kernelILj256ELj64Ell18rocsparse_bfloat16S1_ffEEvbbT2_NS_24const_host_device_scalarIT6_EEPKT1_S8_PKS2_PKT3_PKT4_PT5_21rocsparse_index_base_b
    .private_segment_fixed_size: 0
    .sgpr_count:     34
    .sgpr_spill_count: 0
    .symbol:         _ZN9rocsparseL21csrmvt_general_kernelILj256ELj64Ell18rocsparse_bfloat16S1_ffEEvbbT2_NS_24const_host_device_scalarIT6_EEPKT1_S8_PKS2_PKT3_PKT4_PT5_21rocsparse_index_base_b.kd
    .uniform_work_group_size: 1
    .uses_dynamic_stack: false
    .vgpr_count:     21
    .vgpr_spill_count: 0
    .wavefront_size: 64
  - .agpr_count:     0
    .args:
      - .offset:         0
        .size:           1
        .value_kind:     by_value
      - .offset:         4
        .size:           4
        .value_kind:     by_value
      - .offset:         8
        .size:           8
        .value_kind:     by_value
      - .address_space:  global
        .offset:         16
        .size:           8
        .value_kind:     global_buffer
      - .address_space:  global
        .offset:         24
        .size:           8
        .value_kind:     global_buffer
      - .actual_access:  read_only
        .address_space:  global
        .offset:         32
        .size:           8
        .value_kind:     global_buffer
      - .actual_access:  read_only
        .address_space:  global
        .offset:         40
        .size:           8
        .value_kind:     global_buffer
      - .actual_access:  read_only
        .address_space:  global
        .offset:         48
        .size:           8
        .value_kind:     global_buffer
      - .offset:         56
        .size:           8
        .value_kind:     by_value
      - .address_space:  global
        .offset:         64
        .size:           8
        .value_kind:     global_buffer
      - .offset:         72
        .size:           4
        .value_kind:     by_value
      - .offset:         76
        .size:           1
        .value_kind:     by_value
      - .offset:         80
        .size:           4
        .value_kind:     hidden_block_count_x
      - .offset:         84
        .size:           4
        .value_kind:     hidden_block_count_y
      - .offset:         88
        .size:           4
        .value_kind:     hidden_block_count_z
      - .offset:         92
        .size:           2
        .value_kind:     hidden_group_size_x
      - .offset:         94
        .size:           2
        .value_kind:     hidden_group_size_y
      - .offset:         96
        .size:           2
        .value_kind:     hidden_group_size_z
      - .offset:         98
        .size:           2
        .value_kind:     hidden_remainder_x
      - .offset:         100
        .size:           2
        .value_kind:     hidden_remainder_y
      - .offset:         102
        .size:           2
        .value_kind:     hidden_remainder_z
      - .offset:         120
        .size:           8
        .value_kind:     hidden_global_offset_x
      - .offset:         128
        .size:           8
        .value_kind:     hidden_global_offset_y
      - .offset:         136
        .size:           8
        .value_kind:     hidden_global_offset_z
      - .offset:         144
        .size:           2
        .value_kind:     hidden_grid_dims
    .group_segment_fixed_size: 0
    .kernarg_segment_align: 8
    .kernarg_segment_size: 336
    .language:       OpenCL C
    .language_version:
      - 2
      - 0
    .max_flat_workgroup_size: 256
    .name:           _ZN9rocsparseL21csrmvn_general_kernelILj256ELj2Eiif21rocsparse_complex_numIfES2_S2_EEvbT2_NS_24const_host_device_scalarIT6_EEPKT1_S9_PKS3_PKT3_PKT4_S6_PT5_21rocsparse_index_base_b
    .private_segment_fixed_size: 0
    .sgpr_count:     29
    .sgpr_spill_count: 0
    .symbol:         _ZN9rocsparseL21csrmvn_general_kernelILj256ELj2Eiif21rocsparse_complex_numIfES2_S2_EEvbT2_NS_24const_host_device_scalarIT6_EEPKT1_S9_PKS3_PKT3_PKT4_S6_PT5_21rocsparse_index_base_b.kd
    .uniform_work_group_size: 1
    .uses_dynamic_stack: false
    .vgpr_count:     23
    .vgpr_spill_count: 0
    .wavefront_size: 64
  - .agpr_count:     0
    .args:
      - .offset:         0
        .size:           1
        .value_kind:     by_value
      - .offset:         4
        .size:           4
        .value_kind:     by_value
      - .offset:         8
        .size:           8
        .value_kind:     by_value
      - .address_space:  global
        .offset:         16
        .size:           8
        .value_kind:     global_buffer
      - .address_space:  global
        .offset:         24
        .size:           8
        .value_kind:     global_buffer
      - .actual_access:  read_only
        .address_space:  global
        .offset:         32
        .size:           8
        .value_kind:     global_buffer
      - .actual_access:  read_only
        .address_space:  global
        .offset:         40
        .size:           8
        .value_kind:     global_buffer
      - .actual_access:  read_only
        .address_space:  global
        .offset:         48
        .size:           8
        .value_kind:     global_buffer
      - .offset:         56
        .size:           8
        .value_kind:     by_value
      - .address_space:  global
        .offset:         64
        .size:           8
        .value_kind:     global_buffer
      - .offset:         72
        .size:           4
        .value_kind:     by_value
      - .offset:         76
        .size:           1
        .value_kind:     by_value
      - .offset:         80
        .size:           4
        .value_kind:     hidden_block_count_x
      - .offset:         84
        .size:           4
        .value_kind:     hidden_block_count_y
      - .offset:         88
        .size:           4
        .value_kind:     hidden_block_count_z
      - .offset:         92
        .size:           2
        .value_kind:     hidden_group_size_x
      - .offset:         94
        .size:           2
        .value_kind:     hidden_group_size_y
      - .offset:         96
        .size:           2
        .value_kind:     hidden_group_size_z
      - .offset:         98
        .size:           2
        .value_kind:     hidden_remainder_x
      - .offset:         100
        .size:           2
        .value_kind:     hidden_remainder_y
      - .offset:         102
        .size:           2
        .value_kind:     hidden_remainder_z
      - .offset:         120
        .size:           8
        .value_kind:     hidden_global_offset_x
      - .offset:         128
        .size:           8
        .value_kind:     hidden_global_offset_y
      - .offset:         136
        .size:           8
        .value_kind:     hidden_global_offset_z
      - .offset:         144
        .size:           2
        .value_kind:     hidden_grid_dims
    .group_segment_fixed_size: 0
    .kernarg_segment_align: 8
    .kernarg_segment_size: 336
    .language:       OpenCL C
    .language_version:
      - 2
      - 0
    .max_flat_workgroup_size: 256
    .name:           _ZN9rocsparseL21csrmvn_general_kernelILj256ELj4Eiif21rocsparse_complex_numIfES2_S2_EEvbT2_NS_24const_host_device_scalarIT6_EEPKT1_S9_PKS3_PKT3_PKT4_S6_PT5_21rocsparse_index_base_b
    .private_segment_fixed_size: 0
    .sgpr_count:     29
    .sgpr_spill_count: 0
    .symbol:         _ZN9rocsparseL21csrmvn_general_kernelILj256ELj4Eiif21rocsparse_complex_numIfES2_S2_EEvbT2_NS_24const_host_device_scalarIT6_EEPKT1_S9_PKS3_PKT3_PKT4_S6_PT5_21rocsparse_index_base_b.kd
    .uniform_work_group_size: 1
    .uses_dynamic_stack: false
    .vgpr_count:     23
    .vgpr_spill_count: 0
    .wavefront_size: 64
  - .agpr_count:     0
    .args:
      - .offset:         0
        .size:           1
        .value_kind:     by_value
      - .offset:         4
        .size:           4
        .value_kind:     by_value
      - .offset:         8
        .size:           8
        .value_kind:     by_value
      - .address_space:  global
        .offset:         16
        .size:           8
        .value_kind:     global_buffer
      - .address_space:  global
        .offset:         24
        .size:           8
        .value_kind:     global_buffer
      - .actual_access:  read_only
        .address_space:  global
        .offset:         32
        .size:           8
        .value_kind:     global_buffer
      - .actual_access:  read_only
        .address_space:  global
        .offset:         40
        .size:           8
        .value_kind:     global_buffer
      - .actual_access:  read_only
        .address_space:  global
        .offset:         48
        .size:           8
        .value_kind:     global_buffer
      - .offset:         56
        .size:           8
        .value_kind:     by_value
      - .address_space:  global
        .offset:         64
        .size:           8
        .value_kind:     global_buffer
      - .offset:         72
        .size:           4
        .value_kind:     by_value
      - .offset:         76
        .size:           1
        .value_kind:     by_value
      - .offset:         80
        .size:           4
        .value_kind:     hidden_block_count_x
      - .offset:         84
        .size:           4
        .value_kind:     hidden_block_count_y
      - .offset:         88
        .size:           4
        .value_kind:     hidden_block_count_z
      - .offset:         92
        .size:           2
        .value_kind:     hidden_group_size_x
      - .offset:         94
        .size:           2
        .value_kind:     hidden_group_size_y
      - .offset:         96
        .size:           2
        .value_kind:     hidden_group_size_z
      - .offset:         98
        .size:           2
        .value_kind:     hidden_remainder_x
      - .offset:         100
        .size:           2
        .value_kind:     hidden_remainder_y
      - .offset:         102
        .size:           2
        .value_kind:     hidden_remainder_z
      - .offset:         120
        .size:           8
        .value_kind:     hidden_global_offset_x
      - .offset:         128
        .size:           8
        .value_kind:     hidden_global_offset_y
      - .offset:         136
        .size:           8
        .value_kind:     hidden_global_offset_z
      - .offset:         144
        .size:           2
        .value_kind:     hidden_grid_dims
    .group_segment_fixed_size: 0
    .kernarg_segment_align: 8
    .kernarg_segment_size: 336
    .language:       OpenCL C
    .language_version:
      - 2
      - 0
    .max_flat_workgroup_size: 256
    .name:           _ZN9rocsparseL21csrmvn_general_kernelILj256ELj8Eiif21rocsparse_complex_numIfES2_S2_EEvbT2_NS_24const_host_device_scalarIT6_EEPKT1_S9_PKS3_PKT3_PKT4_S6_PT5_21rocsparse_index_base_b
    .private_segment_fixed_size: 0
    .sgpr_count:     29
    .sgpr_spill_count: 0
    .symbol:         _ZN9rocsparseL21csrmvn_general_kernelILj256ELj8Eiif21rocsparse_complex_numIfES2_S2_EEvbT2_NS_24const_host_device_scalarIT6_EEPKT1_S9_PKS3_PKT3_PKT4_S6_PT5_21rocsparse_index_base_b.kd
    .uniform_work_group_size: 1
    .uses_dynamic_stack: false
    .vgpr_count:     23
    .vgpr_spill_count: 0
    .wavefront_size: 64
  - .agpr_count:     0
    .args:
      - .offset:         0
        .size:           1
        .value_kind:     by_value
      - .offset:         4
        .size:           4
        .value_kind:     by_value
      - .offset:         8
        .size:           8
        .value_kind:     by_value
      - .address_space:  global
        .offset:         16
        .size:           8
        .value_kind:     global_buffer
      - .address_space:  global
        .offset:         24
        .size:           8
        .value_kind:     global_buffer
      - .actual_access:  read_only
        .address_space:  global
        .offset:         32
        .size:           8
        .value_kind:     global_buffer
      - .actual_access:  read_only
        .address_space:  global
        .offset:         40
        .size:           8
        .value_kind:     global_buffer
      - .actual_access:  read_only
        .address_space:  global
        .offset:         48
        .size:           8
        .value_kind:     global_buffer
      - .offset:         56
        .size:           8
        .value_kind:     by_value
      - .address_space:  global
        .offset:         64
        .size:           8
        .value_kind:     global_buffer
      - .offset:         72
        .size:           4
        .value_kind:     by_value
      - .offset:         76
        .size:           1
        .value_kind:     by_value
      - .offset:         80
        .size:           4
        .value_kind:     hidden_block_count_x
      - .offset:         84
        .size:           4
        .value_kind:     hidden_block_count_y
      - .offset:         88
        .size:           4
        .value_kind:     hidden_block_count_z
      - .offset:         92
        .size:           2
        .value_kind:     hidden_group_size_x
      - .offset:         94
        .size:           2
        .value_kind:     hidden_group_size_y
      - .offset:         96
        .size:           2
        .value_kind:     hidden_group_size_z
      - .offset:         98
        .size:           2
        .value_kind:     hidden_remainder_x
      - .offset:         100
        .size:           2
        .value_kind:     hidden_remainder_y
      - .offset:         102
        .size:           2
        .value_kind:     hidden_remainder_z
      - .offset:         120
        .size:           8
        .value_kind:     hidden_global_offset_x
      - .offset:         128
        .size:           8
        .value_kind:     hidden_global_offset_y
      - .offset:         136
        .size:           8
        .value_kind:     hidden_global_offset_z
      - .offset:         144
        .size:           2
        .value_kind:     hidden_grid_dims
    .group_segment_fixed_size: 0
    .kernarg_segment_align: 8
    .kernarg_segment_size: 336
    .language:       OpenCL C
    .language_version:
      - 2
      - 0
    .max_flat_workgroup_size: 256
    .name:           _ZN9rocsparseL21csrmvn_general_kernelILj256ELj16Eiif21rocsparse_complex_numIfES2_S2_EEvbT2_NS_24const_host_device_scalarIT6_EEPKT1_S9_PKS3_PKT3_PKT4_S6_PT5_21rocsparse_index_base_b
    .private_segment_fixed_size: 0
    .sgpr_count:     29
    .sgpr_spill_count: 0
    .symbol:         _ZN9rocsparseL21csrmvn_general_kernelILj256ELj16Eiif21rocsparse_complex_numIfES2_S2_EEvbT2_NS_24const_host_device_scalarIT6_EEPKT1_S9_PKS3_PKT3_PKT4_S6_PT5_21rocsparse_index_base_b.kd
    .uniform_work_group_size: 1
    .uses_dynamic_stack: false
    .vgpr_count:     23
    .vgpr_spill_count: 0
    .wavefront_size: 64
  - .agpr_count:     0
    .args:
      - .offset:         0
        .size:           1
        .value_kind:     by_value
      - .offset:         4
        .size:           4
        .value_kind:     by_value
      - .offset:         8
        .size:           8
        .value_kind:     by_value
      - .address_space:  global
        .offset:         16
        .size:           8
        .value_kind:     global_buffer
      - .address_space:  global
        .offset:         24
        .size:           8
        .value_kind:     global_buffer
      - .actual_access:  read_only
        .address_space:  global
        .offset:         32
        .size:           8
        .value_kind:     global_buffer
      - .actual_access:  read_only
        .address_space:  global
        .offset:         40
        .size:           8
        .value_kind:     global_buffer
      - .actual_access:  read_only
        .address_space:  global
        .offset:         48
        .size:           8
        .value_kind:     global_buffer
      - .offset:         56
        .size:           8
        .value_kind:     by_value
      - .address_space:  global
        .offset:         64
        .size:           8
        .value_kind:     global_buffer
      - .offset:         72
        .size:           4
        .value_kind:     by_value
      - .offset:         76
        .size:           1
        .value_kind:     by_value
      - .offset:         80
        .size:           4
        .value_kind:     hidden_block_count_x
      - .offset:         84
        .size:           4
        .value_kind:     hidden_block_count_y
      - .offset:         88
        .size:           4
        .value_kind:     hidden_block_count_z
      - .offset:         92
        .size:           2
        .value_kind:     hidden_group_size_x
      - .offset:         94
        .size:           2
        .value_kind:     hidden_group_size_y
      - .offset:         96
        .size:           2
        .value_kind:     hidden_group_size_z
      - .offset:         98
        .size:           2
        .value_kind:     hidden_remainder_x
      - .offset:         100
        .size:           2
        .value_kind:     hidden_remainder_y
      - .offset:         102
        .size:           2
        .value_kind:     hidden_remainder_z
      - .offset:         120
        .size:           8
        .value_kind:     hidden_global_offset_x
      - .offset:         128
        .size:           8
        .value_kind:     hidden_global_offset_y
      - .offset:         136
        .size:           8
        .value_kind:     hidden_global_offset_z
      - .offset:         144
        .size:           2
        .value_kind:     hidden_grid_dims
    .group_segment_fixed_size: 0
    .kernarg_segment_align: 8
    .kernarg_segment_size: 336
    .language:       OpenCL C
    .language_version:
      - 2
      - 0
    .max_flat_workgroup_size: 256
    .name:           _ZN9rocsparseL21csrmvn_general_kernelILj256ELj32Eiif21rocsparse_complex_numIfES2_S2_EEvbT2_NS_24const_host_device_scalarIT6_EEPKT1_S9_PKS3_PKT3_PKT4_S6_PT5_21rocsparse_index_base_b
    .private_segment_fixed_size: 0
    .sgpr_count:     29
    .sgpr_spill_count: 0
    .symbol:         _ZN9rocsparseL21csrmvn_general_kernelILj256ELj32Eiif21rocsparse_complex_numIfES2_S2_EEvbT2_NS_24const_host_device_scalarIT6_EEPKT1_S9_PKS3_PKT3_PKT4_S6_PT5_21rocsparse_index_base_b.kd
    .uniform_work_group_size: 1
    .uses_dynamic_stack: false
    .vgpr_count:     23
    .vgpr_spill_count: 0
    .wavefront_size: 64
  - .agpr_count:     0
    .args:
      - .offset:         0
        .size:           1
        .value_kind:     by_value
      - .offset:         4
        .size:           4
        .value_kind:     by_value
      - .offset:         8
        .size:           8
        .value_kind:     by_value
      - .address_space:  global
        .offset:         16
        .size:           8
        .value_kind:     global_buffer
      - .address_space:  global
        .offset:         24
        .size:           8
        .value_kind:     global_buffer
      - .actual_access:  read_only
        .address_space:  global
        .offset:         32
        .size:           8
        .value_kind:     global_buffer
      - .actual_access:  read_only
        .address_space:  global
        .offset:         40
        .size:           8
        .value_kind:     global_buffer
      - .actual_access:  read_only
        .address_space:  global
        .offset:         48
        .size:           8
        .value_kind:     global_buffer
      - .offset:         56
        .size:           8
        .value_kind:     by_value
      - .address_space:  global
        .offset:         64
        .size:           8
        .value_kind:     global_buffer
      - .offset:         72
        .size:           4
        .value_kind:     by_value
      - .offset:         76
        .size:           1
        .value_kind:     by_value
      - .offset:         80
        .size:           4
        .value_kind:     hidden_block_count_x
      - .offset:         84
        .size:           4
        .value_kind:     hidden_block_count_y
      - .offset:         88
        .size:           4
        .value_kind:     hidden_block_count_z
      - .offset:         92
        .size:           2
        .value_kind:     hidden_group_size_x
      - .offset:         94
        .size:           2
        .value_kind:     hidden_group_size_y
      - .offset:         96
        .size:           2
        .value_kind:     hidden_group_size_z
      - .offset:         98
        .size:           2
        .value_kind:     hidden_remainder_x
      - .offset:         100
        .size:           2
        .value_kind:     hidden_remainder_y
      - .offset:         102
        .size:           2
        .value_kind:     hidden_remainder_z
      - .offset:         120
        .size:           8
        .value_kind:     hidden_global_offset_x
      - .offset:         128
        .size:           8
        .value_kind:     hidden_global_offset_y
      - .offset:         136
        .size:           8
        .value_kind:     hidden_global_offset_z
      - .offset:         144
        .size:           2
        .value_kind:     hidden_grid_dims
    .group_segment_fixed_size: 0
    .kernarg_segment_align: 8
    .kernarg_segment_size: 336
    .language:       OpenCL C
    .language_version:
      - 2
      - 0
    .max_flat_workgroup_size: 256
    .name:           _ZN9rocsparseL21csrmvn_general_kernelILj256ELj64Eiif21rocsparse_complex_numIfES2_S2_EEvbT2_NS_24const_host_device_scalarIT6_EEPKT1_S9_PKS3_PKT3_PKT4_S6_PT5_21rocsparse_index_base_b
    .private_segment_fixed_size: 0
    .sgpr_count:     29
    .sgpr_spill_count: 0
    .symbol:         _ZN9rocsparseL21csrmvn_general_kernelILj256ELj64Eiif21rocsparse_complex_numIfES2_S2_EEvbT2_NS_24const_host_device_scalarIT6_EEPKT1_S9_PKS3_PKT3_PKT4_S6_PT5_21rocsparse_index_base_b.kd
    .uniform_work_group_size: 1
    .uses_dynamic_stack: false
    .vgpr_count:     23
    .vgpr_spill_count: 0
    .wavefront_size: 64
  - .agpr_count:     0
    .args:
      - .offset:         0
        .size:           1
        .value_kind:     by_value
      - .offset:         1
        .size:           1
        .value_kind:     by_value
      - .offset:         4
        .size:           4
        .value_kind:     by_value
      - .offset:         8
        .size:           8
        .value_kind:     by_value
      - .address_space:  global
        .offset:         16
        .size:           8
        .value_kind:     global_buffer
      - .address_space:  global
        .offset:         24
        .size:           8
        .value_kind:     global_buffer
      - .actual_access:  read_only
        .address_space:  global
        .offset:         32
        .size:           8
        .value_kind:     global_buffer
      - .actual_access:  read_only
        .address_space:  global
        .offset:         40
        .size:           8
        .value_kind:     global_buffer
      - .actual_access:  read_only
        .address_space:  global
        .offset:         48
        .size:           8
        .value_kind:     global_buffer
      - .address_space:  global
        .offset:         56
        .size:           8
        .value_kind:     global_buffer
      - .offset:         64
        .size:           4
        .value_kind:     by_value
      - .offset:         68
        .size:           1
        .value_kind:     by_value
      - .offset:         72
        .size:           4
        .value_kind:     hidden_block_count_x
      - .offset:         76
        .size:           4
        .value_kind:     hidden_block_count_y
      - .offset:         80
        .size:           4
        .value_kind:     hidden_block_count_z
      - .offset:         84
        .size:           2
        .value_kind:     hidden_group_size_x
      - .offset:         86
        .size:           2
        .value_kind:     hidden_group_size_y
      - .offset:         88
        .size:           2
        .value_kind:     hidden_group_size_z
      - .offset:         90
        .size:           2
        .value_kind:     hidden_remainder_x
      - .offset:         92
        .size:           2
        .value_kind:     hidden_remainder_y
      - .offset:         94
        .size:           2
        .value_kind:     hidden_remainder_z
      - .offset:         112
        .size:           8
        .value_kind:     hidden_global_offset_x
      - .offset:         120
        .size:           8
        .value_kind:     hidden_global_offset_y
      - .offset:         128
        .size:           8
        .value_kind:     hidden_global_offset_z
      - .offset:         136
        .size:           2
        .value_kind:     hidden_grid_dims
    .group_segment_fixed_size: 0
    .kernarg_segment_align: 8
    .kernarg_segment_size: 328
    .language:       OpenCL C
    .language_version:
      - 2
      - 0
    .max_flat_workgroup_size: 256
    .name:           _ZN9rocsparseL21csrmvt_general_kernelILj256ELj4Eiif21rocsparse_complex_numIfES2_S2_EEvbbT2_NS_24const_host_device_scalarIT6_EEPKT1_S9_PKS3_PKT3_PKT4_PT5_21rocsparse_index_base_b
    .private_segment_fixed_size: 0
    .sgpr_count:     32
    .sgpr_spill_count: 0
    .symbol:         _ZN9rocsparseL21csrmvt_general_kernelILj256ELj4Eiif21rocsparse_complex_numIfES2_S2_EEvbbT2_NS_24const_host_device_scalarIT6_EEPKT1_S9_PKS3_PKT3_PKT4_PT5_21rocsparse_index_base_b.kd
    .uniform_work_group_size: 1
    .uses_dynamic_stack: false
    .vgpr_count:     20
    .vgpr_spill_count: 0
    .wavefront_size: 64
  - .agpr_count:     0
    .args:
      - .offset:         0
        .size:           1
        .value_kind:     by_value
      - .offset:         1
        .size:           1
        .value_kind:     by_value
      - .offset:         4
        .size:           4
        .value_kind:     by_value
      - .offset:         8
        .size:           8
        .value_kind:     by_value
      - .address_space:  global
        .offset:         16
        .size:           8
        .value_kind:     global_buffer
      - .address_space:  global
        .offset:         24
        .size:           8
        .value_kind:     global_buffer
      - .actual_access:  read_only
        .address_space:  global
        .offset:         32
        .size:           8
        .value_kind:     global_buffer
      - .actual_access:  read_only
        .address_space:  global
        .offset:         40
        .size:           8
        .value_kind:     global_buffer
      - .actual_access:  read_only
        .address_space:  global
        .offset:         48
        .size:           8
        .value_kind:     global_buffer
      - .address_space:  global
        .offset:         56
        .size:           8
        .value_kind:     global_buffer
      - .offset:         64
        .size:           4
        .value_kind:     by_value
      - .offset:         68
        .size:           1
        .value_kind:     by_value
      - .offset:         72
        .size:           4
        .value_kind:     hidden_block_count_x
      - .offset:         76
        .size:           4
        .value_kind:     hidden_block_count_y
      - .offset:         80
        .size:           4
        .value_kind:     hidden_block_count_z
      - .offset:         84
        .size:           2
        .value_kind:     hidden_group_size_x
      - .offset:         86
        .size:           2
        .value_kind:     hidden_group_size_y
      - .offset:         88
        .size:           2
        .value_kind:     hidden_group_size_z
      - .offset:         90
        .size:           2
        .value_kind:     hidden_remainder_x
      - .offset:         92
        .size:           2
        .value_kind:     hidden_remainder_y
      - .offset:         94
        .size:           2
        .value_kind:     hidden_remainder_z
      - .offset:         112
        .size:           8
        .value_kind:     hidden_global_offset_x
      - .offset:         120
        .size:           8
        .value_kind:     hidden_global_offset_y
      - .offset:         128
        .size:           8
        .value_kind:     hidden_global_offset_z
      - .offset:         136
        .size:           2
        .value_kind:     hidden_grid_dims
    .group_segment_fixed_size: 0
    .kernarg_segment_align: 8
    .kernarg_segment_size: 328
    .language:       OpenCL C
    .language_version:
      - 2
      - 0
    .max_flat_workgroup_size: 256
    .name:           _ZN9rocsparseL21csrmvt_general_kernelILj256ELj8Eiif21rocsparse_complex_numIfES2_S2_EEvbbT2_NS_24const_host_device_scalarIT6_EEPKT1_S9_PKS3_PKT3_PKT4_PT5_21rocsparse_index_base_b
    .private_segment_fixed_size: 0
    .sgpr_count:     32
    .sgpr_spill_count: 0
    .symbol:         _ZN9rocsparseL21csrmvt_general_kernelILj256ELj8Eiif21rocsparse_complex_numIfES2_S2_EEvbbT2_NS_24const_host_device_scalarIT6_EEPKT1_S9_PKS3_PKT3_PKT4_PT5_21rocsparse_index_base_b.kd
    .uniform_work_group_size: 1
    .uses_dynamic_stack: false
    .vgpr_count:     20
    .vgpr_spill_count: 0
    .wavefront_size: 64
  - .agpr_count:     0
    .args:
      - .offset:         0
        .size:           1
        .value_kind:     by_value
      - .offset:         1
        .size:           1
        .value_kind:     by_value
      - .offset:         4
        .size:           4
        .value_kind:     by_value
      - .offset:         8
        .size:           8
        .value_kind:     by_value
      - .address_space:  global
        .offset:         16
        .size:           8
        .value_kind:     global_buffer
      - .address_space:  global
        .offset:         24
        .size:           8
        .value_kind:     global_buffer
      - .actual_access:  read_only
        .address_space:  global
        .offset:         32
        .size:           8
        .value_kind:     global_buffer
      - .actual_access:  read_only
        .address_space:  global
        .offset:         40
        .size:           8
        .value_kind:     global_buffer
      - .actual_access:  read_only
        .address_space:  global
        .offset:         48
        .size:           8
        .value_kind:     global_buffer
      - .address_space:  global
        .offset:         56
        .size:           8
        .value_kind:     global_buffer
      - .offset:         64
        .size:           4
        .value_kind:     by_value
      - .offset:         68
        .size:           1
        .value_kind:     by_value
      - .offset:         72
        .size:           4
        .value_kind:     hidden_block_count_x
      - .offset:         76
        .size:           4
        .value_kind:     hidden_block_count_y
      - .offset:         80
        .size:           4
        .value_kind:     hidden_block_count_z
      - .offset:         84
        .size:           2
        .value_kind:     hidden_group_size_x
      - .offset:         86
        .size:           2
        .value_kind:     hidden_group_size_y
      - .offset:         88
        .size:           2
        .value_kind:     hidden_group_size_z
      - .offset:         90
        .size:           2
        .value_kind:     hidden_remainder_x
      - .offset:         92
        .size:           2
        .value_kind:     hidden_remainder_y
      - .offset:         94
        .size:           2
        .value_kind:     hidden_remainder_z
      - .offset:         112
        .size:           8
        .value_kind:     hidden_global_offset_x
      - .offset:         120
        .size:           8
        .value_kind:     hidden_global_offset_y
      - .offset:         128
        .size:           8
        .value_kind:     hidden_global_offset_z
      - .offset:         136
        .size:           2
        .value_kind:     hidden_grid_dims
    .group_segment_fixed_size: 0
    .kernarg_segment_align: 8
    .kernarg_segment_size: 328
    .language:       OpenCL C
    .language_version:
      - 2
      - 0
    .max_flat_workgroup_size: 256
    .name:           _ZN9rocsparseL21csrmvt_general_kernelILj256ELj16Eiif21rocsparse_complex_numIfES2_S2_EEvbbT2_NS_24const_host_device_scalarIT6_EEPKT1_S9_PKS3_PKT3_PKT4_PT5_21rocsparse_index_base_b
    .private_segment_fixed_size: 0
    .sgpr_count:     32
    .sgpr_spill_count: 0
    .symbol:         _ZN9rocsparseL21csrmvt_general_kernelILj256ELj16Eiif21rocsparse_complex_numIfES2_S2_EEvbbT2_NS_24const_host_device_scalarIT6_EEPKT1_S9_PKS3_PKT3_PKT4_PT5_21rocsparse_index_base_b.kd
    .uniform_work_group_size: 1
    .uses_dynamic_stack: false
    .vgpr_count:     20
    .vgpr_spill_count: 0
    .wavefront_size: 64
  - .agpr_count:     0
    .args:
      - .offset:         0
        .size:           1
        .value_kind:     by_value
      - .offset:         1
        .size:           1
        .value_kind:     by_value
      - .offset:         4
        .size:           4
        .value_kind:     by_value
      - .offset:         8
        .size:           8
        .value_kind:     by_value
      - .address_space:  global
        .offset:         16
        .size:           8
        .value_kind:     global_buffer
      - .address_space:  global
        .offset:         24
        .size:           8
        .value_kind:     global_buffer
      - .actual_access:  read_only
        .address_space:  global
        .offset:         32
        .size:           8
        .value_kind:     global_buffer
      - .actual_access:  read_only
        .address_space:  global
        .offset:         40
        .size:           8
        .value_kind:     global_buffer
      - .actual_access:  read_only
        .address_space:  global
        .offset:         48
        .size:           8
        .value_kind:     global_buffer
      - .address_space:  global
        .offset:         56
        .size:           8
        .value_kind:     global_buffer
      - .offset:         64
        .size:           4
        .value_kind:     by_value
      - .offset:         68
        .size:           1
        .value_kind:     by_value
      - .offset:         72
        .size:           4
        .value_kind:     hidden_block_count_x
      - .offset:         76
        .size:           4
        .value_kind:     hidden_block_count_y
      - .offset:         80
        .size:           4
        .value_kind:     hidden_block_count_z
      - .offset:         84
        .size:           2
        .value_kind:     hidden_group_size_x
      - .offset:         86
        .size:           2
        .value_kind:     hidden_group_size_y
      - .offset:         88
        .size:           2
        .value_kind:     hidden_group_size_z
      - .offset:         90
        .size:           2
        .value_kind:     hidden_remainder_x
      - .offset:         92
        .size:           2
        .value_kind:     hidden_remainder_y
      - .offset:         94
        .size:           2
        .value_kind:     hidden_remainder_z
      - .offset:         112
        .size:           8
        .value_kind:     hidden_global_offset_x
      - .offset:         120
        .size:           8
        .value_kind:     hidden_global_offset_y
      - .offset:         128
        .size:           8
        .value_kind:     hidden_global_offset_z
      - .offset:         136
        .size:           2
        .value_kind:     hidden_grid_dims
    .group_segment_fixed_size: 0
    .kernarg_segment_align: 8
    .kernarg_segment_size: 328
    .language:       OpenCL C
    .language_version:
      - 2
      - 0
    .max_flat_workgroup_size: 256
    .name:           _ZN9rocsparseL21csrmvt_general_kernelILj256ELj32Eiif21rocsparse_complex_numIfES2_S2_EEvbbT2_NS_24const_host_device_scalarIT6_EEPKT1_S9_PKS3_PKT3_PKT4_PT5_21rocsparse_index_base_b
    .private_segment_fixed_size: 0
    .sgpr_count:     32
    .sgpr_spill_count: 0
    .symbol:         _ZN9rocsparseL21csrmvt_general_kernelILj256ELj32Eiif21rocsparse_complex_numIfES2_S2_EEvbbT2_NS_24const_host_device_scalarIT6_EEPKT1_S9_PKS3_PKT3_PKT4_PT5_21rocsparse_index_base_b.kd
    .uniform_work_group_size: 1
    .uses_dynamic_stack: false
    .vgpr_count:     20
    .vgpr_spill_count: 0
    .wavefront_size: 64
  - .agpr_count:     0
    .args:
      - .offset:         0
        .size:           1
        .value_kind:     by_value
      - .offset:         1
        .size:           1
        .value_kind:     by_value
      - .offset:         4
        .size:           4
        .value_kind:     by_value
      - .offset:         8
        .size:           8
        .value_kind:     by_value
      - .address_space:  global
        .offset:         16
        .size:           8
        .value_kind:     global_buffer
      - .address_space:  global
        .offset:         24
        .size:           8
        .value_kind:     global_buffer
      - .actual_access:  read_only
        .address_space:  global
        .offset:         32
        .size:           8
        .value_kind:     global_buffer
      - .actual_access:  read_only
        .address_space:  global
        .offset:         40
        .size:           8
        .value_kind:     global_buffer
      - .actual_access:  read_only
        .address_space:  global
        .offset:         48
        .size:           8
        .value_kind:     global_buffer
      - .address_space:  global
        .offset:         56
        .size:           8
        .value_kind:     global_buffer
      - .offset:         64
        .size:           4
        .value_kind:     by_value
      - .offset:         68
        .size:           1
        .value_kind:     by_value
      - .offset:         72
        .size:           4
        .value_kind:     hidden_block_count_x
      - .offset:         76
        .size:           4
        .value_kind:     hidden_block_count_y
      - .offset:         80
        .size:           4
        .value_kind:     hidden_block_count_z
      - .offset:         84
        .size:           2
        .value_kind:     hidden_group_size_x
      - .offset:         86
        .size:           2
        .value_kind:     hidden_group_size_y
      - .offset:         88
        .size:           2
        .value_kind:     hidden_group_size_z
      - .offset:         90
        .size:           2
        .value_kind:     hidden_remainder_x
      - .offset:         92
        .size:           2
        .value_kind:     hidden_remainder_y
      - .offset:         94
        .size:           2
        .value_kind:     hidden_remainder_z
      - .offset:         112
        .size:           8
        .value_kind:     hidden_global_offset_x
      - .offset:         120
        .size:           8
        .value_kind:     hidden_global_offset_y
      - .offset:         128
        .size:           8
        .value_kind:     hidden_global_offset_z
      - .offset:         136
        .size:           2
        .value_kind:     hidden_grid_dims
    .group_segment_fixed_size: 0
    .kernarg_segment_align: 8
    .kernarg_segment_size: 328
    .language:       OpenCL C
    .language_version:
      - 2
      - 0
    .max_flat_workgroup_size: 256
    .name:           _ZN9rocsparseL21csrmvt_general_kernelILj256ELj64Eiif21rocsparse_complex_numIfES2_S2_EEvbbT2_NS_24const_host_device_scalarIT6_EEPKT1_S9_PKS3_PKT3_PKT4_PT5_21rocsparse_index_base_b
    .private_segment_fixed_size: 0
    .sgpr_count:     32
    .sgpr_spill_count: 0
    .symbol:         _ZN9rocsparseL21csrmvt_general_kernelILj256ELj64Eiif21rocsparse_complex_numIfES2_S2_EEvbbT2_NS_24const_host_device_scalarIT6_EEPKT1_S9_PKS3_PKT3_PKT4_PT5_21rocsparse_index_base_b.kd
    .uniform_work_group_size: 1
    .uses_dynamic_stack: false
    .vgpr_count:     20
    .vgpr_spill_count: 0
    .wavefront_size: 64
  - .agpr_count:     0
    .args:
      - .offset:         0
        .size:           1
        .value_kind:     by_value
      - .offset:         4
        .size:           4
        .value_kind:     by_value
      - .offset:         8
        .size:           8
        .value_kind:     by_value
      - .address_space:  global
        .offset:         16
        .size:           8
        .value_kind:     global_buffer
      - .address_space:  global
        .offset:         24
        .size:           8
        .value_kind:     global_buffer
      - .actual_access:  read_only
        .address_space:  global
        .offset:         32
        .size:           8
        .value_kind:     global_buffer
      - .actual_access:  read_only
        .address_space:  global
        .offset:         40
        .size:           8
        .value_kind:     global_buffer
      - .actual_access:  read_only
        .address_space:  global
        .offset:         48
        .size:           8
        .value_kind:     global_buffer
      - .offset:         56
        .size:           8
        .value_kind:     by_value
      - .address_space:  global
        .offset:         64
        .size:           8
        .value_kind:     global_buffer
      - .offset:         72
        .size:           4
        .value_kind:     by_value
      - .offset:         76
        .size:           1
        .value_kind:     by_value
      - .offset:         80
        .size:           4
        .value_kind:     hidden_block_count_x
      - .offset:         84
        .size:           4
        .value_kind:     hidden_block_count_y
      - .offset:         88
        .size:           4
        .value_kind:     hidden_block_count_z
      - .offset:         92
        .size:           2
        .value_kind:     hidden_group_size_x
      - .offset:         94
        .size:           2
        .value_kind:     hidden_group_size_y
      - .offset:         96
        .size:           2
        .value_kind:     hidden_group_size_z
      - .offset:         98
        .size:           2
        .value_kind:     hidden_remainder_x
      - .offset:         100
        .size:           2
        .value_kind:     hidden_remainder_y
      - .offset:         102
        .size:           2
        .value_kind:     hidden_remainder_z
      - .offset:         120
        .size:           8
        .value_kind:     hidden_global_offset_x
      - .offset:         128
        .size:           8
        .value_kind:     hidden_global_offset_y
      - .offset:         136
        .size:           8
        .value_kind:     hidden_global_offset_z
      - .offset:         144
        .size:           2
        .value_kind:     hidden_grid_dims
    .group_segment_fixed_size: 0
    .kernarg_segment_align: 8
    .kernarg_segment_size: 336
    .language:       OpenCL C
    .language_version:
      - 2
      - 0
    .max_flat_workgroup_size: 256
    .name:           _ZN9rocsparseL21csrmvn_general_kernelILj256ELj2Elif21rocsparse_complex_numIfES2_S2_EEvbT2_NS_24const_host_device_scalarIT6_EEPKT1_S9_PKS3_PKT3_PKT4_S6_PT5_21rocsparse_index_base_b
    .private_segment_fixed_size: 0
    .sgpr_count:     28
    .sgpr_spill_count: 0
    .symbol:         _ZN9rocsparseL21csrmvn_general_kernelILj256ELj2Elif21rocsparse_complex_numIfES2_S2_EEvbT2_NS_24const_host_device_scalarIT6_EEPKT1_S9_PKS3_PKT3_PKT4_S6_PT5_21rocsparse_index_base_b.kd
    .uniform_work_group_size: 1
    .uses_dynamic_stack: false
    .vgpr_count:     32
    .vgpr_spill_count: 0
    .wavefront_size: 64
  - .agpr_count:     0
    .args:
      - .offset:         0
        .size:           1
        .value_kind:     by_value
      - .offset:         4
        .size:           4
        .value_kind:     by_value
      - .offset:         8
        .size:           8
        .value_kind:     by_value
      - .address_space:  global
        .offset:         16
        .size:           8
        .value_kind:     global_buffer
      - .address_space:  global
        .offset:         24
        .size:           8
        .value_kind:     global_buffer
      - .actual_access:  read_only
        .address_space:  global
        .offset:         32
        .size:           8
        .value_kind:     global_buffer
      - .actual_access:  read_only
        .address_space:  global
        .offset:         40
        .size:           8
        .value_kind:     global_buffer
      - .actual_access:  read_only
        .address_space:  global
        .offset:         48
        .size:           8
        .value_kind:     global_buffer
      - .offset:         56
        .size:           8
        .value_kind:     by_value
      - .address_space:  global
        .offset:         64
        .size:           8
        .value_kind:     global_buffer
      - .offset:         72
        .size:           4
        .value_kind:     by_value
      - .offset:         76
        .size:           1
        .value_kind:     by_value
      - .offset:         80
        .size:           4
        .value_kind:     hidden_block_count_x
      - .offset:         84
        .size:           4
        .value_kind:     hidden_block_count_y
      - .offset:         88
        .size:           4
        .value_kind:     hidden_block_count_z
      - .offset:         92
        .size:           2
        .value_kind:     hidden_group_size_x
      - .offset:         94
        .size:           2
        .value_kind:     hidden_group_size_y
      - .offset:         96
        .size:           2
        .value_kind:     hidden_group_size_z
      - .offset:         98
        .size:           2
        .value_kind:     hidden_remainder_x
      - .offset:         100
        .size:           2
        .value_kind:     hidden_remainder_y
      - .offset:         102
        .size:           2
        .value_kind:     hidden_remainder_z
      - .offset:         120
        .size:           8
        .value_kind:     hidden_global_offset_x
      - .offset:         128
        .size:           8
        .value_kind:     hidden_global_offset_y
      - .offset:         136
        .size:           8
        .value_kind:     hidden_global_offset_z
      - .offset:         144
        .size:           2
        .value_kind:     hidden_grid_dims
    .group_segment_fixed_size: 0
    .kernarg_segment_align: 8
    .kernarg_segment_size: 336
    .language:       OpenCL C
    .language_version:
      - 2
      - 0
    .max_flat_workgroup_size: 256
    .name:           _ZN9rocsparseL21csrmvn_general_kernelILj256ELj4Elif21rocsparse_complex_numIfES2_S2_EEvbT2_NS_24const_host_device_scalarIT6_EEPKT1_S9_PKS3_PKT3_PKT4_S6_PT5_21rocsparse_index_base_b
    .private_segment_fixed_size: 0
    .sgpr_count:     28
    .sgpr_spill_count: 0
    .symbol:         _ZN9rocsparseL21csrmvn_general_kernelILj256ELj4Elif21rocsparse_complex_numIfES2_S2_EEvbT2_NS_24const_host_device_scalarIT6_EEPKT1_S9_PKS3_PKT3_PKT4_S6_PT5_21rocsparse_index_base_b.kd
    .uniform_work_group_size: 1
    .uses_dynamic_stack: false
    .vgpr_count:     32
    .vgpr_spill_count: 0
    .wavefront_size: 64
  - .agpr_count:     0
    .args:
      - .offset:         0
        .size:           1
        .value_kind:     by_value
      - .offset:         4
        .size:           4
        .value_kind:     by_value
      - .offset:         8
        .size:           8
        .value_kind:     by_value
      - .address_space:  global
        .offset:         16
        .size:           8
        .value_kind:     global_buffer
      - .address_space:  global
        .offset:         24
        .size:           8
        .value_kind:     global_buffer
      - .actual_access:  read_only
        .address_space:  global
        .offset:         32
        .size:           8
        .value_kind:     global_buffer
      - .actual_access:  read_only
        .address_space:  global
        .offset:         40
        .size:           8
        .value_kind:     global_buffer
      - .actual_access:  read_only
        .address_space:  global
        .offset:         48
        .size:           8
        .value_kind:     global_buffer
      - .offset:         56
        .size:           8
        .value_kind:     by_value
      - .address_space:  global
        .offset:         64
        .size:           8
        .value_kind:     global_buffer
      - .offset:         72
        .size:           4
        .value_kind:     by_value
      - .offset:         76
        .size:           1
        .value_kind:     by_value
      - .offset:         80
        .size:           4
        .value_kind:     hidden_block_count_x
      - .offset:         84
        .size:           4
        .value_kind:     hidden_block_count_y
      - .offset:         88
        .size:           4
        .value_kind:     hidden_block_count_z
      - .offset:         92
        .size:           2
        .value_kind:     hidden_group_size_x
      - .offset:         94
        .size:           2
        .value_kind:     hidden_group_size_y
      - .offset:         96
        .size:           2
        .value_kind:     hidden_group_size_z
      - .offset:         98
        .size:           2
        .value_kind:     hidden_remainder_x
      - .offset:         100
        .size:           2
        .value_kind:     hidden_remainder_y
      - .offset:         102
        .size:           2
        .value_kind:     hidden_remainder_z
      - .offset:         120
        .size:           8
        .value_kind:     hidden_global_offset_x
      - .offset:         128
        .size:           8
        .value_kind:     hidden_global_offset_y
      - .offset:         136
        .size:           8
        .value_kind:     hidden_global_offset_z
      - .offset:         144
        .size:           2
        .value_kind:     hidden_grid_dims
    .group_segment_fixed_size: 0
    .kernarg_segment_align: 8
    .kernarg_segment_size: 336
    .language:       OpenCL C
    .language_version:
      - 2
      - 0
    .max_flat_workgroup_size: 256
    .name:           _ZN9rocsparseL21csrmvn_general_kernelILj256ELj8Elif21rocsparse_complex_numIfES2_S2_EEvbT2_NS_24const_host_device_scalarIT6_EEPKT1_S9_PKS3_PKT3_PKT4_S6_PT5_21rocsparse_index_base_b
    .private_segment_fixed_size: 0
    .sgpr_count:     28
    .sgpr_spill_count: 0
    .symbol:         _ZN9rocsparseL21csrmvn_general_kernelILj256ELj8Elif21rocsparse_complex_numIfES2_S2_EEvbT2_NS_24const_host_device_scalarIT6_EEPKT1_S9_PKS3_PKT3_PKT4_S6_PT5_21rocsparse_index_base_b.kd
    .uniform_work_group_size: 1
    .uses_dynamic_stack: false
    .vgpr_count:     32
    .vgpr_spill_count: 0
    .wavefront_size: 64
  - .agpr_count:     0
    .args:
      - .offset:         0
        .size:           1
        .value_kind:     by_value
      - .offset:         4
        .size:           4
        .value_kind:     by_value
      - .offset:         8
        .size:           8
        .value_kind:     by_value
      - .address_space:  global
        .offset:         16
        .size:           8
        .value_kind:     global_buffer
      - .address_space:  global
        .offset:         24
        .size:           8
        .value_kind:     global_buffer
      - .actual_access:  read_only
        .address_space:  global
        .offset:         32
        .size:           8
        .value_kind:     global_buffer
      - .actual_access:  read_only
        .address_space:  global
        .offset:         40
        .size:           8
        .value_kind:     global_buffer
      - .actual_access:  read_only
        .address_space:  global
        .offset:         48
        .size:           8
        .value_kind:     global_buffer
      - .offset:         56
        .size:           8
        .value_kind:     by_value
      - .address_space:  global
        .offset:         64
        .size:           8
        .value_kind:     global_buffer
      - .offset:         72
        .size:           4
        .value_kind:     by_value
      - .offset:         76
        .size:           1
        .value_kind:     by_value
      - .offset:         80
        .size:           4
        .value_kind:     hidden_block_count_x
      - .offset:         84
        .size:           4
        .value_kind:     hidden_block_count_y
      - .offset:         88
        .size:           4
        .value_kind:     hidden_block_count_z
      - .offset:         92
        .size:           2
        .value_kind:     hidden_group_size_x
      - .offset:         94
        .size:           2
        .value_kind:     hidden_group_size_y
      - .offset:         96
        .size:           2
        .value_kind:     hidden_group_size_z
      - .offset:         98
        .size:           2
        .value_kind:     hidden_remainder_x
      - .offset:         100
        .size:           2
        .value_kind:     hidden_remainder_y
      - .offset:         102
        .size:           2
        .value_kind:     hidden_remainder_z
      - .offset:         120
        .size:           8
        .value_kind:     hidden_global_offset_x
      - .offset:         128
        .size:           8
        .value_kind:     hidden_global_offset_y
      - .offset:         136
        .size:           8
        .value_kind:     hidden_global_offset_z
      - .offset:         144
        .size:           2
        .value_kind:     hidden_grid_dims
    .group_segment_fixed_size: 0
    .kernarg_segment_align: 8
    .kernarg_segment_size: 336
    .language:       OpenCL C
    .language_version:
      - 2
      - 0
    .max_flat_workgroup_size: 256
    .name:           _ZN9rocsparseL21csrmvn_general_kernelILj256ELj16Elif21rocsparse_complex_numIfES2_S2_EEvbT2_NS_24const_host_device_scalarIT6_EEPKT1_S9_PKS3_PKT3_PKT4_S6_PT5_21rocsparse_index_base_b
    .private_segment_fixed_size: 0
    .sgpr_count:     28
    .sgpr_spill_count: 0
    .symbol:         _ZN9rocsparseL21csrmvn_general_kernelILj256ELj16Elif21rocsparse_complex_numIfES2_S2_EEvbT2_NS_24const_host_device_scalarIT6_EEPKT1_S9_PKS3_PKT3_PKT4_S6_PT5_21rocsparse_index_base_b.kd
    .uniform_work_group_size: 1
    .uses_dynamic_stack: false
    .vgpr_count:     32
    .vgpr_spill_count: 0
    .wavefront_size: 64
  - .agpr_count:     0
    .args:
      - .offset:         0
        .size:           1
        .value_kind:     by_value
      - .offset:         4
        .size:           4
        .value_kind:     by_value
      - .offset:         8
        .size:           8
        .value_kind:     by_value
      - .address_space:  global
        .offset:         16
        .size:           8
        .value_kind:     global_buffer
      - .address_space:  global
        .offset:         24
        .size:           8
        .value_kind:     global_buffer
      - .actual_access:  read_only
        .address_space:  global
        .offset:         32
        .size:           8
        .value_kind:     global_buffer
      - .actual_access:  read_only
        .address_space:  global
        .offset:         40
        .size:           8
        .value_kind:     global_buffer
      - .actual_access:  read_only
        .address_space:  global
        .offset:         48
        .size:           8
        .value_kind:     global_buffer
      - .offset:         56
        .size:           8
        .value_kind:     by_value
      - .address_space:  global
        .offset:         64
        .size:           8
        .value_kind:     global_buffer
      - .offset:         72
        .size:           4
        .value_kind:     by_value
      - .offset:         76
        .size:           1
        .value_kind:     by_value
      - .offset:         80
        .size:           4
        .value_kind:     hidden_block_count_x
      - .offset:         84
        .size:           4
        .value_kind:     hidden_block_count_y
      - .offset:         88
        .size:           4
        .value_kind:     hidden_block_count_z
      - .offset:         92
        .size:           2
        .value_kind:     hidden_group_size_x
      - .offset:         94
        .size:           2
        .value_kind:     hidden_group_size_y
      - .offset:         96
        .size:           2
        .value_kind:     hidden_group_size_z
      - .offset:         98
        .size:           2
        .value_kind:     hidden_remainder_x
      - .offset:         100
        .size:           2
        .value_kind:     hidden_remainder_y
      - .offset:         102
        .size:           2
        .value_kind:     hidden_remainder_z
      - .offset:         120
        .size:           8
        .value_kind:     hidden_global_offset_x
      - .offset:         128
        .size:           8
        .value_kind:     hidden_global_offset_y
      - .offset:         136
        .size:           8
        .value_kind:     hidden_global_offset_z
      - .offset:         144
        .size:           2
        .value_kind:     hidden_grid_dims
    .group_segment_fixed_size: 0
    .kernarg_segment_align: 8
    .kernarg_segment_size: 336
    .language:       OpenCL C
    .language_version:
      - 2
      - 0
    .max_flat_workgroup_size: 256
    .name:           _ZN9rocsparseL21csrmvn_general_kernelILj256ELj32Elif21rocsparse_complex_numIfES2_S2_EEvbT2_NS_24const_host_device_scalarIT6_EEPKT1_S9_PKS3_PKT3_PKT4_S6_PT5_21rocsparse_index_base_b
    .private_segment_fixed_size: 0
    .sgpr_count:     30
    .sgpr_spill_count: 0
    .symbol:         _ZN9rocsparseL21csrmvn_general_kernelILj256ELj32Elif21rocsparse_complex_numIfES2_S2_EEvbT2_NS_24const_host_device_scalarIT6_EEPKT1_S9_PKS3_PKT3_PKT4_S6_PT5_21rocsparse_index_base_b.kd
    .uniform_work_group_size: 1
    .uses_dynamic_stack: false
    .vgpr_count:     32
    .vgpr_spill_count: 0
    .wavefront_size: 64
  - .agpr_count:     0
    .args:
      - .offset:         0
        .size:           1
        .value_kind:     by_value
      - .offset:         4
        .size:           4
        .value_kind:     by_value
      - .offset:         8
        .size:           8
        .value_kind:     by_value
      - .address_space:  global
        .offset:         16
        .size:           8
        .value_kind:     global_buffer
      - .address_space:  global
        .offset:         24
        .size:           8
        .value_kind:     global_buffer
      - .actual_access:  read_only
        .address_space:  global
        .offset:         32
        .size:           8
        .value_kind:     global_buffer
      - .actual_access:  read_only
        .address_space:  global
        .offset:         40
        .size:           8
        .value_kind:     global_buffer
      - .actual_access:  read_only
        .address_space:  global
        .offset:         48
        .size:           8
        .value_kind:     global_buffer
      - .offset:         56
        .size:           8
        .value_kind:     by_value
      - .address_space:  global
        .offset:         64
        .size:           8
        .value_kind:     global_buffer
      - .offset:         72
        .size:           4
        .value_kind:     by_value
      - .offset:         76
        .size:           1
        .value_kind:     by_value
      - .offset:         80
        .size:           4
        .value_kind:     hidden_block_count_x
      - .offset:         84
        .size:           4
        .value_kind:     hidden_block_count_y
      - .offset:         88
        .size:           4
        .value_kind:     hidden_block_count_z
      - .offset:         92
        .size:           2
        .value_kind:     hidden_group_size_x
      - .offset:         94
        .size:           2
        .value_kind:     hidden_group_size_y
      - .offset:         96
        .size:           2
        .value_kind:     hidden_group_size_z
      - .offset:         98
        .size:           2
        .value_kind:     hidden_remainder_x
      - .offset:         100
        .size:           2
        .value_kind:     hidden_remainder_y
      - .offset:         102
        .size:           2
        .value_kind:     hidden_remainder_z
      - .offset:         120
        .size:           8
        .value_kind:     hidden_global_offset_x
      - .offset:         128
        .size:           8
        .value_kind:     hidden_global_offset_y
      - .offset:         136
        .size:           8
        .value_kind:     hidden_global_offset_z
      - .offset:         144
        .size:           2
        .value_kind:     hidden_grid_dims
    .group_segment_fixed_size: 0
    .kernarg_segment_align: 8
    .kernarg_segment_size: 336
    .language:       OpenCL C
    .language_version:
      - 2
      - 0
    .max_flat_workgroup_size: 256
    .name:           _ZN9rocsparseL21csrmvn_general_kernelILj256ELj64Elif21rocsparse_complex_numIfES2_S2_EEvbT2_NS_24const_host_device_scalarIT6_EEPKT1_S9_PKS3_PKT3_PKT4_S6_PT5_21rocsparse_index_base_b
    .private_segment_fixed_size: 0
    .sgpr_count:     30
    .sgpr_spill_count: 0
    .symbol:         _ZN9rocsparseL21csrmvn_general_kernelILj256ELj64Elif21rocsparse_complex_numIfES2_S2_EEvbT2_NS_24const_host_device_scalarIT6_EEPKT1_S9_PKS3_PKT3_PKT4_S6_PT5_21rocsparse_index_base_b.kd
    .uniform_work_group_size: 1
    .uses_dynamic_stack: false
    .vgpr_count:     32
    .vgpr_spill_count: 0
    .wavefront_size: 64
  - .agpr_count:     0
    .args:
      - .offset:         0
        .size:           1
        .value_kind:     by_value
      - .offset:         1
        .size:           1
        .value_kind:     by_value
      - .offset:         4
        .size:           4
        .value_kind:     by_value
      - .offset:         8
        .size:           8
        .value_kind:     by_value
      - .address_space:  global
        .offset:         16
        .size:           8
        .value_kind:     global_buffer
      - .address_space:  global
        .offset:         24
        .size:           8
        .value_kind:     global_buffer
      - .actual_access:  read_only
        .address_space:  global
        .offset:         32
        .size:           8
        .value_kind:     global_buffer
      - .actual_access:  read_only
        .address_space:  global
        .offset:         40
        .size:           8
        .value_kind:     global_buffer
      - .actual_access:  read_only
        .address_space:  global
        .offset:         48
        .size:           8
        .value_kind:     global_buffer
      - .address_space:  global
        .offset:         56
        .size:           8
        .value_kind:     global_buffer
      - .offset:         64
        .size:           4
        .value_kind:     by_value
      - .offset:         68
        .size:           1
        .value_kind:     by_value
      - .offset:         72
        .size:           4
        .value_kind:     hidden_block_count_x
      - .offset:         76
        .size:           4
        .value_kind:     hidden_block_count_y
      - .offset:         80
        .size:           4
        .value_kind:     hidden_block_count_z
      - .offset:         84
        .size:           2
        .value_kind:     hidden_group_size_x
      - .offset:         86
        .size:           2
        .value_kind:     hidden_group_size_y
      - .offset:         88
        .size:           2
        .value_kind:     hidden_group_size_z
      - .offset:         90
        .size:           2
        .value_kind:     hidden_remainder_x
      - .offset:         92
        .size:           2
        .value_kind:     hidden_remainder_y
      - .offset:         94
        .size:           2
        .value_kind:     hidden_remainder_z
      - .offset:         112
        .size:           8
        .value_kind:     hidden_global_offset_x
      - .offset:         120
        .size:           8
        .value_kind:     hidden_global_offset_y
      - .offset:         128
        .size:           8
        .value_kind:     hidden_global_offset_z
      - .offset:         136
        .size:           2
        .value_kind:     hidden_grid_dims
    .group_segment_fixed_size: 0
    .kernarg_segment_align: 8
    .kernarg_segment_size: 328
    .language:       OpenCL C
    .language_version:
      - 2
      - 0
    .max_flat_workgroup_size: 256
    .name:           _ZN9rocsparseL21csrmvt_general_kernelILj256ELj4Elif21rocsparse_complex_numIfES2_S2_EEvbbT2_NS_24const_host_device_scalarIT6_EEPKT1_S9_PKS3_PKT3_PKT4_PT5_21rocsparse_index_base_b
    .private_segment_fixed_size: 0
    .sgpr_count:     32
    .sgpr_spill_count: 0
    .symbol:         _ZN9rocsparseL21csrmvt_general_kernelILj256ELj4Elif21rocsparse_complex_numIfES2_S2_EEvbbT2_NS_24const_host_device_scalarIT6_EEPKT1_S9_PKS3_PKT3_PKT4_PT5_21rocsparse_index_base_b.kd
    .uniform_work_group_size: 1
    .uses_dynamic_stack: false
    .vgpr_count:     24
    .vgpr_spill_count: 0
    .wavefront_size: 64
  - .agpr_count:     0
    .args:
      - .offset:         0
        .size:           1
        .value_kind:     by_value
      - .offset:         1
        .size:           1
        .value_kind:     by_value
      - .offset:         4
        .size:           4
        .value_kind:     by_value
      - .offset:         8
        .size:           8
        .value_kind:     by_value
      - .address_space:  global
        .offset:         16
        .size:           8
        .value_kind:     global_buffer
      - .address_space:  global
        .offset:         24
        .size:           8
        .value_kind:     global_buffer
      - .actual_access:  read_only
        .address_space:  global
        .offset:         32
        .size:           8
        .value_kind:     global_buffer
      - .actual_access:  read_only
        .address_space:  global
        .offset:         40
        .size:           8
        .value_kind:     global_buffer
      - .actual_access:  read_only
        .address_space:  global
        .offset:         48
        .size:           8
        .value_kind:     global_buffer
      - .address_space:  global
        .offset:         56
        .size:           8
        .value_kind:     global_buffer
      - .offset:         64
        .size:           4
        .value_kind:     by_value
      - .offset:         68
        .size:           1
        .value_kind:     by_value
      - .offset:         72
        .size:           4
        .value_kind:     hidden_block_count_x
      - .offset:         76
        .size:           4
        .value_kind:     hidden_block_count_y
      - .offset:         80
        .size:           4
        .value_kind:     hidden_block_count_z
      - .offset:         84
        .size:           2
        .value_kind:     hidden_group_size_x
      - .offset:         86
        .size:           2
        .value_kind:     hidden_group_size_y
      - .offset:         88
        .size:           2
        .value_kind:     hidden_group_size_z
      - .offset:         90
        .size:           2
        .value_kind:     hidden_remainder_x
      - .offset:         92
        .size:           2
        .value_kind:     hidden_remainder_y
      - .offset:         94
        .size:           2
        .value_kind:     hidden_remainder_z
      - .offset:         112
        .size:           8
        .value_kind:     hidden_global_offset_x
      - .offset:         120
        .size:           8
        .value_kind:     hidden_global_offset_y
      - .offset:         128
        .size:           8
        .value_kind:     hidden_global_offset_z
      - .offset:         136
        .size:           2
        .value_kind:     hidden_grid_dims
    .group_segment_fixed_size: 0
    .kernarg_segment_align: 8
    .kernarg_segment_size: 328
    .language:       OpenCL C
    .language_version:
      - 2
      - 0
    .max_flat_workgroup_size: 256
    .name:           _ZN9rocsparseL21csrmvt_general_kernelILj256ELj8Elif21rocsparse_complex_numIfES2_S2_EEvbbT2_NS_24const_host_device_scalarIT6_EEPKT1_S9_PKS3_PKT3_PKT4_PT5_21rocsparse_index_base_b
    .private_segment_fixed_size: 0
    .sgpr_count:     32
    .sgpr_spill_count: 0
    .symbol:         _ZN9rocsparseL21csrmvt_general_kernelILj256ELj8Elif21rocsparse_complex_numIfES2_S2_EEvbbT2_NS_24const_host_device_scalarIT6_EEPKT1_S9_PKS3_PKT3_PKT4_PT5_21rocsparse_index_base_b.kd
    .uniform_work_group_size: 1
    .uses_dynamic_stack: false
    .vgpr_count:     24
    .vgpr_spill_count: 0
    .wavefront_size: 64
  - .agpr_count:     0
    .args:
      - .offset:         0
        .size:           1
        .value_kind:     by_value
      - .offset:         1
        .size:           1
        .value_kind:     by_value
      - .offset:         4
        .size:           4
        .value_kind:     by_value
      - .offset:         8
        .size:           8
        .value_kind:     by_value
      - .address_space:  global
        .offset:         16
        .size:           8
        .value_kind:     global_buffer
      - .address_space:  global
        .offset:         24
        .size:           8
        .value_kind:     global_buffer
      - .actual_access:  read_only
        .address_space:  global
        .offset:         32
        .size:           8
        .value_kind:     global_buffer
      - .actual_access:  read_only
        .address_space:  global
        .offset:         40
        .size:           8
        .value_kind:     global_buffer
      - .actual_access:  read_only
        .address_space:  global
        .offset:         48
        .size:           8
        .value_kind:     global_buffer
      - .address_space:  global
        .offset:         56
        .size:           8
        .value_kind:     global_buffer
      - .offset:         64
        .size:           4
        .value_kind:     by_value
      - .offset:         68
        .size:           1
        .value_kind:     by_value
      - .offset:         72
        .size:           4
        .value_kind:     hidden_block_count_x
      - .offset:         76
        .size:           4
        .value_kind:     hidden_block_count_y
      - .offset:         80
        .size:           4
        .value_kind:     hidden_block_count_z
      - .offset:         84
        .size:           2
        .value_kind:     hidden_group_size_x
      - .offset:         86
        .size:           2
        .value_kind:     hidden_group_size_y
      - .offset:         88
        .size:           2
        .value_kind:     hidden_group_size_z
      - .offset:         90
        .size:           2
        .value_kind:     hidden_remainder_x
      - .offset:         92
        .size:           2
        .value_kind:     hidden_remainder_y
      - .offset:         94
        .size:           2
        .value_kind:     hidden_remainder_z
      - .offset:         112
        .size:           8
        .value_kind:     hidden_global_offset_x
      - .offset:         120
        .size:           8
        .value_kind:     hidden_global_offset_y
      - .offset:         128
        .size:           8
        .value_kind:     hidden_global_offset_z
      - .offset:         136
        .size:           2
        .value_kind:     hidden_grid_dims
    .group_segment_fixed_size: 0
    .kernarg_segment_align: 8
    .kernarg_segment_size: 328
    .language:       OpenCL C
    .language_version:
      - 2
      - 0
    .max_flat_workgroup_size: 256
    .name:           _ZN9rocsparseL21csrmvt_general_kernelILj256ELj16Elif21rocsparse_complex_numIfES2_S2_EEvbbT2_NS_24const_host_device_scalarIT6_EEPKT1_S9_PKS3_PKT3_PKT4_PT5_21rocsparse_index_base_b
    .private_segment_fixed_size: 0
    .sgpr_count:     32
    .sgpr_spill_count: 0
    .symbol:         _ZN9rocsparseL21csrmvt_general_kernelILj256ELj16Elif21rocsparse_complex_numIfES2_S2_EEvbbT2_NS_24const_host_device_scalarIT6_EEPKT1_S9_PKS3_PKT3_PKT4_PT5_21rocsparse_index_base_b.kd
    .uniform_work_group_size: 1
    .uses_dynamic_stack: false
    .vgpr_count:     24
    .vgpr_spill_count: 0
    .wavefront_size: 64
  - .agpr_count:     0
    .args:
      - .offset:         0
        .size:           1
        .value_kind:     by_value
      - .offset:         1
        .size:           1
        .value_kind:     by_value
      - .offset:         4
        .size:           4
        .value_kind:     by_value
      - .offset:         8
        .size:           8
        .value_kind:     by_value
      - .address_space:  global
        .offset:         16
        .size:           8
        .value_kind:     global_buffer
      - .address_space:  global
        .offset:         24
        .size:           8
        .value_kind:     global_buffer
      - .actual_access:  read_only
        .address_space:  global
        .offset:         32
        .size:           8
        .value_kind:     global_buffer
      - .actual_access:  read_only
        .address_space:  global
        .offset:         40
        .size:           8
        .value_kind:     global_buffer
      - .actual_access:  read_only
        .address_space:  global
        .offset:         48
        .size:           8
        .value_kind:     global_buffer
      - .address_space:  global
        .offset:         56
        .size:           8
        .value_kind:     global_buffer
      - .offset:         64
        .size:           4
        .value_kind:     by_value
      - .offset:         68
        .size:           1
        .value_kind:     by_value
      - .offset:         72
        .size:           4
        .value_kind:     hidden_block_count_x
      - .offset:         76
        .size:           4
        .value_kind:     hidden_block_count_y
      - .offset:         80
        .size:           4
        .value_kind:     hidden_block_count_z
      - .offset:         84
        .size:           2
        .value_kind:     hidden_group_size_x
      - .offset:         86
        .size:           2
        .value_kind:     hidden_group_size_y
      - .offset:         88
        .size:           2
        .value_kind:     hidden_group_size_z
      - .offset:         90
        .size:           2
        .value_kind:     hidden_remainder_x
      - .offset:         92
        .size:           2
        .value_kind:     hidden_remainder_y
      - .offset:         94
        .size:           2
        .value_kind:     hidden_remainder_z
      - .offset:         112
        .size:           8
        .value_kind:     hidden_global_offset_x
      - .offset:         120
        .size:           8
        .value_kind:     hidden_global_offset_y
      - .offset:         128
        .size:           8
        .value_kind:     hidden_global_offset_z
      - .offset:         136
        .size:           2
        .value_kind:     hidden_grid_dims
    .group_segment_fixed_size: 0
    .kernarg_segment_align: 8
    .kernarg_segment_size: 328
    .language:       OpenCL C
    .language_version:
      - 2
      - 0
    .max_flat_workgroup_size: 256
    .name:           _ZN9rocsparseL21csrmvt_general_kernelILj256ELj32Elif21rocsparse_complex_numIfES2_S2_EEvbbT2_NS_24const_host_device_scalarIT6_EEPKT1_S9_PKS3_PKT3_PKT4_PT5_21rocsparse_index_base_b
    .private_segment_fixed_size: 0
    .sgpr_count:     32
    .sgpr_spill_count: 0
    .symbol:         _ZN9rocsparseL21csrmvt_general_kernelILj256ELj32Elif21rocsparse_complex_numIfES2_S2_EEvbbT2_NS_24const_host_device_scalarIT6_EEPKT1_S9_PKS3_PKT3_PKT4_PT5_21rocsparse_index_base_b.kd
    .uniform_work_group_size: 1
    .uses_dynamic_stack: false
    .vgpr_count:     24
    .vgpr_spill_count: 0
    .wavefront_size: 64
  - .agpr_count:     0
    .args:
      - .offset:         0
        .size:           1
        .value_kind:     by_value
      - .offset:         1
        .size:           1
        .value_kind:     by_value
      - .offset:         4
        .size:           4
        .value_kind:     by_value
      - .offset:         8
        .size:           8
        .value_kind:     by_value
      - .address_space:  global
        .offset:         16
        .size:           8
        .value_kind:     global_buffer
      - .address_space:  global
        .offset:         24
        .size:           8
        .value_kind:     global_buffer
      - .actual_access:  read_only
        .address_space:  global
        .offset:         32
        .size:           8
        .value_kind:     global_buffer
      - .actual_access:  read_only
        .address_space:  global
        .offset:         40
        .size:           8
        .value_kind:     global_buffer
      - .actual_access:  read_only
        .address_space:  global
        .offset:         48
        .size:           8
        .value_kind:     global_buffer
      - .address_space:  global
        .offset:         56
        .size:           8
        .value_kind:     global_buffer
      - .offset:         64
        .size:           4
        .value_kind:     by_value
      - .offset:         68
        .size:           1
        .value_kind:     by_value
      - .offset:         72
        .size:           4
        .value_kind:     hidden_block_count_x
      - .offset:         76
        .size:           4
        .value_kind:     hidden_block_count_y
      - .offset:         80
        .size:           4
        .value_kind:     hidden_block_count_z
      - .offset:         84
        .size:           2
        .value_kind:     hidden_group_size_x
      - .offset:         86
        .size:           2
        .value_kind:     hidden_group_size_y
      - .offset:         88
        .size:           2
        .value_kind:     hidden_group_size_z
      - .offset:         90
        .size:           2
        .value_kind:     hidden_remainder_x
      - .offset:         92
        .size:           2
        .value_kind:     hidden_remainder_y
      - .offset:         94
        .size:           2
        .value_kind:     hidden_remainder_z
      - .offset:         112
        .size:           8
        .value_kind:     hidden_global_offset_x
      - .offset:         120
        .size:           8
        .value_kind:     hidden_global_offset_y
      - .offset:         128
        .size:           8
        .value_kind:     hidden_global_offset_z
      - .offset:         136
        .size:           2
        .value_kind:     hidden_grid_dims
    .group_segment_fixed_size: 0
    .kernarg_segment_align: 8
    .kernarg_segment_size: 328
    .language:       OpenCL C
    .language_version:
      - 2
      - 0
    .max_flat_workgroup_size: 256
    .name:           _ZN9rocsparseL21csrmvt_general_kernelILj256ELj64Elif21rocsparse_complex_numIfES2_S2_EEvbbT2_NS_24const_host_device_scalarIT6_EEPKT1_S9_PKS3_PKT3_PKT4_PT5_21rocsparse_index_base_b
    .private_segment_fixed_size: 0
    .sgpr_count:     32
    .sgpr_spill_count: 0
    .symbol:         _ZN9rocsparseL21csrmvt_general_kernelILj256ELj64Elif21rocsparse_complex_numIfES2_S2_EEvbbT2_NS_24const_host_device_scalarIT6_EEPKT1_S9_PKS3_PKT3_PKT4_PT5_21rocsparse_index_base_b.kd
    .uniform_work_group_size: 1
    .uses_dynamic_stack: false
    .vgpr_count:     24
    .vgpr_spill_count: 0
    .wavefront_size: 64
  - .agpr_count:     0
    .args:
      - .offset:         0
        .size:           1
        .value_kind:     by_value
      - .offset:         8
        .size:           8
        .value_kind:     by_value
      - .offset:         16
        .size:           8
        .value_kind:     by_value
      - .address_space:  global
        .offset:         24
        .size:           8
        .value_kind:     global_buffer
      - .address_space:  global
        .offset:         32
        .size:           8
        .value_kind:     global_buffer
      - .actual_access:  read_only
        .address_space:  global
        .offset:         40
        .size:           8
        .value_kind:     global_buffer
      - .actual_access:  read_only
        .address_space:  global
        .offset:         48
        .size:           8
        .value_kind:     global_buffer
      - .actual_access:  read_only
        .address_space:  global
        .offset:         56
        .size:           8
        .value_kind:     global_buffer
      - .offset:         64
        .size:           8
        .value_kind:     by_value
      - .address_space:  global
        .offset:         72
        .size:           8
        .value_kind:     global_buffer
      - .offset:         80
        .size:           4
        .value_kind:     by_value
      - .offset:         84
        .size:           1
        .value_kind:     by_value
      - .offset:         88
        .size:           4
        .value_kind:     hidden_block_count_x
      - .offset:         92
        .size:           4
        .value_kind:     hidden_block_count_y
      - .offset:         96
        .size:           4
        .value_kind:     hidden_block_count_z
      - .offset:         100
        .size:           2
        .value_kind:     hidden_group_size_x
      - .offset:         102
        .size:           2
        .value_kind:     hidden_group_size_y
      - .offset:         104
        .size:           2
        .value_kind:     hidden_group_size_z
      - .offset:         106
        .size:           2
        .value_kind:     hidden_remainder_x
      - .offset:         108
        .size:           2
        .value_kind:     hidden_remainder_y
      - .offset:         110
        .size:           2
        .value_kind:     hidden_remainder_z
      - .offset:         128
        .size:           8
        .value_kind:     hidden_global_offset_x
      - .offset:         136
        .size:           8
        .value_kind:     hidden_global_offset_y
      - .offset:         144
        .size:           8
        .value_kind:     hidden_global_offset_z
      - .offset:         152
        .size:           2
        .value_kind:     hidden_grid_dims
    .group_segment_fixed_size: 0
    .kernarg_segment_align: 8
    .kernarg_segment_size: 344
    .language:       OpenCL C
    .language_version:
      - 2
      - 0
    .max_flat_workgroup_size: 256
    .name:           _ZN9rocsparseL21csrmvn_general_kernelILj256ELj2Ellf21rocsparse_complex_numIfES2_S2_EEvbT2_NS_24const_host_device_scalarIT6_EEPKT1_S9_PKS3_PKT3_PKT4_S6_PT5_21rocsparse_index_base_b
    .private_segment_fixed_size: 0
    .sgpr_count:     30
    .sgpr_spill_count: 0
    .symbol:         _ZN9rocsparseL21csrmvn_general_kernelILj256ELj2Ellf21rocsparse_complex_numIfES2_S2_EEvbT2_NS_24const_host_device_scalarIT6_EEPKT1_S9_PKS3_PKT3_PKT4_S6_PT5_21rocsparse_index_base_b.kd
    .uniform_work_group_size: 1
    .uses_dynamic_stack: false
    .vgpr_count:     32
    .vgpr_spill_count: 0
    .wavefront_size: 64
  - .agpr_count:     0
    .args:
      - .offset:         0
        .size:           1
        .value_kind:     by_value
      - .offset:         8
        .size:           8
        .value_kind:     by_value
      - .offset:         16
        .size:           8
        .value_kind:     by_value
      - .address_space:  global
        .offset:         24
        .size:           8
        .value_kind:     global_buffer
      - .address_space:  global
        .offset:         32
        .size:           8
        .value_kind:     global_buffer
      - .actual_access:  read_only
        .address_space:  global
        .offset:         40
        .size:           8
        .value_kind:     global_buffer
      - .actual_access:  read_only
        .address_space:  global
        .offset:         48
        .size:           8
        .value_kind:     global_buffer
      - .actual_access:  read_only
        .address_space:  global
        .offset:         56
        .size:           8
        .value_kind:     global_buffer
      - .offset:         64
        .size:           8
        .value_kind:     by_value
      - .address_space:  global
        .offset:         72
        .size:           8
        .value_kind:     global_buffer
      - .offset:         80
        .size:           4
        .value_kind:     by_value
      - .offset:         84
        .size:           1
        .value_kind:     by_value
      - .offset:         88
        .size:           4
        .value_kind:     hidden_block_count_x
      - .offset:         92
        .size:           4
        .value_kind:     hidden_block_count_y
      - .offset:         96
        .size:           4
        .value_kind:     hidden_block_count_z
      - .offset:         100
        .size:           2
        .value_kind:     hidden_group_size_x
      - .offset:         102
        .size:           2
        .value_kind:     hidden_group_size_y
      - .offset:         104
        .size:           2
        .value_kind:     hidden_group_size_z
      - .offset:         106
        .size:           2
        .value_kind:     hidden_remainder_x
      - .offset:         108
        .size:           2
        .value_kind:     hidden_remainder_y
      - .offset:         110
        .size:           2
        .value_kind:     hidden_remainder_z
      - .offset:         128
        .size:           8
        .value_kind:     hidden_global_offset_x
      - .offset:         136
        .size:           8
        .value_kind:     hidden_global_offset_y
      - .offset:         144
        .size:           8
        .value_kind:     hidden_global_offset_z
      - .offset:         152
        .size:           2
        .value_kind:     hidden_grid_dims
    .group_segment_fixed_size: 0
    .kernarg_segment_align: 8
    .kernarg_segment_size: 344
    .language:       OpenCL C
    .language_version:
      - 2
      - 0
    .max_flat_workgroup_size: 256
    .name:           _ZN9rocsparseL21csrmvn_general_kernelILj256ELj4Ellf21rocsparse_complex_numIfES2_S2_EEvbT2_NS_24const_host_device_scalarIT6_EEPKT1_S9_PKS3_PKT3_PKT4_S6_PT5_21rocsparse_index_base_b
    .private_segment_fixed_size: 0
    .sgpr_count:     30
    .sgpr_spill_count: 0
    .symbol:         _ZN9rocsparseL21csrmvn_general_kernelILj256ELj4Ellf21rocsparse_complex_numIfES2_S2_EEvbT2_NS_24const_host_device_scalarIT6_EEPKT1_S9_PKS3_PKT3_PKT4_S6_PT5_21rocsparse_index_base_b.kd
    .uniform_work_group_size: 1
    .uses_dynamic_stack: false
    .vgpr_count:     32
    .vgpr_spill_count: 0
    .wavefront_size: 64
  - .agpr_count:     0
    .args:
      - .offset:         0
        .size:           1
        .value_kind:     by_value
      - .offset:         8
        .size:           8
        .value_kind:     by_value
      - .offset:         16
        .size:           8
        .value_kind:     by_value
      - .address_space:  global
        .offset:         24
        .size:           8
        .value_kind:     global_buffer
      - .address_space:  global
        .offset:         32
        .size:           8
        .value_kind:     global_buffer
      - .actual_access:  read_only
        .address_space:  global
        .offset:         40
        .size:           8
        .value_kind:     global_buffer
      - .actual_access:  read_only
        .address_space:  global
        .offset:         48
        .size:           8
        .value_kind:     global_buffer
      - .actual_access:  read_only
        .address_space:  global
        .offset:         56
        .size:           8
        .value_kind:     global_buffer
      - .offset:         64
        .size:           8
        .value_kind:     by_value
      - .address_space:  global
        .offset:         72
        .size:           8
        .value_kind:     global_buffer
      - .offset:         80
        .size:           4
        .value_kind:     by_value
      - .offset:         84
        .size:           1
        .value_kind:     by_value
      - .offset:         88
        .size:           4
        .value_kind:     hidden_block_count_x
      - .offset:         92
        .size:           4
        .value_kind:     hidden_block_count_y
      - .offset:         96
        .size:           4
        .value_kind:     hidden_block_count_z
      - .offset:         100
        .size:           2
        .value_kind:     hidden_group_size_x
      - .offset:         102
        .size:           2
        .value_kind:     hidden_group_size_y
      - .offset:         104
        .size:           2
        .value_kind:     hidden_group_size_z
      - .offset:         106
        .size:           2
        .value_kind:     hidden_remainder_x
      - .offset:         108
        .size:           2
        .value_kind:     hidden_remainder_y
      - .offset:         110
        .size:           2
        .value_kind:     hidden_remainder_z
      - .offset:         128
        .size:           8
        .value_kind:     hidden_global_offset_x
      - .offset:         136
        .size:           8
        .value_kind:     hidden_global_offset_y
      - .offset:         144
        .size:           8
        .value_kind:     hidden_global_offset_z
      - .offset:         152
        .size:           2
        .value_kind:     hidden_grid_dims
    .group_segment_fixed_size: 0
    .kernarg_segment_align: 8
    .kernarg_segment_size: 344
    .language:       OpenCL C
    .language_version:
      - 2
      - 0
    .max_flat_workgroup_size: 256
    .name:           _ZN9rocsparseL21csrmvn_general_kernelILj256ELj8Ellf21rocsparse_complex_numIfES2_S2_EEvbT2_NS_24const_host_device_scalarIT6_EEPKT1_S9_PKS3_PKT3_PKT4_S6_PT5_21rocsparse_index_base_b
    .private_segment_fixed_size: 0
    .sgpr_count:     30
    .sgpr_spill_count: 0
    .symbol:         _ZN9rocsparseL21csrmvn_general_kernelILj256ELj8Ellf21rocsparse_complex_numIfES2_S2_EEvbT2_NS_24const_host_device_scalarIT6_EEPKT1_S9_PKS3_PKT3_PKT4_S6_PT5_21rocsparse_index_base_b.kd
    .uniform_work_group_size: 1
    .uses_dynamic_stack: false
    .vgpr_count:     32
    .vgpr_spill_count: 0
    .wavefront_size: 64
  - .agpr_count:     0
    .args:
      - .offset:         0
        .size:           1
        .value_kind:     by_value
      - .offset:         8
        .size:           8
        .value_kind:     by_value
      - .offset:         16
        .size:           8
        .value_kind:     by_value
      - .address_space:  global
        .offset:         24
        .size:           8
        .value_kind:     global_buffer
      - .address_space:  global
        .offset:         32
        .size:           8
        .value_kind:     global_buffer
      - .actual_access:  read_only
        .address_space:  global
        .offset:         40
        .size:           8
        .value_kind:     global_buffer
      - .actual_access:  read_only
        .address_space:  global
        .offset:         48
        .size:           8
        .value_kind:     global_buffer
      - .actual_access:  read_only
        .address_space:  global
        .offset:         56
        .size:           8
        .value_kind:     global_buffer
      - .offset:         64
        .size:           8
        .value_kind:     by_value
      - .address_space:  global
        .offset:         72
        .size:           8
        .value_kind:     global_buffer
      - .offset:         80
        .size:           4
        .value_kind:     by_value
      - .offset:         84
        .size:           1
        .value_kind:     by_value
      - .offset:         88
        .size:           4
        .value_kind:     hidden_block_count_x
      - .offset:         92
        .size:           4
        .value_kind:     hidden_block_count_y
      - .offset:         96
        .size:           4
        .value_kind:     hidden_block_count_z
      - .offset:         100
        .size:           2
        .value_kind:     hidden_group_size_x
      - .offset:         102
        .size:           2
        .value_kind:     hidden_group_size_y
      - .offset:         104
        .size:           2
        .value_kind:     hidden_group_size_z
      - .offset:         106
        .size:           2
        .value_kind:     hidden_remainder_x
      - .offset:         108
        .size:           2
        .value_kind:     hidden_remainder_y
      - .offset:         110
        .size:           2
        .value_kind:     hidden_remainder_z
      - .offset:         128
        .size:           8
        .value_kind:     hidden_global_offset_x
      - .offset:         136
        .size:           8
        .value_kind:     hidden_global_offset_y
      - .offset:         144
        .size:           8
        .value_kind:     hidden_global_offset_z
      - .offset:         152
        .size:           2
        .value_kind:     hidden_grid_dims
    .group_segment_fixed_size: 0
    .kernarg_segment_align: 8
    .kernarg_segment_size: 344
    .language:       OpenCL C
    .language_version:
      - 2
      - 0
    .max_flat_workgroup_size: 256
    .name:           _ZN9rocsparseL21csrmvn_general_kernelILj256ELj16Ellf21rocsparse_complex_numIfES2_S2_EEvbT2_NS_24const_host_device_scalarIT6_EEPKT1_S9_PKS3_PKT3_PKT4_S6_PT5_21rocsparse_index_base_b
    .private_segment_fixed_size: 0
    .sgpr_count:     30
    .sgpr_spill_count: 0
    .symbol:         _ZN9rocsparseL21csrmvn_general_kernelILj256ELj16Ellf21rocsparse_complex_numIfES2_S2_EEvbT2_NS_24const_host_device_scalarIT6_EEPKT1_S9_PKS3_PKT3_PKT4_S6_PT5_21rocsparse_index_base_b.kd
    .uniform_work_group_size: 1
    .uses_dynamic_stack: false
    .vgpr_count:     32
    .vgpr_spill_count: 0
    .wavefront_size: 64
  - .agpr_count:     0
    .args:
      - .offset:         0
        .size:           1
        .value_kind:     by_value
      - .offset:         8
        .size:           8
        .value_kind:     by_value
      - .offset:         16
        .size:           8
        .value_kind:     by_value
      - .address_space:  global
        .offset:         24
        .size:           8
        .value_kind:     global_buffer
      - .address_space:  global
        .offset:         32
        .size:           8
        .value_kind:     global_buffer
      - .actual_access:  read_only
        .address_space:  global
        .offset:         40
        .size:           8
        .value_kind:     global_buffer
      - .actual_access:  read_only
        .address_space:  global
        .offset:         48
        .size:           8
        .value_kind:     global_buffer
      - .actual_access:  read_only
        .address_space:  global
        .offset:         56
        .size:           8
        .value_kind:     global_buffer
      - .offset:         64
        .size:           8
        .value_kind:     by_value
      - .address_space:  global
        .offset:         72
        .size:           8
        .value_kind:     global_buffer
      - .offset:         80
        .size:           4
        .value_kind:     by_value
      - .offset:         84
        .size:           1
        .value_kind:     by_value
      - .offset:         88
        .size:           4
        .value_kind:     hidden_block_count_x
      - .offset:         92
        .size:           4
        .value_kind:     hidden_block_count_y
      - .offset:         96
        .size:           4
        .value_kind:     hidden_block_count_z
      - .offset:         100
        .size:           2
        .value_kind:     hidden_group_size_x
      - .offset:         102
        .size:           2
        .value_kind:     hidden_group_size_y
      - .offset:         104
        .size:           2
        .value_kind:     hidden_group_size_z
      - .offset:         106
        .size:           2
        .value_kind:     hidden_remainder_x
      - .offset:         108
        .size:           2
        .value_kind:     hidden_remainder_y
      - .offset:         110
        .size:           2
        .value_kind:     hidden_remainder_z
      - .offset:         128
        .size:           8
        .value_kind:     hidden_global_offset_x
      - .offset:         136
        .size:           8
        .value_kind:     hidden_global_offset_y
      - .offset:         144
        .size:           8
        .value_kind:     hidden_global_offset_z
      - .offset:         152
        .size:           2
        .value_kind:     hidden_grid_dims
    .group_segment_fixed_size: 0
    .kernarg_segment_align: 8
    .kernarg_segment_size: 344
    .language:       OpenCL C
    .language_version:
      - 2
      - 0
    .max_flat_workgroup_size: 256
    .name:           _ZN9rocsparseL21csrmvn_general_kernelILj256ELj32Ellf21rocsparse_complex_numIfES2_S2_EEvbT2_NS_24const_host_device_scalarIT6_EEPKT1_S9_PKS3_PKT3_PKT4_S6_PT5_21rocsparse_index_base_b
    .private_segment_fixed_size: 0
    .sgpr_count:     32
    .sgpr_spill_count: 0
    .symbol:         _ZN9rocsparseL21csrmvn_general_kernelILj256ELj32Ellf21rocsparse_complex_numIfES2_S2_EEvbT2_NS_24const_host_device_scalarIT6_EEPKT1_S9_PKS3_PKT3_PKT4_S6_PT5_21rocsparse_index_base_b.kd
    .uniform_work_group_size: 1
    .uses_dynamic_stack: false
    .vgpr_count:     32
    .vgpr_spill_count: 0
    .wavefront_size: 64
  - .agpr_count:     0
    .args:
      - .offset:         0
        .size:           1
        .value_kind:     by_value
      - .offset:         8
        .size:           8
        .value_kind:     by_value
      - .offset:         16
        .size:           8
        .value_kind:     by_value
      - .address_space:  global
        .offset:         24
        .size:           8
        .value_kind:     global_buffer
      - .address_space:  global
        .offset:         32
        .size:           8
        .value_kind:     global_buffer
      - .actual_access:  read_only
        .address_space:  global
        .offset:         40
        .size:           8
        .value_kind:     global_buffer
      - .actual_access:  read_only
        .address_space:  global
        .offset:         48
        .size:           8
        .value_kind:     global_buffer
      - .actual_access:  read_only
        .address_space:  global
        .offset:         56
        .size:           8
        .value_kind:     global_buffer
      - .offset:         64
        .size:           8
        .value_kind:     by_value
      - .address_space:  global
        .offset:         72
        .size:           8
        .value_kind:     global_buffer
      - .offset:         80
        .size:           4
        .value_kind:     by_value
      - .offset:         84
        .size:           1
        .value_kind:     by_value
      - .offset:         88
        .size:           4
        .value_kind:     hidden_block_count_x
      - .offset:         92
        .size:           4
        .value_kind:     hidden_block_count_y
      - .offset:         96
        .size:           4
        .value_kind:     hidden_block_count_z
      - .offset:         100
        .size:           2
        .value_kind:     hidden_group_size_x
      - .offset:         102
        .size:           2
        .value_kind:     hidden_group_size_y
      - .offset:         104
        .size:           2
        .value_kind:     hidden_group_size_z
      - .offset:         106
        .size:           2
        .value_kind:     hidden_remainder_x
      - .offset:         108
        .size:           2
        .value_kind:     hidden_remainder_y
      - .offset:         110
        .size:           2
        .value_kind:     hidden_remainder_z
      - .offset:         128
        .size:           8
        .value_kind:     hidden_global_offset_x
      - .offset:         136
        .size:           8
        .value_kind:     hidden_global_offset_y
      - .offset:         144
        .size:           8
        .value_kind:     hidden_global_offset_z
      - .offset:         152
        .size:           2
        .value_kind:     hidden_grid_dims
    .group_segment_fixed_size: 0
    .kernarg_segment_align: 8
    .kernarg_segment_size: 344
    .language:       OpenCL C
    .language_version:
      - 2
      - 0
    .max_flat_workgroup_size: 256
    .name:           _ZN9rocsparseL21csrmvn_general_kernelILj256ELj64Ellf21rocsparse_complex_numIfES2_S2_EEvbT2_NS_24const_host_device_scalarIT6_EEPKT1_S9_PKS3_PKT3_PKT4_S6_PT5_21rocsparse_index_base_b
    .private_segment_fixed_size: 0
    .sgpr_count:     32
    .sgpr_spill_count: 0
    .symbol:         _ZN9rocsparseL21csrmvn_general_kernelILj256ELj64Ellf21rocsparse_complex_numIfES2_S2_EEvbT2_NS_24const_host_device_scalarIT6_EEPKT1_S9_PKS3_PKT3_PKT4_S6_PT5_21rocsparse_index_base_b.kd
    .uniform_work_group_size: 1
    .uses_dynamic_stack: false
    .vgpr_count:     32
    .vgpr_spill_count: 0
    .wavefront_size: 64
  - .agpr_count:     0
    .args:
      - .offset:         0
        .size:           1
        .value_kind:     by_value
      - .offset:         1
        .size:           1
        .value_kind:     by_value
      - .offset:         8
        .size:           8
        .value_kind:     by_value
      - .offset:         16
        .size:           8
        .value_kind:     by_value
      - .address_space:  global
        .offset:         24
        .size:           8
        .value_kind:     global_buffer
      - .address_space:  global
        .offset:         32
        .size:           8
        .value_kind:     global_buffer
      - .actual_access:  read_only
        .address_space:  global
        .offset:         40
        .size:           8
        .value_kind:     global_buffer
      - .actual_access:  read_only
        .address_space:  global
        .offset:         48
        .size:           8
        .value_kind:     global_buffer
      - .actual_access:  read_only
        .address_space:  global
        .offset:         56
        .size:           8
        .value_kind:     global_buffer
      - .address_space:  global
        .offset:         64
        .size:           8
        .value_kind:     global_buffer
      - .offset:         72
        .size:           4
        .value_kind:     by_value
      - .offset:         76
        .size:           1
        .value_kind:     by_value
      - .offset:         80
        .size:           4
        .value_kind:     hidden_block_count_x
      - .offset:         84
        .size:           4
        .value_kind:     hidden_block_count_y
      - .offset:         88
        .size:           4
        .value_kind:     hidden_block_count_z
      - .offset:         92
        .size:           2
        .value_kind:     hidden_group_size_x
      - .offset:         94
        .size:           2
        .value_kind:     hidden_group_size_y
      - .offset:         96
        .size:           2
        .value_kind:     hidden_group_size_z
      - .offset:         98
        .size:           2
        .value_kind:     hidden_remainder_x
      - .offset:         100
        .size:           2
        .value_kind:     hidden_remainder_y
      - .offset:         102
        .size:           2
        .value_kind:     hidden_remainder_z
      - .offset:         120
        .size:           8
        .value_kind:     hidden_global_offset_x
      - .offset:         128
        .size:           8
        .value_kind:     hidden_global_offset_y
      - .offset:         136
        .size:           8
        .value_kind:     hidden_global_offset_z
      - .offset:         144
        .size:           2
        .value_kind:     hidden_grid_dims
    .group_segment_fixed_size: 0
    .kernarg_segment_align: 8
    .kernarg_segment_size: 336
    .language:       OpenCL C
    .language_version:
      - 2
      - 0
    .max_flat_workgroup_size: 256
    .name:           _ZN9rocsparseL21csrmvt_general_kernelILj256ELj4Ellf21rocsparse_complex_numIfES2_S2_EEvbbT2_NS_24const_host_device_scalarIT6_EEPKT1_S9_PKS3_PKT3_PKT4_PT5_21rocsparse_index_base_b
    .private_segment_fixed_size: 0
    .sgpr_count:     32
    .sgpr_spill_count: 0
    .symbol:         _ZN9rocsparseL21csrmvt_general_kernelILj256ELj4Ellf21rocsparse_complex_numIfES2_S2_EEvbbT2_NS_24const_host_device_scalarIT6_EEPKT1_S9_PKS3_PKT3_PKT4_PT5_21rocsparse_index_base_b.kd
    .uniform_work_group_size: 1
    .uses_dynamic_stack: false
    .vgpr_count:     26
    .vgpr_spill_count: 0
    .wavefront_size: 64
  - .agpr_count:     0
    .args:
      - .offset:         0
        .size:           1
        .value_kind:     by_value
      - .offset:         1
        .size:           1
        .value_kind:     by_value
      - .offset:         8
        .size:           8
        .value_kind:     by_value
      - .offset:         16
        .size:           8
        .value_kind:     by_value
      - .address_space:  global
        .offset:         24
        .size:           8
        .value_kind:     global_buffer
      - .address_space:  global
        .offset:         32
        .size:           8
        .value_kind:     global_buffer
      - .actual_access:  read_only
        .address_space:  global
        .offset:         40
        .size:           8
        .value_kind:     global_buffer
      - .actual_access:  read_only
        .address_space:  global
        .offset:         48
        .size:           8
        .value_kind:     global_buffer
      - .actual_access:  read_only
        .address_space:  global
        .offset:         56
        .size:           8
        .value_kind:     global_buffer
      - .address_space:  global
        .offset:         64
        .size:           8
        .value_kind:     global_buffer
      - .offset:         72
        .size:           4
        .value_kind:     by_value
      - .offset:         76
        .size:           1
        .value_kind:     by_value
      - .offset:         80
        .size:           4
        .value_kind:     hidden_block_count_x
      - .offset:         84
        .size:           4
        .value_kind:     hidden_block_count_y
      - .offset:         88
        .size:           4
        .value_kind:     hidden_block_count_z
      - .offset:         92
        .size:           2
        .value_kind:     hidden_group_size_x
      - .offset:         94
        .size:           2
        .value_kind:     hidden_group_size_y
      - .offset:         96
        .size:           2
        .value_kind:     hidden_group_size_z
      - .offset:         98
        .size:           2
        .value_kind:     hidden_remainder_x
      - .offset:         100
        .size:           2
        .value_kind:     hidden_remainder_y
      - .offset:         102
        .size:           2
        .value_kind:     hidden_remainder_z
      - .offset:         120
        .size:           8
        .value_kind:     hidden_global_offset_x
      - .offset:         128
        .size:           8
        .value_kind:     hidden_global_offset_y
      - .offset:         136
        .size:           8
        .value_kind:     hidden_global_offset_z
      - .offset:         144
        .size:           2
        .value_kind:     hidden_grid_dims
    .group_segment_fixed_size: 0
    .kernarg_segment_align: 8
    .kernarg_segment_size: 336
    .language:       OpenCL C
    .language_version:
      - 2
      - 0
    .max_flat_workgroup_size: 256
    .name:           _ZN9rocsparseL21csrmvt_general_kernelILj256ELj8Ellf21rocsparse_complex_numIfES2_S2_EEvbbT2_NS_24const_host_device_scalarIT6_EEPKT1_S9_PKS3_PKT3_PKT4_PT5_21rocsparse_index_base_b
    .private_segment_fixed_size: 0
    .sgpr_count:     32
    .sgpr_spill_count: 0
    .symbol:         _ZN9rocsparseL21csrmvt_general_kernelILj256ELj8Ellf21rocsparse_complex_numIfES2_S2_EEvbbT2_NS_24const_host_device_scalarIT6_EEPKT1_S9_PKS3_PKT3_PKT4_PT5_21rocsparse_index_base_b.kd
    .uniform_work_group_size: 1
    .uses_dynamic_stack: false
    .vgpr_count:     26
    .vgpr_spill_count: 0
    .wavefront_size: 64
  - .agpr_count:     0
    .args:
      - .offset:         0
        .size:           1
        .value_kind:     by_value
      - .offset:         1
        .size:           1
        .value_kind:     by_value
      - .offset:         8
        .size:           8
        .value_kind:     by_value
      - .offset:         16
        .size:           8
        .value_kind:     by_value
      - .address_space:  global
        .offset:         24
        .size:           8
        .value_kind:     global_buffer
      - .address_space:  global
        .offset:         32
        .size:           8
        .value_kind:     global_buffer
      - .actual_access:  read_only
        .address_space:  global
        .offset:         40
        .size:           8
        .value_kind:     global_buffer
      - .actual_access:  read_only
        .address_space:  global
        .offset:         48
        .size:           8
        .value_kind:     global_buffer
      - .actual_access:  read_only
        .address_space:  global
        .offset:         56
        .size:           8
        .value_kind:     global_buffer
      - .address_space:  global
        .offset:         64
        .size:           8
        .value_kind:     global_buffer
      - .offset:         72
        .size:           4
        .value_kind:     by_value
      - .offset:         76
        .size:           1
        .value_kind:     by_value
      - .offset:         80
        .size:           4
        .value_kind:     hidden_block_count_x
      - .offset:         84
        .size:           4
        .value_kind:     hidden_block_count_y
      - .offset:         88
        .size:           4
        .value_kind:     hidden_block_count_z
      - .offset:         92
        .size:           2
        .value_kind:     hidden_group_size_x
      - .offset:         94
        .size:           2
        .value_kind:     hidden_group_size_y
      - .offset:         96
        .size:           2
        .value_kind:     hidden_group_size_z
      - .offset:         98
        .size:           2
        .value_kind:     hidden_remainder_x
      - .offset:         100
        .size:           2
        .value_kind:     hidden_remainder_y
      - .offset:         102
        .size:           2
        .value_kind:     hidden_remainder_z
      - .offset:         120
        .size:           8
        .value_kind:     hidden_global_offset_x
      - .offset:         128
        .size:           8
        .value_kind:     hidden_global_offset_y
      - .offset:         136
        .size:           8
        .value_kind:     hidden_global_offset_z
      - .offset:         144
        .size:           2
        .value_kind:     hidden_grid_dims
    .group_segment_fixed_size: 0
    .kernarg_segment_align: 8
    .kernarg_segment_size: 336
    .language:       OpenCL C
    .language_version:
      - 2
      - 0
    .max_flat_workgroup_size: 256
    .name:           _ZN9rocsparseL21csrmvt_general_kernelILj256ELj16Ellf21rocsparse_complex_numIfES2_S2_EEvbbT2_NS_24const_host_device_scalarIT6_EEPKT1_S9_PKS3_PKT3_PKT4_PT5_21rocsparse_index_base_b
    .private_segment_fixed_size: 0
    .sgpr_count:     32
    .sgpr_spill_count: 0
    .symbol:         _ZN9rocsparseL21csrmvt_general_kernelILj256ELj16Ellf21rocsparse_complex_numIfES2_S2_EEvbbT2_NS_24const_host_device_scalarIT6_EEPKT1_S9_PKS3_PKT3_PKT4_PT5_21rocsparse_index_base_b.kd
    .uniform_work_group_size: 1
    .uses_dynamic_stack: false
    .vgpr_count:     26
    .vgpr_spill_count: 0
    .wavefront_size: 64
  - .agpr_count:     0
    .args:
      - .offset:         0
        .size:           1
        .value_kind:     by_value
      - .offset:         1
        .size:           1
        .value_kind:     by_value
      - .offset:         8
        .size:           8
        .value_kind:     by_value
      - .offset:         16
        .size:           8
        .value_kind:     by_value
      - .address_space:  global
        .offset:         24
        .size:           8
        .value_kind:     global_buffer
      - .address_space:  global
        .offset:         32
        .size:           8
        .value_kind:     global_buffer
      - .actual_access:  read_only
        .address_space:  global
        .offset:         40
        .size:           8
        .value_kind:     global_buffer
      - .actual_access:  read_only
        .address_space:  global
        .offset:         48
        .size:           8
        .value_kind:     global_buffer
      - .actual_access:  read_only
        .address_space:  global
        .offset:         56
        .size:           8
        .value_kind:     global_buffer
      - .address_space:  global
        .offset:         64
        .size:           8
        .value_kind:     global_buffer
      - .offset:         72
        .size:           4
        .value_kind:     by_value
      - .offset:         76
        .size:           1
        .value_kind:     by_value
      - .offset:         80
        .size:           4
        .value_kind:     hidden_block_count_x
      - .offset:         84
        .size:           4
        .value_kind:     hidden_block_count_y
      - .offset:         88
        .size:           4
        .value_kind:     hidden_block_count_z
      - .offset:         92
        .size:           2
        .value_kind:     hidden_group_size_x
      - .offset:         94
        .size:           2
        .value_kind:     hidden_group_size_y
      - .offset:         96
        .size:           2
        .value_kind:     hidden_group_size_z
      - .offset:         98
        .size:           2
        .value_kind:     hidden_remainder_x
      - .offset:         100
        .size:           2
        .value_kind:     hidden_remainder_y
      - .offset:         102
        .size:           2
        .value_kind:     hidden_remainder_z
      - .offset:         120
        .size:           8
        .value_kind:     hidden_global_offset_x
      - .offset:         128
        .size:           8
        .value_kind:     hidden_global_offset_y
      - .offset:         136
        .size:           8
        .value_kind:     hidden_global_offset_z
      - .offset:         144
        .size:           2
        .value_kind:     hidden_grid_dims
    .group_segment_fixed_size: 0
    .kernarg_segment_align: 8
    .kernarg_segment_size: 336
    .language:       OpenCL C
    .language_version:
      - 2
      - 0
    .max_flat_workgroup_size: 256
    .name:           _ZN9rocsparseL21csrmvt_general_kernelILj256ELj32Ellf21rocsparse_complex_numIfES2_S2_EEvbbT2_NS_24const_host_device_scalarIT6_EEPKT1_S9_PKS3_PKT3_PKT4_PT5_21rocsparse_index_base_b
    .private_segment_fixed_size: 0
    .sgpr_count:     32
    .sgpr_spill_count: 0
    .symbol:         _ZN9rocsparseL21csrmvt_general_kernelILj256ELj32Ellf21rocsparse_complex_numIfES2_S2_EEvbbT2_NS_24const_host_device_scalarIT6_EEPKT1_S9_PKS3_PKT3_PKT4_PT5_21rocsparse_index_base_b.kd
    .uniform_work_group_size: 1
    .uses_dynamic_stack: false
    .vgpr_count:     26
    .vgpr_spill_count: 0
    .wavefront_size: 64
  - .agpr_count:     0
    .args:
      - .offset:         0
        .size:           1
        .value_kind:     by_value
      - .offset:         1
        .size:           1
        .value_kind:     by_value
      - .offset:         8
        .size:           8
        .value_kind:     by_value
      - .offset:         16
        .size:           8
        .value_kind:     by_value
      - .address_space:  global
        .offset:         24
        .size:           8
        .value_kind:     global_buffer
      - .address_space:  global
        .offset:         32
        .size:           8
        .value_kind:     global_buffer
      - .actual_access:  read_only
        .address_space:  global
        .offset:         40
        .size:           8
        .value_kind:     global_buffer
      - .actual_access:  read_only
        .address_space:  global
        .offset:         48
        .size:           8
        .value_kind:     global_buffer
      - .actual_access:  read_only
        .address_space:  global
        .offset:         56
        .size:           8
        .value_kind:     global_buffer
      - .address_space:  global
        .offset:         64
        .size:           8
        .value_kind:     global_buffer
      - .offset:         72
        .size:           4
        .value_kind:     by_value
      - .offset:         76
        .size:           1
        .value_kind:     by_value
      - .offset:         80
        .size:           4
        .value_kind:     hidden_block_count_x
      - .offset:         84
        .size:           4
        .value_kind:     hidden_block_count_y
      - .offset:         88
        .size:           4
        .value_kind:     hidden_block_count_z
      - .offset:         92
        .size:           2
        .value_kind:     hidden_group_size_x
      - .offset:         94
        .size:           2
        .value_kind:     hidden_group_size_y
      - .offset:         96
        .size:           2
        .value_kind:     hidden_group_size_z
      - .offset:         98
        .size:           2
        .value_kind:     hidden_remainder_x
      - .offset:         100
        .size:           2
        .value_kind:     hidden_remainder_y
      - .offset:         102
        .size:           2
        .value_kind:     hidden_remainder_z
      - .offset:         120
        .size:           8
        .value_kind:     hidden_global_offset_x
      - .offset:         128
        .size:           8
        .value_kind:     hidden_global_offset_y
      - .offset:         136
        .size:           8
        .value_kind:     hidden_global_offset_z
      - .offset:         144
        .size:           2
        .value_kind:     hidden_grid_dims
    .group_segment_fixed_size: 0
    .kernarg_segment_align: 8
    .kernarg_segment_size: 336
    .language:       OpenCL C
    .language_version:
      - 2
      - 0
    .max_flat_workgroup_size: 256
    .name:           _ZN9rocsparseL21csrmvt_general_kernelILj256ELj64Ellf21rocsparse_complex_numIfES2_S2_EEvbbT2_NS_24const_host_device_scalarIT6_EEPKT1_S9_PKS3_PKT3_PKT4_PT5_21rocsparse_index_base_b
    .private_segment_fixed_size: 0
    .sgpr_count:     32
    .sgpr_spill_count: 0
    .symbol:         _ZN9rocsparseL21csrmvt_general_kernelILj256ELj64Ellf21rocsparse_complex_numIfES2_S2_EEvbbT2_NS_24const_host_device_scalarIT6_EEPKT1_S9_PKS3_PKT3_PKT4_PT5_21rocsparse_index_base_b.kd
    .uniform_work_group_size: 1
    .uses_dynamic_stack: false
    .vgpr_count:     26
    .vgpr_spill_count: 0
    .wavefront_size: 64
  - .agpr_count:     0
    .args:
      - .offset:         0
        .size:           1
        .value_kind:     by_value
      - .offset:         4
        .size:           4
        .value_kind:     by_value
      - .offset:         8
        .size:           8
        .value_kind:     by_value
      - .address_space:  global
        .offset:         16
        .size:           8
        .value_kind:     global_buffer
      - .address_space:  global
        .offset:         24
        .size:           8
        .value_kind:     global_buffer
      - .actual_access:  read_only
        .address_space:  global
        .offset:         32
        .size:           8
        .value_kind:     global_buffer
      - .actual_access:  read_only
        .address_space:  global
        .offset:         40
        .size:           8
        .value_kind:     global_buffer
      - .actual_access:  read_only
        .address_space:  global
        .offset:         48
        .size:           8
        .value_kind:     global_buffer
      - .offset:         56
        .size:           8
        .value_kind:     by_value
      - .address_space:  global
        .offset:         64
        .size:           8
        .value_kind:     global_buffer
      - .offset:         72
        .size:           4
        .value_kind:     by_value
      - .offset:         76
        .size:           1
        .value_kind:     by_value
      - .offset:         80
        .size:           4
        .value_kind:     hidden_block_count_x
      - .offset:         84
        .size:           4
        .value_kind:     hidden_block_count_y
      - .offset:         88
        .size:           4
        .value_kind:     hidden_block_count_z
      - .offset:         92
        .size:           2
        .value_kind:     hidden_group_size_x
      - .offset:         94
        .size:           2
        .value_kind:     hidden_group_size_y
      - .offset:         96
        .size:           2
        .value_kind:     hidden_group_size_z
      - .offset:         98
        .size:           2
        .value_kind:     hidden_remainder_x
      - .offset:         100
        .size:           2
        .value_kind:     hidden_remainder_y
      - .offset:         102
        .size:           2
        .value_kind:     hidden_remainder_z
      - .offset:         120
        .size:           8
        .value_kind:     hidden_global_offset_x
      - .offset:         128
        .size:           8
        .value_kind:     hidden_global_offset_y
      - .offset:         136
        .size:           8
        .value_kind:     hidden_global_offset_z
      - .offset:         144
        .size:           2
        .value_kind:     hidden_grid_dims
    .group_segment_fixed_size: 0
    .kernarg_segment_align: 8
    .kernarg_segment_size: 336
    .language:       OpenCL C
    .language_version:
      - 2
      - 0
    .max_flat_workgroup_size: 256
    .name:           _ZN9rocsparseL21csrmvn_general_kernelILj256ELj2EiifdddEEvbT2_NS_24const_host_device_scalarIT6_EEPKT1_S7_PKS1_PKT3_PKT4_S4_PT5_21rocsparse_index_base_b
    .private_segment_fixed_size: 0
    .sgpr_count:     29
    .sgpr_spill_count: 0
    .symbol:         _ZN9rocsparseL21csrmvn_general_kernelILj256ELj2EiifdddEEvbT2_NS_24const_host_device_scalarIT6_EEPKT1_S7_PKS1_PKT3_PKT4_S4_PT5_21rocsparse_index_base_b.kd
    .uniform_work_group_size: 1
    .uses_dynamic_stack: false
    .vgpr_count:     19
    .vgpr_spill_count: 0
    .wavefront_size: 64
  - .agpr_count:     0
    .args:
      - .offset:         0
        .size:           1
        .value_kind:     by_value
      - .offset:         4
        .size:           4
        .value_kind:     by_value
      - .offset:         8
        .size:           8
        .value_kind:     by_value
      - .address_space:  global
        .offset:         16
        .size:           8
        .value_kind:     global_buffer
      - .address_space:  global
        .offset:         24
        .size:           8
        .value_kind:     global_buffer
      - .actual_access:  read_only
        .address_space:  global
        .offset:         32
        .size:           8
        .value_kind:     global_buffer
      - .actual_access:  read_only
        .address_space:  global
        .offset:         40
        .size:           8
        .value_kind:     global_buffer
      - .actual_access:  read_only
        .address_space:  global
        .offset:         48
        .size:           8
        .value_kind:     global_buffer
      - .offset:         56
        .size:           8
        .value_kind:     by_value
      - .address_space:  global
        .offset:         64
        .size:           8
        .value_kind:     global_buffer
      - .offset:         72
        .size:           4
        .value_kind:     by_value
      - .offset:         76
        .size:           1
        .value_kind:     by_value
      - .offset:         80
        .size:           4
        .value_kind:     hidden_block_count_x
      - .offset:         84
        .size:           4
        .value_kind:     hidden_block_count_y
      - .offset:         88
        .size:           4
        .value_kind:     hidden_block_count_z
      - .offset:         92
        .size:           2
        .value_kind:     hidden_group_size_x
      - .offset:         94
        .size:           2
        .value_kind:     hidden_group_size_y
      - .offset:         96
        .size:           2
        .value_kind:     hidden_group_size_z
      - .offset:         98
        .size:           2
        .value_kind:     hidden_remainder_x
      - .offset:         100
        .size:           2
        .value_kind:     hidden_remainder_y
      - .offset:         102
        .size:           2
        .value_kind:     hidden_remainder_z
      - .offset:         120
        .size:           8
        .value_kind:     hidden_global_offset_x
      - .offset:         128
        .size:           8
        .value_kind:     hidden_global_offset_y
      - .offset:         136
        .size:           8
        .value_kind:     hidden_global_offset_z
      - .offset:         144
        .size:           2
        .value_kind:     hidden_grid_dims
    .group_segment_fixed_size: 0
    .kernarg_segment_align: 8
    .kernarg_segment_size: 336
    .language:       OpenCL C
    .language_version:
      - 2
      - 0
    .max_flat_workgroup_size: 256
    .name:           _ZN9rocsparseL21csrmvn_general_kernelILj256ELj4EiifdddEEvbT2_NS_24const_host_device_scalarIT6_EEPKT1_S7_PKS1_PKT3_PKT4_S4_PT5_21rocsparse_index_base_b
    .private_segment_fixed_size: 0
    .sgpr_count:     29
    .sgpr_spill_count: 0
    .symbol:         _ZN9rocsparseL21csrmvn_general_kernelILj256ELj4EiifdddEEvbT2_NS_24const_host_device_scalarIT6_EEPKT1_S7_PKS1_PKT3_PKT4_S4_PT5_21rocsparse_index_base_b.kd
    .uniform_work_group_size: 1
    .uses_dynamic_stack: false
    .vgpr_count:     19
    .vgpr_spill_count: 0
    .wavefront_size: 64
  - .agpr_count:     0
    .args:
      - .offset:         0
        .size:           1
        .value_kind:     by_value
      - .offset:         4
        .size:           4
        .value_kind:     by_value
      - .offset:         8
        .size:           8
        .value_kind:     by_value
      - .address_space:  global
        .offset:         16
        .size:           8
        .value_kind:     global_buffer
      - .address_space:  global
        .offset:         24
        .size:           8
        .value_kind:     global_buffer
      - .actual_access:  read_only
        .address_space:  global
        .offset:         32
        .size:           8
        .value_kind:     global_buffer
      - .actual_access:  read_only
        .address_space:  global
        .offset:         40
        .size:           8
        .value_kind:     global_buffer
      - .actual_access:  read_only
        .address_space:  global
        .offset:         48
        .size:           8
        .value_kind:     global_buffer
      - .offset:         56
        .size:           8
        .value_kind:     by_value
      - .address_space:  global
        .offset:         64
        .size:           8
        .value_kind:     global_buffer
      - .offset:         72
        .size:           4
        .value_kind:     by_value
      - .offset:         76
        .size:           1
        .value_kind:     by_value
      - .offset:         80
        .size:           4
        .value_kind:     hidden_block_count_x
      - .offset:         84
        .size:           4
        .value_kind:     hidden_block_count_y
      - .offset:         88
        .size:           4
        .value_kind:     hidden_block_count_z
      - .offset:         92
        .size:           2
        .value_kind:     hidden_group_size_x
      - .offset:         94
        .size:           2
        .value_kind:     hidden_group_size_y
      - .offset:         96
        .size:           2
        .value_kind:     hidden_group_size_z
      - .offset:         98
        .size:           2
        .value_kind:     hidden_remainder_x
      - .offset:         100
        .size:           2
        .value_kind:     hidden_remainder_y
      - .offset:         102
        .size:           2
        .value_kind:     hidden_remainder_z
      - .offset:         120
        .size:           8
        .value_kind:     hidden_global_offset_x
      - .offset:         128
        .size:           8
        .value_kind:     hidden_global_offset_y
      - .offset:         136
        .size:           8
        .value_kind:     hidden_global_offset_z
      - .offset:         144
        .size:           2
        .value_kind:     hidden_grid_dims
    .group_segment_fixed_size: 0
    .kernarg_segment_align: 8
    .kernarg_segment_size: 336
    .language:       OpenCL C
    .language_version:
      - 2
      - 0
    .max_flat_workgroup_size: 256
    .name:           _ZN9rocsparseL21csrmvn_general_kernelILj256ELj8EiifdddEEvbT2_NS_24const_host_device_scalarIT6_EEPKT1_S7_PKS1_PKT3_PKT4_S4_PT5_21rocsparse_index_base_b
    .private_segment_fixed_size: 0
    .sgpr_count:     29
    .sgpr_spill_count: 0
    .symbol:         _ZN9rocsparseL21csrmvn_general_kernelILj256ELj8EiifdddEEvbT2_NS_24const_host_device_scalarIT6_EEPKT1_S7_PKS1_PKT3_PKT4_S4_PT5_21rocsparse_index_base_b.kd
    .uniform_work_group_size: 1
    .uses_dynamic_stack: false
    .vgpr_count:     19
    .vgpr_spill_count: 0
    .wavefront_size: 64
  - .agpr_count:     0
    .args:
      - .offset:         0
        .size:           1
        .value_kind:     by_value
      - .offset:         4
        .size:           4
        .value_kind:     by_value
      - .offset:         8
        .size:           8
        .value_kind:     by_value
      - .address_space:  global
        .offset:         16
        .size:           8
        .value_kind:     global_buffer
      - .address_space:  global
        .offset:         24
        .size:           8
        .value_kind:     global_buffer
      - .actual_access:  read_only
        .address_space:  global
        .offset:         32
        .size:           8
        .value_kind:     global_buffer
      - .actual_access:  read_only
        .address_space:  global
        .offset:         40
        .size:           8
        .value_kind:     global_buffer
      - .actual_access:  read_only
        .address_space:  global
        .offset:         48
        .size:           8
        .value_kind:     global_buffer
      - .offset:         56
        .size:           8
        .value_kind:     by_value
      - .address_space:  global
        .offset:         64
        .size:           8
        .value_kind:     global_buffer
      - .offset:         72
        .size:           4
        .value_kind:     by_value
      - .offset:         76
        .size:           1
        .value_kind:     by_value
      - .offset:         80
        .size:           4
        .value_kind:     hidden_block_count_x
      - .offset:         84
        .size:           4
        .value_kind:     hidden_block_count_y
      - .offset:         88
        .size:           4
        .value_kind:     hidden_block_count_z
      - .offset:         92
        .size:           2
        .value_kind:     hidden_group_size_x
      - .offset:         94
        .size:           2
        .value_kind:     hidden_group_size_y
      - .offset:         96
        .size:           2
        .value_kind:     hidden_group_size_z
      - .offset:         98
        .size:           2
        .value_kind:     hidden_remainder_x
      - .offset:         100
        .size:           2
        .value_kind:     hidden_remainder_y
      - .offset:         102
        .size:           2
        .value_kind:     hidden_remainder_z
      - .offset:         120
        .size:           8
        .value_kind:     hidden_global_offset_x
      - .offset:         128
        .size:           8
        .value_kind:     hidden_global_offset_y
      - .offset:         136
        .size:           8
        .value_kind:     hidden_global_offset_z
      - .offset:         144
        .size:           2
        .value_kind:     hidden_grid_dims
    .group_segment_fixed_size: 0
    .kernarg_segment_align: 8
    .kernarg_segment_size: 336
    .language:       OpenCL C
    .language_version:
      - 2
      - 0
    .max_flat_workgroup_size: 256
    .name:           _ZN9rocsparseL21csrmvn_general_kernelILj256ELj16EiifdddEEvbT2_NS_24const_host_device_scalarIT6_EEPKT1_S7_PKS1_PKT3_PKT4_S4_PT5_21rocsparse_index_base_b
    .private_segment_fixed_size: 0
    .sgpr_count:     29
    .sgpr_spill_count: 0
    .symbol:         _ZN9rocsparseL21csrmvn_general_kernelILj256ELj16EiifdddEEvbT2_NS_24const_host_device_scalarIT6_EEPKT1_S7_PKS1_PKT3_PKT4_S4_PT5_21rocsparse_index_base_b.kd
    .uniform_work_group_size: 1
    .uses_dynamic_stack: false
    .vgpr_count:     19
    .vgpr_spill_count: 0
    .wavefront_size: 64
  - .agpr_count:     0
    .args:
      - .offset:         0
        .size:           1
        .value_kind:     by_value
      - .offset:         4
        .size:           4
        .value_kind:     by_value
      - .offset:         8
        .size:           8
        .value_kind:     by_value
      - .address_space:  global
        .offset:         16
        .size:           8
        .value_kind:     global_buffer
      - .address_space:  global
        .offset:         24
        .size:           8
        .value_kind:     global_buffer
      - .actual_access:  read_only
        .address_space:  global
        .offset:         32
        .size:           8
        .value_kind:     global_buffer
      - .actual_access:  read_only
        .address_space:  global
        .offset:         40
        .size:           8
        .value_kind:     global_buffer
      - .actual_access:  read_only
        .address_space:  global
        .offset:         48
        .size:           8
        .value_kind:     global_buffer
      - .offset:         56
        .size:           8
        .value_kind:     by_value
      - .address_space:  global
        .offset:         64
        .size:           8
        .value_kind:     global_buffer
      - .offset:         72
        .size:           4
        .value_kind:     by_value
      - .offset:         76
        .size:           1
        .value_kind:     by_value
      - .offset:         80
        .size:           4
        .value_kind:     hidden_block_count_x
      - .offset:         84
        .size:           4
        .value_kind:     hidden_block_count_y
      - .offset:         88
        .size:           4
        .value_kind:     hidden_block_count_z
      - .offset:         92
        .size:           2
        .value_kind:     hidden_group_size_x
      - .offset:         94
        .size:           2
        .value_kind:     hidden_group_size_y
      - .offset:         96
        .size:           2
        .value_kind:     hidden_group_size_z
      - .offset:         98
        .size:           2
        .value_kind:     hidden_remainder_x
      - .offset:         100
        .size:           2
        .value_kind:     hidden_remainder_y
      - .offset:         102
        .size:           2
        .value_kind:     hidden_remainder_z
      - .offset:         120
        .size:           8
        .value_kind:     hidden_global_offset_x
      - .offset:         128
        .size:           8
        .value_kind:     hidden_global_offset_y
      - .offset:         136
        .size:           8
        .value_kind:     hidden_global_offset_z
      - .offset:         144
        .size:           2
        .value_kind:     hidden_grid_dims
    .group_segment_fixed_size: 0
    .kernarg_segment_align: 8
    .kernarg_segment_size: 336
    .language:       OpenCL C
    .language_version:
      - 2
      - 0
    .max_flat_workgroup_size: 256
    .name:           _ZN9rocsparseL21csrmvn_general_kernelILj256ELj32EiifdddEEvbT2_NS_24const_host_device_scalarIT6_EEPKT1_S7_PKS1_PKT3_PKT4_S4_PT5_21rocsparse_index_base_b
    .private_segment_fixed_size: 0
    .sgpr_count:     29
    .sgpr_spill_count: 0
    .symbol:         _ZN9rocsparseL21csrmvn_general_kernelILj256ELj32EiifdddEEvbT2_NS_24const_host_device_scalarIT6_EEPKT1_S7_PKS1_PKT3_PKT4_S4_PT5_21rocsparse_index_base_b.kd
    .uniform_work_group_size: 1
    .uses_dynamic_stack: false
    .vgpr_count:     19
    .vgpr_spill_count: 0
    .wavefront_size: 64
  - .agpr_count:     0
    .args:
      - .offset:         0
        .size:           1
        .value_kind:     by_value
      - .offset:         4
        .size:           4
        .value_kind:     by_value
      - .offset:         8
        .size:           8
        .value_kind:     by_value
      - .address_space:  global
        .offset:         16
        .size:           8
        .value_kind:     global_buffer
      - .address_space:  global
        .offset:         24
        .size:           8
        .value_kind:     global_buffer
      - .actual_access:  read_only
        .address_space:  global
        .offset:         32
        .size:           8
        .value_kind:     global_buffer
      - .actual_access:  read_only
        .address_space:  global
        .offset:         40
        .size:           8
        .value_kind:     global_buffer
      - .actual_access:  read_only
        .address_space:  global
        .offset:         48
        .size:           8
        .value_kind:     global_buffer
      - .offset:         56
        .size:           8
        .value_kind:     by_value
      - .address_space:  global
        .offset:         64
        .size:           8
        .value_kind:     global_buffer
      - .offset:         72
        .size:           4
        .value_kind:     by_value
      - .offset:         76
        .size:           1
        .value_kind:     by_value
      - .offset:         80
        .size:           4
        .value_kind:     hidden_block_count_x
      - .offset:         84
        .size:           4
        .value_kind:     hidden_block_count_y
      - .offset:         88
        .size:           4
        .value_kind:     hidden_block_count_z
      - .offset:         92
        .size:           2
        .value_kind:     hidden_group_size_x
      - .offset:         94
        .size:           2
        .value_kind:     hidden_group_size_y
      - .offset:         96
        .size:           2
        .value_kind:     hidden_group_size_z
      - .offset:         98
        .size:           2
        .value_kind:     hidden_remainder_x
      - .offset:         100
        .size:           2
        .value_kind:     hidden_remainder_y
      - .offset:         102
        .size:           2
        .value_kind:     hidden_remainder_z
      - .offset:         120
        .size:           8
        .value_kind:     hidden_global_offset_x
      - .offset:         128
        .size:           8
        .value_kind:     hidden_global_offset_y
      - .offset:         136
        .size:           8
        .value_kind:     hidden_global_offset_z
      - .offset:         144
        .size:           2
        .value_kind:     hidden_grid_dims
    .group_segment_fixed_size: 0
    .kernarg_segment_align: 8
    .kernarg_segment_size: 336
    .language:       OpenCL C
    .language_version:
      - 2
      - 0
    .max_flat_workgroup_size: 256
    .name:           _ZN9rocsparseL21csrmvn_general_kernelILj256ELj64EiifdddEEvbT2_NS_24const_host_device_scalarIT6_EEPKT1_S7_PKS1_PKT3_PKT4_S4_PT5_21rocsparse_index_base_b
    .private_segment_fixed_size: 0
    .sgpr_count:     29
    .sgpr_spill_count: 0
    .symbol:         _ZN9rocsparseL21csrmvn_general_kernelILj256ELj64EiifdddEEvbT2_NS_24const_host_device_scalarIT6_EEPKT1_S7_PKS1_PKT3_PKT4_S4_PT5_21rocsparse_index_base_b.kd
    .uniform_work_group_size: 1
    .uses_dynamic_stack: false
    .vgpr_count:     19
    .vgpr_spill_count: 0
    .wavefront_size: 64
  - .agpr_count:     0
    .args:
      - .offset:         0
        .size:           1
        .value_kind:     by_value
      - .offset:         1
        .size:           1
        .value_kind:     by_value
      - .offset:         4
        .size:           4
        .value_kind:     by_value
      - .offset:         8
        .size:           8
        .value_kind:     by_value
      - .address_space:  global
        .offset:         16
        .size:           8
        .value_kind:     global_buffer
      - .address_space:  global
        .offset:         24
        .size:           8
        .value_kind:     global_buffer
      - .actual_access:  read_only
        .address_space:  global
        .offset:         32
        .size:           8
        .value_kind:     global_buffer
      - .actual_access:  read_only
        .address_space:  global
        .offset:         40
        .size:           8
        .value_kind:     global_buffer
      - .actual_access:  read_only
        .address_space:  global
        .offset:         48
        .size:           8
        .value_kind:     global_buffer
      - .address_space:  global
        .offset:         56
        .size:           8
        .value_kind:     global_buffer
      - .offset:         64
        .size:           4
        .value_kind:     by_value
      - .offset:         68
        .size:           1
        .value_kind:     by_value
      - .offset:         72
        .size:           4
        .value_kind:     hidden_block_count_x
      - .offset:         76
        .size:           4
        .value_kind:     hidden_block_count_y
      - .offset:         80
        .size:           4
        .value_kind:     hidden_block_count_z
      - .offset:         84
        .size:           2
        .value_kind:     hidden_group_size_x
      - .offset:         86
        .size:           2
        .value_kind:     hidden_group_size_y
      - .offset:         88
        .size:           2
        .value_kind:     hidden_group_size_z
      - .offset:         90
        .size:           2
        .value_kind:     hidden_remainder_x
      - .offset:         92
        .size:           2
        .value_kind:     hidden_remainder_y
      - .offset:         94
        .size:           2
        .value_kind:     hidden_remainder_z
      - .offset:         112
        .size:           8
        .value_kind:     hidden_global_offset_x
      - .offset:         120
        .size:           8
        .value_kind:     hidden_global_offset_y
      - .offset:         128
        .size:           8
        .value_kind:     hidden_global_offset_z
      - .offset:         136
        .size:           2
        .value_kind:     hidden_grid_dims
    .group_segment_fixed_size: 0
    .kernarg_segment_align: 8
    .kernarg_segment_size: 328
    .language:       OpenCL C
    .language_version:
      - 2
      - 0
    .max_flat_workgroup_size: 256
    .name:           _ZN9rocsparseL21csrmvt_general_kernelILj256ELj4EiifdddEEvbbT2_NS_24const_host_device_scalarIT6_EEPKT1_S7_PKS1_PKT3_PKT4_PT5_21rocsparse_index_base_b
    .private_segment_fixed_size: 0
    .sgpr_count:     32
    .sgpr_spill_count: 0
    .symbol:         _ZN9rocsparseL21csrmvt_general_kernelILj256ELj4EiifdddEEvbbT2_NS_24const_host_device_scalarIT6_EEPKT1_S7_PKS1_PKT3_PKT4_PT5_21rocsparse_index_base_b.kd
    .uniform_work_group_size: 1
    .uses_dynamic_stack: false
    .vgpr_count:     22
    .vgpr_spill_count: 0
    .wavefront_size: 64
  - .agpr_count:     0
    .args:
      - .offset:         0
        .size:           1
        .value_kind:     by_value
      - .offset:         1
        .size:           1
        .value_kind:     by_value
      - .offset:         4
        .size:           4
        .value_kind:     by_value
      - .offset:         8
        .size:           8
        .value_kind:     by_value
      - .address_space:  global
        .offset:         16
        .size:           8
        .value_kind:     global_buffer
      - .address_space:  global
        .offset:         24
        .size:           8
        .value_kind:     global_buffer
      - .actual_access:  read_only
        .address_space:  global
        .offset:         32
        .size:           8
        .value_kind:     global_buffer
      - .actual_access:  read_only
        .address_space:  global
        .offset:         40
        .size:           8
        .value_kind:     global_buffer
      - .actual_access:  read_only
        .address_space:  global
        .offset:         48
        .size:           8
        .value_kind:     global_buffer
      - .address_space:  global
        .offset:         56
        .size:           8
        .value_kind:     global_buffer
      - .offset:         64
        .size:           4
        .value_kind:     by_value
      - .offset:         68
        .size:           1
        .value_kind:     by_value
      - .offset:         72
        .size:           4
        .value_kind:     hidden_block_count_x
      - .offset:         76
        .size:           4
        .value_kind:     hidden_block_count_y
      - .offset:         80
        .size:           4
        .value_kind:     hidden_block_count_z
      - .offset:         84
        .size:           2
        .value_kind:     hidden_group_size_x
      - .offset:         86
        .size:           2
        .value_kind:     hidden_group_size_y
      - .offset:         88
        .size:           2
        .value_kind:     hidden_group_size_z
      - .offset:         90
        .size:           2
        .value_kind:     hidden_remainder_x
      - .offset:         92
        .size:           2
        .value_kind:     hidden_remainder_y
      - .offset:         94
        .size:           2
        .value_kind:     hidden_remainder_z
      - .offset:         112
        .size:           8
        .value_kind:     hidden_global_offset_x
      - .offset:         120
        .size:           8
        .value_kind:     hidden_global_offset_y
      - .offset:         128
        .size:           8
        .value_kind:     hidden_global_offset_z
      - .offset:         136
        .size:           2
        .value_kind:     hidden_grid_dims
    .group_segment_fixed_size: 0
    .kernarg_segment_align: 8
    .kernarg_segment_size: 328
    .language:       OpenCL C
    .language_version:
      - 2
      - 0
    .max_flat_workgroup_size: 256
    .name:           _ZN9rocsparseL21csrmvt_general_kernelILj256ELj8EiifdddEEvbbT2_NS_24const_host_device_scalarIT6_EEPKT1_S7_PKS1_PKT3_PKT4_PT5_21rocsparse_index_base_b
    .private_segment_fixed_size: 0
    .sgpr_count:     32
    .sgpr_spill_count: 0
    .symbol:         _ZN9rocsparseL21csrmvt_general_kernelILj256ELj8EiifdddEEvbbT2_NS_24const_host_device_scalarIT6_EEPKT1_S7_PKS1_PKT3_PKT4_PT5_21rocsparse_index_base_b.kd
    .uniform_work_group_size: 1
    .uses_dynamic_stack: false
    .vgpr_count:     22
    .vgpr_spill_count: 0
    .wavefront_size: 64
  - .agpr_count:     0
    .args:
      - .offset:         0
        .size:           1
        .value_kind:     by_value
      - .offset:         1
        .size:           1
        .value_kind:     by_value
      - .offset:         4
        .size:           4
        .value_kind:     by_value
      - .offset:         8
        .size:           8
        .value_kind:     by_value
      - .address_space:  global
        .offset:         16
        .size:           8
        .value_kind:     global_buffer
      - .address_space:  global
        .offset:         24
        .size:           8
        .value_kind:     global_buffer
      - .actual_access:  read_only
        .address_space:  global
        .offset:         32
        .size:           8
        .value_kind:     global_buffer
      - .actual_access:  read_only
        .address_space:  global
        .offset:         40
        .size:           8
        .value_kind:     global_buffer
      - .actual_access:  read_only
        .address_space:  global
        .offset:         48
        .size:           8
        .value_kind:     global_buffer
      - .address_space:  global
        .offset:         56
        .size:           8
        .value_kind:     global_buffer
      - .offset:         64
        .size:           4
        .value_kind:     by_value
      - .offset:         68
        .size:           1
        .value_kind:     by_value
      - .offset:         72
        .size:           4
        .value_kind:     hidden_block_count_x
      - .offset:         76
        .size:           4
        .value_kind:     hidden_block_count_y
      - .offset:         80
        .size:           4
        .value_kind:     hidden_block_count_z
      - .offset:         84
        .size:           2
        .value_kind:     hidden_group_size_x
      - .offset:         86
        .size:           2
        .value_kind:     hidden_group_size_y
      - .offset:         88
        .size:           2
        .value_kind:     hidden_group_size_z
      - .offset:         90
        .size:           2
        .value_kind:     hidden_remainder_x
      - .offset:         92
        .size:           2
        .value_kind:     hidden_remainder_y
      - .offset:         94
        .size:           2
        .value_kind:     hidden_remainder_z
      - .offset:         112
        .size:           8
        .value_kind:     hidden_global_offset_x
      - .offset:         120
        .size:           8
        .value_kind:     hidden_global_offset_y
      - .offset:         128
        .size:           8
        .value_kind:     hidden_global_offset_z
      - .offset:         136
        .size:           2
        .value_kind:     hidden_grid_dims
    .group_segment_fixed_size: 0
    .kernarg_segment_align: 8
    .kernarg_segment_size: 328
    .language:       OpenCL C
    .language_version:
      - 2
      - 0
    .max_flat_workgroup_size: 256
    .name:           _ZN9rocsparseL21csrmvt_general_kernelILj256ELj16EiifdddEEvbbT2_NS_24const_host_device_scalarIT6_EEPKT1_S7_PKS1_PKT3_PKT4_PT5_21rocsparse_index_base_b
    .private_segment_fixed_size: 0
    .sgpr_count:     32
    .sgpr_spill_count: 0
    .symbol:         _ZN9rocsparseL21csrmvt_general_kernelILj256ELj16EiifdddEEvbbT2_NS_24const_host_device_scalarIT6_EEPKT1_S7_PKS1_PKT3_PKT4_PT5_21rocsparse_index_base_b.kd
    .uniform_work_group_size: 1
    .uses_dynamic_stack: false
    .vgpr_count:     22
    .vgpr_spill_count: 0
    .wavefront_size: 64
  - .agpr_count:     0
    .args:
      - .offset:         0
        .size:           1
        .value_kind:     by_value
      - .offset:         1
        .size:           1
        .value_kind:     by_value
      - .offset:         4
        .size:           4
        .value_kind:     by_value
      - .offset:         8
        .size:           8
        .value_kind:     by_value
      - .address_space:  global
        .offset:         16
        .size:           8
        .value_kind:     global_buffer
      - .address_space:  global
        .offset:         24
        .size:           8
        .value_kind:     global_buffer
      - .actual_access:  read_only
        .address_space:  global
        .offset:         32
        .size:           8
        .value_kind:     global_buffer
      - .actual_access:  read_only
        .address_space:  global
        .offset:         40
        .size:           8
        .value_kind:     global_buffer
      - .actual_access:  read_only
        .address_space:  global
        .offset:         48
        .size:           8
        .value_kind:     global_buffer
      - .address_space:  global
        .offset:         56
        .size:           8
        .value_kind:     global_buffer
      - .offset:         64
        .size:           4
        .value_kind:     by_value
      - .offset:         68
        .size:           1
        .value_kind:     by_value
      - .offset:         72
        .size:           4
        .value_kind:     hidden_block_count_x
      - .offset:         76
        .size:           4
        .value_kind:     hidden_block_count_y
      - .offset:         80
        .size:           4
        .value_kind:     hidden_block_count_z
      - .offset:         84
        .size:           2
        .value_kind:     hidden_group_size_x
      - .offset:         86
        .size:           2
        .value_kind:     hidden_group_size_y
      - .offset:         88
        .size:           2
        .value_kind:     hidden_group_size_z
      - .offset:         90
        .size:           2
        .value_kind:     hidden_remainder_x
      - .offset:         92
        .size:           2
        .value_kind:     hidden_remainder_y
      - .offset:         94
        .size:           2
        .value_kind:     hidden_remainder_z
      - .offset:         112
        .size:           8
        .value_kind:     hidden_global_offset_x
      - .offset:         120
        .size:           8
        .value_kind:     hidden_global_offset_y
      - .offset:         128
        .size:           8
        .value_kind:     hidden_global_offset_z
      - .offset:         136
        .size:           2
        .value_kind:     hidden_grid_dims
    .group_segment_fixed_size: 0
    .kernarg_segment_align: 8
    .kernarg_segment_size: 328
    .language:       OpenCL C
    .language_version:
      - 2
      - 0
    .max_flat_workgroup_size: 256
    .name:           _ZN9rocsparseL21csrmvt_general_kernelILj256ELj32EiifdddEEvbbT2_NS_24const_host_device_scalarIT6_EEPKT1_S7_PKS1_PKT3_PKT4_PT5_21rocsparse_index_base_b
    .private_segment_fixed_size: 0
    .sgpr_count:     32
    .sgpr_spill_count: 0
    .symbol:         _ZN9rocsparseL21csrmvt_general_kernelILj256ELj32EiifdddEEvbbT2_NS_24const_host_device_scalarIT6_EEPKT1_S7_PKS1_PKT3_PKT4_PT5_21rocsparse_index_base_b.kd
    .uniform_work_group_size: 1
    .uses_dynamic_stack: false
    .vgpr_count:     22
    .vgpr_spill_count: 0
    .wavefront_size: 64
  - .agpr_count:     0
    .args:
      - .offset:         0
        .size:           1
        .value_kind:     by_value
      - .offset:         1
        .size:           1
        .value_kind:     by_value
      - .offset:         4
        .size:           4
        .value_kind:     by_value
      - .offset:         8
        .size:           8
        .value_kind:     by_value
      - .address_space:  global
        .offset:         16
        .size:           8
        .value_kind:     global_buffer
      - .address_space:  global
        .offset:         24
        .size:           8
        .value_kind:     global_buffer
      - .actual_access:  read_only
        .address_space:  global
        .offset:         32
        .size:           8
        .value_kind:     global_buffer
      - .actual_access:  read_only
        .address_space:  global
        .offset:         40
        .size:           8
        .value_kind:     global_buffer
      - .actual_access:  read_only
        .address_space:  global
        .offset:         48
        .size:           8
        .value_kind:     global_buffer
      - .address_space:  global
        .offset:         56
        .size:           8
        .value_kind:     global_buffer
      - .offset:         64
        .size:           4
        .value_kind:     by_value
      - .offset:         68
        .size:           1
        .value_kind:     by_value
      - .offset:         72
        .size:           4
        .value_kind:     hidden_block_count_x
      - .offset:         76
        .size:           4
        .value_kind:     hidden_block_count_y
      - .offset:         80
        .size:           4
        .value_kind:     hidden_block_count_z
      - .offset:         84
        .size:           2
        .value_kind:     hidden_group_size_x
      - .offset:         86
        .size:           2
        .value_kind:     hidden_group_size_y
      - .offset:         88
        .size:           2
        .value_kind:     hidden_group_size_z
      - .offset:         90
        .size:           2
        .value_kind:     hidden_remainder_x
      - .offset:         92
        .size:           2
        .value_kind:     hidden_remainder_y
      - .offset:         94
        .size:           2
        .value_kind:     hidden_remainder_z
      - .offset:         112
        .size:           8
        .value_kind:     hidden_global_offset_x
      - .offset:         120
        .size:           8
        .value_kind:     hidden_global_offset_y
      - .offset:         128
        .size:           8
        .value_kind:     hidden_global_offset_z
      - .offset:         136
        .size:           2
        .value_kind:     hidden_grid_dims
    .group_segment_fixed_size: 0
    .kernarg_segment_align: 8
    .kernarg_segment_size: 328
    .language:       OpenCL C
    .language_version:
      - 2
      - 0
    .max_flat_workgroup_size: 256
    .name:           _ZN9rocsparseL21csrmvt_general_kernelILj256ELj64EiifdddEEvbbT2_NS_24const_host_device_scalarIT6_EEPKT1_S7_PKS1_PKT3_PKT4_PT5_21rocsparse_index_base_b
    .private_segment_fixed_size: 0
    .sgpr_count:     32
    .sgpr_spill_count: 0
    .symbol:         _ZN9rocsparseL21csrmvt_general_kernelILj256ELj64EiifdddEEvbbT2_NS_24const_host_device_scalarIT6_EEPKT1_S7_PKS1_PKT3_PKT4_PT5_21rocsparse_index_base_b.kd
    .uniform_work_group_size: 1
    .uses_dynamic_stack: false
    .vgpr_count:     22
    .vgpr_spill_count: 0
    .wavefront_size: 64
  - .agpr_count:     0
    .args:
      - .offset:         0
        .size:           1
        .value_kind:     by_value
      - .offset:         4
        .size:           4
        .value_kind:     by_value
      - .offset:         8
        .size:           8
        .value_kind:     by_value
      - .address_space:  global
        .offset:         16
        .size:           8
        .value_kind:     global_buffer
      - .address_space:  global
        .offset:         24
        .size:           8
        .value_kind:     global_buffer
      - .actual_access:  read_only
        .address_space:  global
        .offset:         32
        .size:           8
        .value_kind:     global_buffer
      - .actual_access:  read_only
        .address_space:  global
        .offset:         40
        .size:           8
        .value_kind:     global_buffer
      - .actual_access:  read_only
        .address_space:  global
        .offset:         48
        .size:           8
        .value_kind:     global_buffer
      - .offset:         56
        .size:           8
        .value_kind:     by_value
      - .address_space:  global
        .offset:         64
        .size:           8
        .value_kind:     global_buffer
      - .offset:         72
        .size:           4
        .value_kind:     by_value
      - .offset:         76
        .size:           1
        .value_kind:     by_value
      - .offset:         80
        .size:           4
        .value_kind:     hidden_block_count_x
      - .offset:         84
        .size:           4
        .value_kind:     hidden_block_count_y
      - .offset:         88
        .size:           4
        .value_kind:     hidden_block_count_z
      - .offset:         92
        .size:           2
        .value_kind:     hidden_group_size_x
      - .offset:         94
        .size:           2
        .value_kind:     hidden_group_size_y
      - .offset:         96
        .size:           2
        .value_kind:     hidden_group_size_z
      - .offset:         98
        .size:           2
        .value_kind:     hidden_remainder_x
      - .offset:         100
        .size:           2
        .value_kind:     hidden_remainder_y
      - .offset:         102
        .size:           2
        .value_kind:     hidden_remainder_z
      - .offset:         120
        .size:           8
        .value_kind:     hidden_global_offset_x
      - .offset:         128
        .size:           8
        .value_kind:     hidden_global_offset_y
      - .offset:         136
        .size:           8
        .value_kind:     hidden_global_offset_z
      - .offset:         144
        .size:           2
        .value_kind:     hidden_grid_dims
    .group_segment_fixed_size: 0
    .kernarg_segment_align: 8
    .kernarg_segment_size: 336
    .language:       OpenCL C
    .language_version:
      - 2
      - 0
    .max_flat_workgroup_size: 256
    .name:           _ZN9rocsparseL21csrmvn_general_kernelILj256ELj2ElifdddEEvbT2_NS_24const_host_device_scalarIT6_EEPKT1_S7_PKS1_PKT3_PKT4_S4_PT5_21rocsparse_index_base_b
    .private_segment_fixed_size: 0
    .sgpr_count:     28
    .sgpr_spill_count: 0
    .symbol:         _ZN9rocsparseL21csrmvn_general_kernelILj256ELj2ElifdddEEvbT2_NS_24const_host_device_scalarIT6_EEPKT1_S7_PKS1_PKT3_PKT4_S4_PT5_21rocsparse_index_base_b.kd
    .uniform_work_group_size: 1
    .uses_dynamic_stack: false
    .vgpr_count:     28
    .vgpr_spill_count: 0
    .wavefront_size: 64
  - .agpr_count:     0
    .args:
      - .offset:         0
        .size:           1
        .value_kind:     by_value
      - .offset:         4
        .size:           4
        .value_kind:     by_value
      - .offset:         8
        .size:           8
        .value_kind:     by_value
      - .address_space:  global
        .offset:         16
        .size:           8
        .value_kind:     global_buffer
      - .address_space:  global
        .offset:         24
        .size:           8
        .value_kind:     global_buffer
      - .actual_access:  read_only
        .address_space:  global
        .offset:         32
        .size:           8
        .value_kind:     global_buffer
      - .actual_access:  read_only
        .address_space:  global
        .offset:         40
        .size:           8
        .value_kind:     global_buffer
      - .actual_access:  read_only
        .address_space:  global
        .offset:         48
        .size:           8
        .value_kind:     global_buffer
      - .offset:         56
        .size:           8
        .value_kind:     by_value
      - .address_space:  global
        .offset:         64
        .size:           8
        .value_kind:     global_buffer
      - .offset:         72
        .size:           4
        .value_kind:     by_value
      - .offset:         76
        .size:           1
        .value_kind:     by_value
      - .offset:         80
        .size:           4
        .value_kind:     hidden_block_count_x
      - .offset:         84
        .size:           4
        .value_kind:     hidden_block_count_y
      - .offset:         88
        .size:           4
        .value_kind:     hidden_block_count_z
      - .offset:         92
        .size:           2
        .value_kind:     hidden_group_size_x
      - .offset:         94
        .size:           2
        .value_kind:     hidden_group_size_y
      - .offset:         96
        .size:           2
        .value_kind:     hidden_group_size_z
      - .offset:         98
        .size:           2
        .value_kind:     hidden_remainder_x
      - .offset:         100
        .size:           2
        .value_kind:     hidden_remainder_y
      - .offset:         102
        .size:           2
        .value_kind:     hidden_remainder_z
      - .offset:         120
        .size:           8
        .value_kind:     hidden_global_offset_x
      - .offset:         128
        .size:           8
        .value_kind:     hidden_global_offset_y
      - .offset:         136
        .size:           8
        .value_kind:     hidden_global_offset_z
      - .offset:         144
        .size:           2
        .value_kind:     hidden_grid_dims
    .group_segment_fixed_size: 0
    .kernarg_segment_align: 8
    .kernarg_segment_size: 336
    .language:       OpenCL C
    .language_version:
      - 2
      - 0
    .max_flat_workgroup_size: 256
    .name:           _ZN9rocsparseL21csrmvn_general_kernelILj256ELj4ElifdddEEvbT2_NS_24const_host_device_scalarIT6_EEPKT1_S7_PKS1_PKT3_PKT4_S4_PT5_21rocsparse_index_base_b
    .private_segment_fixed_size: 0
    .sgpr_count:     28
    .sgpr_spill_count: 0
    .symbol:         _ZN9rocsparseL21csrmvn_general_kernelILj256ELj4ElifdddEEvbT2_NS_24const_host_device_scalarIT6_EEPKT1_S7_PKS1_PKT3_PKT4_S4_PT5_21rocsparse_index_base_b.kd
    .uniform_work_group_size: 1
    .uses_dynamic_stack: false
    .vgpr_count:     28
    .vgpr_spill_count: 0
    .wavefront_size: 64
  - .agpr_count:     0
    .args:
      - .offset:         0
        .size:           1
        .value_kind:     by_value
      - .offset:         4
        .size:           4
        .value_kind:     by_value
      - .offset:         8
        .size:           8
        .value_kind:     by_value
      - .address_space:  global
        .offset:         16
        .size:           8
        .value_kind:     global_buffer
      - .address_space:  global
        .offset:         24
        .size:           8
        .value_kind:     global_buffer
      - .actual_access:  read_only
        .address_space:  global
        .offset:         32
        .size:           8
        .value_kind:     global_buffer
      - .actual_access:  read_only
        .address_space:  global
        .offset:         40
        .size:           8
        .value_kind:     global_buffer
      - .actual_access:  read_only
        .address_space:  global
        .offset:         48
        .size:           8
        .value_kind:     global_buffer
      - .offset:         56
        .size:           8
        .value_kind:     by_value
      - .address_space:  global
        .offset:         64
        .size:           8
        .value_kind:     global_buffer
      - .offset:         72
        .size:           4
        .value_kind:     by_value
      - .offset:         76
        .size:           1
        .value_kind:     by_value
      - .offset:         80
        .size:           4
        .value_kind:     hidden_block_count_x
      - .offset:         84
        .size:           4
        .value_kind:     hidden_block_count_y
      - .offset:         88
        .size:           4
        .value_kind:     hidden_block_count_z
      - .offset:         92
        .size:           2
        .value_kind:     hidden_group_size_x
      - .offset:         94
        .size:           2
        .value_kind:     hidden_group_size_y
      - .offset:         96
        .size:           2
        .value_kind:     hidden_group_size_z
      - .offset:         98
        .size:           2
        .value_kind:     hidden_remainder_x
      - .offset:         100
        .size:           2
        .value_kind:     hidden_remainder_y
      - .offset:         102
        .size:           2
        .value_kind:     hidden_remainder_z
      - .offset:         120
        .size:           8
        .value_kind:     hidden_global_offset_x
      - .offset:         128
        .size:           8
        .value_kind:     hidden_global_offset_y
      - .offset:         136
        .size:           8
        .value_kind:     hidden_global_offset_z
      - .offset:         144
        .size:           2
        .value_kind:     hidden_grid_dims
    .group_segment_fixed_size: 0
    .kernarg_segment_align: 8
    .kernarg_segment_size: 336
    .language:       OpenCL C
    .language_version:
      - 2
      - 0
    .max_flat_workgroup_size: 256
    .name:           _ZN9rocsparseL21csrmvn_general_kernelILj256ELj8ElifdddEEvbT2_NS_24const_host_device_scalarIT6_EEPKT1_S7_PKS1_PKT3_PKT4_S4_PT5_21rocsparse_index_base_b
    .private_segment_fixed_size: 0
    .sgpr_count:     28
    .sgpr_spill_count: 0
    .symbol:         _ZN9rocsparseL21csrmvn_general_kernelILj256ELj8ElifdddEEvbT2_NS_24const_host_device_scalarIT6_EEPKT1_S7_PKS1_PKT3_PKT4_S4_PT5_21rocsparse_index_base_b.kd
    .uniform_work_group_size: 1
    .uses_dynamic_stack: false
    .vgpr_count:     28
    .vgpr_spill_count: 0
    .wavefront_size: 64
  - .agpr_count:     0
    .args:
      - .offset:         0
        .size:           1
        .value_kind:     by_value
      - .offset:         4
        .size:           4
        .value_kind:     by_value
      - .offset:         8
        .size:           8
        .value_kind:     by_value
      - .address_space:  global
        .offset:         16
        .size:           8
        .value_kind:     global_buffer
      - .address_space:  global
        .offset:         24
        .size:           8
        .value_kind:     global_buffer
      - .actual_access:  read_only
        .address_space:  global
        .offset:         32
        .size:           8
        .value_kind:     global_buffer
      - .actual_access:  read_only
        .address_space:  global
        .offset:         40
        .size:           8
        .value_kind:     global_buffer
      - .actual_access:  read_only
        .address_space:  global
        .offset:         48
        .size:           8
        .value_kind:     global_buffer
      - .offset:         56
        .size:           8
        .value_kind:     by_value
      - .address_space:  global
        .offset:         64
        .size:           8
        .value_kind:     global_buffer
      - .offset:         72
        .size:           4
        .value_kind:     by_value
      - .offset:         76
        .size:           1
        .value_kind:     by_value
      - .offset:         80
        .size:           4
        .value_kind:     hidden_block_count_x
      - .offset:         84
        .size:           4
        .value_kind:     hidden_block_count_y
      - .offset:         88
        .size:           4
        .value_kind:     hidden_block_count_z
      - .offset:         92
        .size:           2
        .value_kind:     hidden_group_size_x
      - .offset:         94
        .size:           2
        .value_kind:     hidden_group_size_y
      - .offset:         96
        .size:           2
        .value_kind:     hidden_group_size_z
      - .offset:         98
        .size:           2
        .value_kind:     hidden_remainder_x
      - .offset:         100
        .size:           2
        .value_kind:     hidden_remainder_y
      - .offset:         102
        .size:           2
        .value_kind:     hidden_remainder_z
      - .offset:         120
        .size:           8
        .value_kind:     hidden_global_offset_x
      - .offset:         128
        .size:           8
        .value_kind:     hidden_global_offset_y
      - .offset:         136
        .size:           8
        .value_kind:     hidden_global_offset_z
      - .offset:         144
        .size:           2
        .value_kind:     hidden_grid_dims
    .group_segment_fixed_size: 0
    .kernarg_segment_align: 8
    .kernarg_segment_size: 336
    .language:       OpenCL C
    .language_version:
      - 2
      - 0
    .max_flat_workgroup_size: 256
    .name:           _ZN9rocsparseL21csrmvn_general_kernelILj256ELj16ElifdddEEvbT2_NS_24const_host_device_scalarIT6_EEPKT1_S7_PKS1_PKT3_PKT4_S4_PT5_21rocsparse_index_base_b
    .private_segment_fixed_size: 0
    .sgpr_count:     28
    .sgpr_spill_count: 0
    .symbol:         _ZN9rocsparseL21csrmvn_general_kernelILj256ELj16ElifdddEEvbT2_NS_24const_host_device_scalarIT6_EEPKT1_S7_PKS1_PKT3_PKT4_S4_PT5_21rocsparse_index_base_b.kd
    .uniform_work_group_size: 1
    .uses_dynamic_stack: false
    .vgpr_count:     28
    .vgpr_spill_count: 0
    .wavefront_size: 64
  - .agpr_count:     0
    .args:
      - .offset:         0
        .size:           1
        .value_kind:     by_value
      - .offset:         4
        .size:           4
        .value_kind:     by_value
      - .offset:         8
        .size:           8
        .value_kind:     by_value
      - .address_space:  global
        .offset:         16
        .size:           8
        .value_kind:     global_buffer
      - .address_space:  global
        .offset:         24
        .size:           8
        .value_kind:     global_buffer
      - .actual_access:  read_only
        .address_space:  global
        .offset:         32
        .size:           8
        .value_kind:     global_buffer
      - .actual_access:  read_only
        .address_space:  global
        .offset:         40
        .size:           8
        .value_kind:     global_buffer
      - .actual_access:  read_only
        .address_space:  global
        .offset:         48
        .size:           8
        .value_kind:     global_buffer
      - .offset:         56
        .size:           8
        .value_kind:     by_value
      - .address_space:  global
        .offset:         64
        .size:           8
        .value_kind:     global_buffer
      - .offset:         72
        .size:           4
        .value_kind:     by_value
      - .offset:         76
        .size:           1
        .value_kind:     by_value
      - .offset:         80
        .size:           4
        .value_kind:     hidden_block_count_x
      - .offset:         84
        .size:           4
        .value_kind:     hidden_block_count_y
      - .offset:         88
        .size:           4
        .value_kind:     hidden_block_count_z
      - .offset:         92
        .size:           2
        .value_kind:     hidden_group_size_x
      - .offset:         94
        .size:           2
        .value_kind:     hidden_group_size_y
      - .offset:         96
        .size:           2
        .value_kind:     hidden_group_size_z
      - .offset:         98
        .size:           2
        .value_kind:     hidden_remainder_x
      - .offset:         100
        .size:           2
        .value_kind:     hidden_remainder_y
      - .offset:         102
        .size:           2
        .value_kind:     hidden_remainder_z
      - .offset:         120
        .size:           8
        .value_kind:     hidden_global_offset_x
      - .offset:         128
        .size:           8
        .value_kind:     hidden_global_offset_y
      - .offset:         136
        .size:           8
        .value_kind:     hidden_global_offset_z
      - .offset:         144
        .size:           2
        .value_kind:     hidden_grid_dims
    .group_segment_fixed_size: 0
    .kernarg_segment_align: 8
    .kernarg_segment_size: 336
    .language:       OpenCL C
    .language_version:
      - 2
      - 0
    .max_flat_workgroup_size: 256
    .name:           _ZN9rocsparseL21csrmvn_general_kernelILj256ELj32ElifdddEEvbT2_NS_24const_host_device_scalarIT6_EEPKT1_S7_PKS1_PKT3_PKT4_S4_PT5_21rocsparse_index_base_b
    .private_segment_fixed_size: 0
    .sgpr_count:     30
    .sgpr_spill_count: 0
    .symbol:         _ZN9rocsparseL21csrmvn_general_kernelILj256ELj32ElifdddEEvbT2_NS_24const_host_device_scalarIT6_EEPKT1_S7_PKS1_PKT3_PKT4_S4_PT5_21rocsparse_index_base_b.kd
    .uniform_work_group_size: 1
    .uses_dynamic_stack: false
    .vgpr_count:     28
    .vgpr_spill_count: 0
    .wavefront_size: 64
  - .agpr_count:     0
    .args:
      - .offset:         0
        .size:           1
        .value_kind:     by_value
      - .offset:         4
        .size:           4
        .value_kind:     by_value
      - .offset:         8
        .size:           8
        .value_kind:     by_value
      - .address_space:  global
        .offset:         16
        .size:           8
        .value_kind:     global_buffer
      - .address_space:  global
        .offset:         24
        .size:           8
        .value_kind:     global_buffer
      - .actual_access:  read_only
        .address_space:  global
        .offset:         32
        .size:           8
        .value_kind:     global_buffer
      - .actual_access:  read_only
        .address_space:  global
        .offset:         40
        .size:           8
        .value_kind:     global_buffer
      - .actual_access:  read_only
        .address_space:  global
        .offset:         48
        .size:           8
        .value_kind:     global_buffer
      - .offset:         56
        .size:           8
        .value_kind:     by_value
      - .address_space:  global
        .offset:         64
        .size:           8
        .value_kind:     global_buffer
      - .offset:         72
        .size:           4
        .value_kind:     by_value
      - .offset:         76
        .size:           1
        .value_kind:     by_value
      - .offset:         80
        .size:           4
        .value_kind:     hidden_block_count_x
      - .offset:         84
        .size:           4
        .value_kind:     hidden_block_count_y
      - .offset:         88
        .size:           4
        .value_kind:     hidden_block_count_z
      - .offset:         92
        .size:           2
        .value_kind:     hidden_group_size_x
      - .offset:         94
        .size:           2
        .value_kind:     hidden_group_size_y
      - .offset:         96
        .size:           2
        .value_kind:     hidden_group_size_z
      - .offset:         98
        .size:           2
        .value_kind:     hidden_remainder_x
      - .offset:         100
        .size:           2
        .value_kind:     hidden_remainder_y
      - .offset:         102
        .size:           2
        .value_kind:     hidden_remainder_z
      - .offset:         120
        .size:           8
        .value_kind:     hidden_global_offset_x
      - .offset:         128
        .size:           8
        .value_kind:     hidden_global_offset_y
      - .offset:         136
        .size:           8
        .value_kind:     hidden_global_offset_z
      - .offset:         144
        .size:           2
        .value_kind:     hidden_grid_dims
    .group_segment_fixed_size: 0
    .kernarg_segment_align: 8
    .kernarg_segment_size: 336
    .language:       OpenCL C
    .language_version:
      - 2
      - 0
    .max_flat_workgroup_size: 256
    .name:           _ZN9rocsparseL21csrmvn_general_kernelILj256ELj64ElifdddEEvbT2_NS_24const_host_device_scalarIT6_EEPKT1_S7_PKS1_PKT3_PKT4_S4_PT5_21rocsparse_index_base_b
    .private_segment_fixed_size: 0
    .sgpr_count:     30
    .sgpr_spill_count: 0
    .symbol:         _ZN9rocsparseL21csrmvn_general_kernelILj256ELj64ElifdddEEvbT2_NS_24const_host_device_scalarIT6_EEPKT1_S7_PKS1_PKT3_PKT4_S4_PT5_21rocsparse_index_base_b.kd
    .uniform_work_group_size: 1
    .uses_dynamic_stack: false
    .vgpr_count:     28
    .vgpr_spill_count: 0
    .wavefront_size: 64
  - .agpr_count:     0
    .args:
      - .offset:         0
        .size:           1
        .value_kind:     by_value
      - .offset:         1
        .size:           1
        .value_kind:     by_value
      - .offset:         4
        .size:           4
        .value_kind:     by_value
      - .offset:         8
        .size:           8
        .value_kind:     by_value
      - .address_space:  global
        .offset:         16
        .size:           8
        .value_kind:     global_buffer
      - .address_space:  global
        .offset:         24
        .size:           8
        .value_kind:     global_buffer
      - .actual_access:  read_only
        .address_space:  global
        .offset:         32
        .size:           8
        .value_kind:     global_buffer
      - .actual_access:  read_only
        .address_space:  global
        .offset:         40
        .size:           8
        .value_kind:     global_buffer
      - .actual_access:  read_only
        .address_space:  global
        .offset:         48
        .size:           8
        .value_kind:     global_buffer
      - .address_space:  global
        .offset:         56
        .size:           8
        .value_kind:     global_buffer
      - .offset:         64
        .size:           4
        .value_kind:     by_value
      - .offset:         68
        .size:           1
        .value_kind:     by_value
      - .offset:         72
        .size:           4
        .value_kind:     hidden_block_count_x
      - .offset:         76
        .size:           4
        .value_kind:     hidden_block_count_y
      - .offset:         80
        .size:           4
        .value_kind:     hidden_block_count_z
      - .offset:         84
        .size:           2
        .value_kind:     hidden_group_size_x
      - .offset:         86
        .size:           2
        .value_kind:     hidden_group_size_y
      - .offset:         88
        .size:           2
        .value_kind:     hidden_group_size_z
      - .offset:         90
        .size:           2
        .value_kind:     hidden_remainder_x
      - .offset:         92
        .size:           2
        .value_kind:     hidden_remainder_y
      - .offset:         94
        .size:           2
        .value_kind:     hidden_remainder_z
      - .offset:         112
        .size:           8
        .value_kind:     hidden_global_offset_x
      - .offset:         120
        .size:           8
        .value_kind:     hidden_global_offset_y
      - .offset:         128
        .size:           8
        .value_kind:     hidden_global_offset_z
      - .offset:         136
        .size:           2
        .value_kind:     hidden_grid_dims
    .group_segment_fixed_size: 0
    .kernarg_segment_align: 8
    .kernarg_segment_size: 328
    .language:       OpenCL C
    .language_version:
      - 2
      - 0
    .max_flat_workgroup_size: 256
    .name:           _ZN9rocsparseL21csrmvt_general_kernelILj256ELj4ElifdddEEvbbT2_NS_24const_host_device_scalarIT6_EEPKT1_S7_PKS1_PKT3_PKT4_PT5_21rocsparse_index_base_b
    .private_segment_fixed_size: 0
    .sgpr_count:     32
    .sgpr_spill_count: 0
    .symbol:         _ZN9rocsparseL21csrmvt_general_kernelILj256ELj4ElifdddEEvbbT2_NS_24const_host_device_scalarIT6_EEPKT1_S7_PKS1_PKT3_PKT4_PT5_21rocsparse_index_base_b.kd
    .uniform_work_group_size: 1
    .uses_dynamic_stack: false
    .vgpr_count:     25
    .vgpr_spill_count: 0
    .wavefront_size: 64
  - .agpr_count:     0
    .args:
      - .offset:         0
        .size:           1
        .value_kind:     by_value
      - .offset:         1
        .size:           1
        .value_kind:     by_value
      - .offset:         4
        .size:           4
        .value_kind:     by_value
      - .offset:         8
        .size:           8
        .value_kind:     by_value
      - .address_space:  global
        .offset:         16
        .size:           8
        .value_kind:     global_buffer
      - .address_space:  global
        .offset:         24
        .size:           8
        .value_kind:     global_buffer
      - .actual_access:  read_only
        .address_space:  global
        .offset:         32
        .size:           8
        .value_kind:     global_buffer
      - .actual_access:  read_only
        .address_space:  global
        .offset:         40
        .size:           8
        .value_kind:     global_buffer
      - .actual_access:  read_only
        .address_space:  global
        .offset:         48
        .size:           8
        .value_kind:     global_buffer
      - .address_space:  global
        .offset:         56
        .size:           8
        .value_kind:     global_buffer
      - .offset:         64
        .size:           4
        .value_kind:     by_value
      - .offset:         68
        .size:           1
        .value_kind:     by_value
      - .offset:         72
        .size:           4
        .value_kind:     hidden_block_count_x
      - .offset:         76
        .size:           4
        .value_kind:     hidden_block_count_y
      - .offset:         80
        .size:           4
        .value_kind:     hidden_block_count_z
      - .offset:         84
        .size:           2
        .value_kind:     hidden_group_size_x
      - .offset:         86
        .size:           2
        .value_kind:     hidden_group_size_y
      - .offset:         88
        .size:           2
        .value_kind:     hidden_group_size_z
      - .offset:         90
        .size:           2
        .value_kind:     hidden_remainder_x
      - .offset:         92
        .size:           2
        .value_kind:     hidden_remainder_y
      - .offset:         94
        .size:           2
        .value_kind:     hidden_remainder_z
      - .offset:         112
        .size:           8
        .value_kind:     hidden_global_offset_x
      - .offset:         120
        .size:           8
        .value_kind:     hidden_global_offset_y
      - .offset:         128
        .size:           8
        .value_kind:     hidden_global_offset_z
      - .offset:         136
        .size:           2
        .value_kind:     hidden_grid_dims
    .group_segment_fixed_size: 0
    .kernarg_segment_align: 8
    .kernarg_segment_size: 328
    .language:       OpenCL C
    .language_version:
      - 2
      - 0
    .max_flat_workgroup_size: 256
    .name:           _ZN9rocsparseL21csrmvt_general_kernelILj256ELj8ElifdddEEvbbT2_NS_24const_host_device_scalarIT6_EEPKT1_S7_PKS1_PKT3_PKT4_PT5_21rocsparse_index_base_b
    .private_segment_fixed_size: 0
    .sgpr_count:     32
    .sgpr_spill_count: 0
    .symbol:         _ZN9rocsparseL21csrmvt_general_kernelILj256ELj8ElifdddEEvbbT2_NS_24const_host_device_scalarIT6_EEPKT1_S7_PKS1_PKT3_PKT4_PT5_21rocsparse_index_base_b.kd
    .uniform_work_group_size: 1
    .uses_dynamic_stack: false
    .vgpr_count:     25
    .vgpr_spill_count: 0
    .wavefront_size: 64
  - .agpr_count:     0
    .args:
      - .offset:         0
        .size:           1
        .value_kind:     by_value
      - .offset:         1
        .size:           1
        .value_kind:     by_value
      - .offset:         4
        .size:           4
        .value_kind:     by_value
      - .offset:         8
        .size:           8
        .value_kind:     by_value
      - .address_space:  global
        .offset:         16
        .size:           8
        .value_kind:     global_buffer
      - .address_space:  global
        .offset:         24
        .size:           8
        .value_kind:     global_buffer
      - .actual_access:  read_only
        .address_space:  global
        .offset:         32
        .size:           8
        .value_kind:     global_buffer
      - .actual_access:  read_only
        .address_space:  global
        .offset:         40
        .size:           8
        .value_kind:     global_buffer
      - .actual_access:  read_only
        .address_space:  global
        .offset:         48
        .size:           8
        .value_kind:     global_buffer
      - .address_space:  global
        .offset:         56
        .size:           8
        .value_kind:     global_buffer
      - .offset:         64
        .size:           4
        .value_kind:     by_value
      - .offset:         68
        .size:           1
        .value_kind:     by_value
      - .offset:         72
        .size:           4
        .value_kind:     hidden_block_count_x
      - .offset:         76
        .size:           4
        .value_kind:     hidden_block_count_y
      - .offset:         80
        .size:           4
        .value_kind:     hidden_block_count_z
      - .offset:         84
        .size:           2
        .value_kind:     hidden_group_size_x
      - .offset:         86
        .size:           2
        .value_kind:     hidden_group_size_y
      - .offset:         88
        .size:           2
        .value_kind:     hidden_group_size_z
      - .offset:         90
        .size:           2
        .value_kind:     hidden_remainder_x
      - .offset:         92
        .size:           2
        .value_kind:     hidden_remainder_y
      - .offset:         94
        .size:           2
        .value_kind:     hidden_remainder_z
      - .offset:         112
        .size:           8
        .value_kind:     hidden_global_offset_x
      - .offset:         120
        .size:           8
        .value_kind:     hidden_global_offset_y
      - .offset:         128
        .size:           8
        .value_kind:     hidden_global_offset_z
      - .offset:         136
        .size:           2
        .value_kind:     hidden_grid_dims
    .group_segment_fixed_size: 0
    .kernarg_segment_align: 8
    .kernarg_segment_size: 328
    .language:       OpenCL C
    .language_version:
      - 2
      - 0
    .max_flat_workgroup_size: 256
    .name:           _ZN9rocsparseL21csrmvt_general_kernelILj256ELj16ElifdddEEvbbT2_NS_24const_host_device_scalarIT6_EEPKT1_S7_PKS1_PKT3_PKT4_PT5_21rocsparse_index_base_b
    .private_segment_fixed_size: 0
    .sgpr_count:     32
    .sgpr_spill_count: 0
    .symbol:         _ZN9rocsparseL21csrmvt_general_kernelILj256ELj16ElifdddEEvbbT2_NS_24const_host_device_scalarIT6_EEPKT1_S7_PKS1_PKT3_PKT4_PT5_21rocsparse_index_base_b.kd
    .uniform_work_group_size: 1
    .uses_dynamic_stack: false
    .vgpr_count:     25
    .vgpr_spill_count: 0
    .wavefront_size: 64
  - .agpr_count:     0
    .args:
      - .offset:         0
        .size:           1
        .value_kind:     by_value
      - .offset:         1
        .size:           1
        .value_kind:     by_value
      - .offset:         4
        .size:           4
        .value_kind:     by_value
      - .offset:         8
        .size:           8
        .value_kind:     by_value
      - .address_space:  global
        .offset:         16
        .size:           8
        .value_kind:     global_buffer
      - .address_space:  global
        .offset:         24
        .size:           8
        .value_kind:     global_buffer
      - .actual_access:  read_only
        .address_space:  global
        .offset:         32
        .size:           8
        .value_kind:     global_buffer
      - .actual_access:  read_only
        .address_space:  global
        .offset:         40
        .size:           8
        .value_kind:     global_buffer
      - .actual_access:  read_only
        .address_space:  global
        .offset:         48
        .size:           8
        .value_kind:     global_buffer
      - .address_space:  global
        .offset:         56
        .size:           8
        .value_kind:     global_buffer
      - .offset:         64
        .size:           4
        .value_kind:     by_value
      - .offset:         68
        .size:           1
        .value_kind:     by_value
      - .offset:         72
        .size:           4
        .value_kind:     hidden_block_count_x
      - .offset:         76
        .size:           4
        .value_kind:     hidden_block_count_y
      - .offset:         80
        .size:           4
        .value_kind:     hidden_block_count_z
      - .offset:         84
        .size:           2
        .value_kind:     hidden_group_size_x
      - .offset:         86
        .size:           2
        .value_kind:     hidden_group_size_y
      - .offset:         88
        .size:           2
        .value_kind:     hidden_group_size_z
      - .offset:         90
        .size:           2
        .value_kind:     hidden_remainder_x
      - .offset:         92
        .size:           2
        .value_kind:     hidden_remainder_y
      - .offset:         94
        .size:           2
        .value_kind:     hidden_remainder_z
      - .offset:         112
        .size:           8
        .value_kind:     hidden_global_offset_x
      - .offset:         120
        .size:           8
        .value_kind:     hidden_global_offset_y
      - .offset:         128
        .size:           8
        .value_kind:     hidden_global_offset_z
      - .offset:         136
        .size:           2
        .value_kind:     hidden_grid_dims
    .group_segment_fixed_size: 0
    .kernarg_segment_align: 8
    .kernarg_segment_size: 328
    .language:       OpenCL C
    .language_version:
      - 2
      - 0
    .max_flat_workgroup_size: 256
    .name:           _ZN9rocsparseL21csrmvt_general_kernelILj256ELj32ElifdddEEvbbT2_NS_24const_host_device_scalarIT6_EEPKT1_S7_PKS1_PKT3_PKT4_PT5_21rocsparse_index_base_b
    .private_segment_fixed_size: 0
    .sgpr_count:     32
    .sgpr_spill_count: 0
    .symbol:         _ZN9rocsparseL21csrmvt_general_kernelILj256ELj32ElifdddEEvbbT2_NS_24const_host_device_scalarIT6_EEPKT1_S7_PKS1_PKT3_PKT4_PT5_21rocsparse_index_base_b.kd
    .uniform_work_group_size: 1
    .uses_dynamic_stack: false
    .vgpr_count:     25
    .vgpr_spill_count: 0
    .wavefront_size: 64
  - .agpr_count:     0
    .args:
      - .offset:         0
        .size:           1
        .value_kind:     by_value
      - .offset:         1
        .size:           1
        .value_kind:     by_value
      - .offset:         4
        .size:           4
        .value_kind:     by_value
      - .offset:         8
        .size:           8
        .value_kind:     by_value
      - .address_space:  global
        .offset:         16
        .size:           8
        .value_kind:     global_buffer
      - .address_space:  global
        .offset:         24
        .size:           8
        .value_kind:     global_buffer
      - .actual_access:  read_only
        .address_space:  global
        .offset:         32
        .size:           8
        .value_kind:     global_buffer
      - .actual_access:  read_only
        .address_space:  global
        .offset:         40
        .size:           8
        .value_kind:     global_buffer
      - .actual_access:  read_only
        .address_space:  global
        .offset:         48
        .size:           8
        .value_kind:     global_buffer
      - .address_space:  global
        .offset:         56
        .size:           8
        .value_kind:     global_buffer
      - .offset:         64
        .size:           4
        .value_kind:     by_value
      - .offset:         68
        .size:           1
        .value_kind:     by_value
      - .offset:         72
        .size:           4
        .value_kind:     hidden_block_count_x
      - .offset:         76
        .size:           4
        .value_kind:     hidden_block_count_y
      - .offset:         80
        .size:           4
        .value_kind:     hidden_block_count_z
      - .offset:         84
        .size:           2
        .value_kind:     hidden_group_size_x
      - .offset:         86
        .size:           2
        .value_kind:     hidden_group_size_y
      - .offset:         88
        .size:           2
        .value_kind:     hidden_group_size_z
      - .offset:         90
        .size:           2
        .value_kind:     hidden_remainder_x
      - .offset:         92
        .size:           2
        .value_kind:     hidden_remainder_y
      - .offset:         94
        .size:           2
        .value_kind:     hidden_remainder_z
      - .offset:         112
        .size:           8
        .value_kind:     hidden_global_offset_x
      - .offset:         120
        .size:           8
        .value_kind:     hidden_global_offset_y
      - .offset:         128
        .size:           8
        .value_kind:     hidden_global_offset_z
      - .offset:         136
        .size:           2
        .value_kind:     hidden_grid_dims
    .group_segment_fixed_size: 0
    .kernarg_segment_align: 8
    .kernarg_segment_size: 328
    .language:       OpenCL C
    .language_version:
      - 2
      - 0
    .max_flat_workgroup_size: 256
    .name:           _ZN9rocsparseL21csrmvt_general_kernelILj256ELj64ElifdddEEvbbT2_NS_24const_host_device_scalarIT6_EEPKT1_S7_PKS1_PKT3_PKT4_PT5_21rocsparse_index_base_b
    .private_segment_fixed_size: 0
    .sgpr_count:     32
    .sgpr_spill_count: 0
    .symbol:         _ZN9rocsparseL21csrmvt_general_kernelILj256ELj64ElifdddEEvbbT2_NS_24const_host_device_scalarIT6_EEPKT1_S7_PKS1_PKT3_PKT4_PT5_21rocsparse_index_base_b.kd
    .uniform_work_group_size: 1
    .uses_dynamic_stack: false
    .vgpr_count:     25
    .vgpr_spill_count: 0
    .wavefront_size: 64
  - .agpr_count:     0
    .args:
      - .offset:         0
        .size:           1
        .value_kind:     by_value
      - .offset:         8
        .size:           8
        .value_kind:     by_value
      - .offset:         16
        .size:           8
        .value_kind:     by_value
      - .address_space:  global
        .offset:         24
        .size:           8
        .value_kind:     global_buffer
      - .address_space:  global
        .offset:         32
        .size:           8
        .value_kind:     global_buffer
      - .actual_access:  read_only
        .address_space:  global
        .offset:         40
        .size:           8
        .value_kind:     global_buffer
      - .actual_access:  read_only
        .address_space:  global
        .offset:         48
        .size:           8
        .value_kind:     global_buffer
      - .actual_access:  read_only
        .address_space:  global
        .offset:         56
        .size:           8
        .value_kind:     global_buffer
      - .offset:         64
        .size:           8
        .value_kind:     by_value
      - .address_space:  global
        .offset:         72
        .size:           8
        .value_kind:     global_buffer
      - .offset:         80
        .size:           4
        .value_kind:     by_value
      - .offset:         84
        .size:           1
        .value_kind:     by_value
      - .offset:         88
        .size:           4
        .value_kind:     hidden_block_count_x
      - .offset:         92
        .size:           4
        .value_kind:     hidden_block_count_y
      - .offset:         96
        .size:           4
        .value_kind:     hidden_block_count_z
      - .offset:         100
        .size:           2
        .value_kind:     hidden_group_size_x
      - .offset:         102
        .size:           2
        .value_kind:     hidden_group_size_y
      - .offset:         104
        .size:           2
        .value_kind:     hidden_group_size_z
      - .offset:         106
        .size:           2
        .value_kind:     hidden_remainder_x
      - .offset:         108
        .size:           2
        .value_kind:     hidden_remainder_y
      - .offset:         110
        .size:           2
        .value_kind:     hidden_remainder_z
      - .offset:         128
        .size:           8
        .value_kind:     hidden_global_offset_x
      - .offset:         136
        .size:           8
        .value_kind:     hidden_global_offset_y
      - .offset:         144
        .size:           8
        .value_kind:     hidden_global_offset_z
      - .offset:         152
        .size:           2
        .value_kind:     hidden_grid_dims
    .group_segment_fixed_size: 0
    .kernarg_segment_align: 8
    .kernarg_segment_size: 344
    .language:       OpenCL C
    .language_version:
      - 2
      - 0
    .max_flat_workgroup_size: 256
    .name:           _ZN9rocsparseL21csrmvn_general_kernelILj256ELj2EllfdddEEvbT2_NS_24const_host_device_scalarIT6_EEPKT1_S7_PKS1_PKT3_PKT4_S4_PT5_21rocsparse_index_base_b
    .private_segment_fixed_size: 0
    .sgpr_count:     30
    .sgpr_spill_count: 0
    .symbol:         _ZN9rocsparseL21csrmvn_general_kernelILj256ELj2EllfdddEEvbT2_NS_24const_host_device_scalarIT6_EEPKT1_S7_PKS1_PKT3_PKT4_S4_PT5_21rocsparse_index_base_b.kd
    .uniform_work_group_size: 1
    .uses_dynamic_stack: false
    .vgpr_count:     28
    .vgpr_spill_count: 0
    .wavefront_size: 64
  - .agpr_count:     0
    .args:
      - .offset:         0
        .size:           1
        .value_kind:     by_value
      - .offset:         8
        .size:           8
        .value_kind:     by_value
      - .offset:         16
        .size:           8
        .value_kind:     by_value
      - .address_space:  global
        .offset:         24
        .size:           8
        .value_kind:     global_buffer
      - .address_space:  global
        .offset:         32
        .size:           8
        .value_kind:     global_buffer
      - .actual_access:  read_only
        .address_space:  global
        .offset:         40
        .size:           8
        .value_kind:     global_buffer
      - .actual_access:  read_only
        .address_space:  global
        .offset:         48
        .size:           8
        .value_kind:     global_buffer
      - .actual_access:  read_only
        .address_space:  global
        .offset:         56
        .size:           8
        .value_kind:     global_buffer
      - .offset:         64
        .size:           8
        .value_kind:     by_value
      - .address_space:  global
        .offset:         72
        .size:           8
        .value_kind:     global_buffer
      - .offset:         80
        .size:           4
        .value_kind:     by_value
      - .offset:         84
        .size:           1
        .value_kind:     by_value
      - .offset:         88
        .size:           4
        .value_kind:     hidden_block_count_x
      - .offset:         92
        .size:           4
        .value_kind:     hidden_block_count_y
      - .offset:         96
        .size:           4
        .value_kind:     hidden_block_count_z
      - .offset:         100
        .size:           2
        .value_kind:     hidden_group_size_x
      - .offset:         102
        .size:           2
        .value_kind:     hidden_group_size_y
      - .offset:         104
        .size:           2
        .value_kind:     hidden_group_size_z
      - .offset:         106
        .size:           2
        .value_kind:     hidden_remainder_x
      - .offset:         108
        .size:           2
        .value_kind:     hidden_remainder_y
      - .offset:         110
        .size:           2
        .value_kind:     hidden_remainder_z
      - .offset:         128
        .size:           8
        .value_kind:     hidden_global_offset_x
      - .offset:         136
        .size:           8
        .value_kind:     hidden_global_offset_y
      - .offset:         144
        .size:           8
        .value_kind:     hidden_global_offset_z
      - .offset:         152
        .size:           2
        .value_kind:     hidden_grid_dims
    .group_segment_fixed_size: 0
    .kernarg_segment_align: 8
    .kernarg_segment_size: 344
    .language:       OpenCL C
    .language_version:
      - 2
      - 0
    .max_flat_workgroup_size: 256
    .name:           _ZN9rocsparseL21csrmvn_general_kernelILj256ELj4EllfdddEEvbT2_NS_24const_host_device_scalarIT6_EEPKT1_S7_PKS1_PKT3_PKT4_S4_PT5_21rocsparse_index_base_b
    .private_segment_fixed_size: 0
    .sgpr_count:     30
    .sgpr_spill_count: 0
    .symbol:         _ZN9rocsparseL21csrmvn_general_kernelILj256ELj4EllfdddEEvbT2_NS_24const_host_device_scalarIT6_EEPKT1_S7_PKS1_PKT3_PKT4_S4_PT5_21rocsparse_index_base_b.kd
    .uniform_work_group_size: 1
    .uses_dynamic_stack: false
    .vgpr_count:     28
    .vgpr_spill_count: 0
    .wavefront_size: 64
  - .agpr_count:     0
    .args:
      - .offset:         0
        .size:           1
        .value_kind:     by_value
      - .offset:         8
        .size:           8
        .value_kind:     by_value
      - .offset:         16
        .size:           8
        .value_kind:     by_value
      - .address_space:  global
        .offset:         24
        .size:           8
        .value_kind:     global_buffer
      - .address_space:  global
        .offset:         32
        .size:           8
        .value_kind:     global_buffer
      - .actual_access:  read_only
        .address_space:  global
        .offset:         40
        .size:           8
        .value_kind:     global_buffer
      - .actual_access:  read_only
        .address_space:  global
        .offset:         48
        .size:           8
        .value_kind:     global_buffer
      - .actual_access:  read_only
        .address_space:  global
        .offset:         56
        .size:           8
        .value_kind:     global_buffer
      - .offset:         64
        .size:           8
        .value_kind:     by_value
      - .address_space:  global
        .offset:         72
        .size:           8
        .value_kind:     global_buffer
      - .offset:         80
        .size:           4
        .value_kind:     by_value
      - .offset:         84
        .size:           1
        .value_kind:     by_value
      - .offset:         88
        .size:           4
        .value_kind:     hidden_block_count_x
      - .offset:         92
        .size:           4
        .value_kind:     hidden_block_count_y
      - .offset:         96
        .size:           4
        .value_kind:     hidden_block_count_z
      - .offset:         100
        .size:           2
        .value_kind:     hidden_group_size_x
      - .offset:         102
        .size:           2
        .value_kind:     hidden_group_size_y
      - .offset:         104
        .size:           2
        .value_kind:     hidden_group_size_z
      - .offset:         106
        .size:           2
        .value_kind:     hidden_remainder_x
      - .offset:         108
        .size:           2
        .value_kind:     hidden_remainder_y
      - .offset:         110
        .size:           2
        .value_kind:     hidden_remainder_z
      - .offset:         128
        .size:           8
        .value_kind:     hidden_global_offset_x
      - .offset:         136
        .size:           8
        .value_kind:     hidden_global_offset_y
      - .offset:         144
        .size:           8
        .value_kind:     hidden_global_offset_z
      - .offset:         152
        .size:           2
        .value_kind:     hidden_grid_dims
    .group_segment_fixed_size: 0
    .kernarg_segment_align: 8
    .kernarg_segment_size: 344
    .language:       OpenCL C
    .language_version:
      - 2
      - 0
    .max_flat_workgroup_size: 256
    .name:           _ZN9rocsparseL21csrmvn_general_kernelILj256ELj8EllfdddEEvbT2_NS_24const_host_device_scalarIT6_EEPKT1_S7_PKS1_PKT3_PKT4_S4_PT5_21rocsparse_index_base_b
    .private_segment_fixed_size: 0
    .sgpr_count:     30
    .sgpr_spill_count: 0
    .symbol:         _ZN9rocsparseL21csrmvn_general_kernelILj256ELj8EllfdddEEvbT2_NS_24const_host_device_scalarIT6_EEPKT1_S7_PKS1_PKT3_PKT4_S4_PT5_21rocsparse_index_base_b.kd
    .uniform_work_group_size: 1
    .uses_dynamic_stack: false
    .vgpr_count:     28
    .vgpr_spill_count: 0
    .wavefront_size: 64
  - .agpr_count:     0
    .args:
      - .offset:         0
        .size:           1
        .value_kind:     by_value
      - .offset:         8
        .size:           8
        .value_kind:     by_value
      - .offset:         16
        .size:           8
        .value_kind:     by_value
      - .address_space:  global
        .offset:         24
        .size:           8
        .value_kind:     global_buffer
      - .address_space:  global
        .offset:         32
        .size:           8
        .value_kind:     global_buffer
      - .actual_access:  read_only
        .address_space:  global
        .offset:         40
        .size:           8
        .value_kind:     global_buffer
      - .actual_access:  read_only
        .address_space:  global
        .offset:         48
        .size:           8
        .value_kind:     global_buffer
      - .actual_access:  read_only
        .address_space:  global
        .offset:         56
        .size:           8
        .value_kind:     global_buffer
      - .offset:         64
        .size:           8
        .value_kind:     by_value
      - .address_space:  global
        .offset:         72
        .size:           8
        .value_kind:     global_buffer
      - .offset:         80
        .size:           4
        .value_kind:     by_value
      - .offset:         84
        .size:           1
        .value_kind:     by_value
      - .offset:         88
        .size:           4
        .value_kind:     hidden_block_count_x
      - .offset:         92
        .size:           4
        .value_kind:     hidden_block_count_y
      - .offset:         96
        .size:           4
        .value_kind:     hidden_block_count_z
      - .offset:         100
        .size:           2
        .value_kind:     hidden_group_size_x
      - .offset:         102
        .size:           2
        .value_kind:     hidden_group_size_y
      - .offset:         104
        .size:           2
        .value_kind:     hidden_group_size_z
      - .offset:         106
        .size:           2
        .value_kind:     hidden_remainder_x
      - .offset:         108
        .size:           2
        .value_kind:     hidden_remainder_y
      - .offset:         110
        .size:           2
        .value_kind:     hidden_remainder_z
      - .offset:         128
        .size:           8
        .value_kind:     hidden_global_offset_x
      - .offset:         136
        .size:           8
        .value_kind:     hidden_global_offset_y
      - .offset:         144
        .size:           8
        .value_kind:     hidden_global_offset_z
      - .offset:         152
        .size:           2
        .value_kind:     hidden_grid_dims
    .group_segment_fixed_size: 0
    .kernarg_segment_align: 8
    .kernarg_segment_size: 344
    .language:       OpenCL C
    .language_version:
      - 2
      - 0
    .max_flat_workgroup_size: 256
    .name:           _ZN9rocsparseL21csrmvn_general_kernelILj256ELj16EllfdddEEvbT2_NS_24const_host_device_scalarIT6_EEPKT1_S7_PKS1_PKT3_PKT4_S4_PT5_21rocsparse_index_base_b
    .private_segment_fixed_size: 0
    .sgpr_count:     30
    .sgpr_spill_count: 0
    .symbol:         _ZN9rocsparseL21csrmvn_general_kernelILj256ELj16EllfdddEEvbT2_NS_24const_host_device_scalarIT6_EEPKT1_S7_PKS1_PKT3_PKT4_S4_PT5_21rocsparse_index_base_b.kd
    .uniform_work_group_size: 1
    .uses_dynamic_stack: false
    .vgpr_count:     28
    .vgpr_spill_count: 0
    .wavefront_size: 64
  - .agpr_count:     0
    .args:
      - .offset:         0
        .size:           1
        .value_kind:     by_value
      - .offset:         8
        .size:           8
        .value_kind:     by_value
      - .offset:         16
        .size:           8
        .value_kind:     by_value
      - .address_space:  global
        .offset:         24
        .size:           8
        .value_kind:     global_buffer
      - .address_space:  global
        .offset:         32
        .size:           8
        .value_kind:     global_buffer
      - .actual_access:  read_only
        .address_space:  global
        .offset:         40
        .size:           8
        .value_kind:     global_buffer
      - .actual_access:  read_only
        .address_space:  global
        .offset:         48
        .size:           8
        .value_kind:     global_buffer
      - .actual_access:  read_only
        .address_space:  global
        .offset:         56
        .size:           8
        .value_kind:     global_buffer
      - .offset:         64
        .size:           8
        .value_kind:     by_value
      - .address_space:  global
        .offset:         72
        .size:           8
        .value_kind:     global_buffer
      - .offset:         80
        .size:           4
        .value_kind:     by_value
      - .offset:         84
        .size:           1
        .value_kind:     by_value
      - .offset:         88
        .size:           4
        .value_kind:     hidden_block_count_x
      - .offset:         92
        .size:           4
        .value_kind:     hidden_block_count_y
      - .offset:         96
        .size:           4
        .value_kind:     hidden_block_count_z
      - .offset:         100
        .size:           2
        .value_kind:     hidden_group_size_x
      - .offset:         102
        .size:           2
        .value_kind:     hidden_group_size_y
      - .offset:         104
        .size:           2
        .value_kind:     hidden_group_size_z
      - .offset:         106
        .size:           2
        .value_kind:     hidden_remainder_x
      - .offset:         108
        .size:           2
        .value_kind:     hidden_remainder_y
      - .offset:         110
        .size:           2
        .value_kind:     hidden_remainder_z
      - .offset:         128
        .size:           8
        .value_kind:     hidden_global_offset_x
      - .offset:         136
        .size:           8
        .value_kind:     hidden_global_offset_y
      - .offset:         144
        .size:           8
        .value_kind:     hidden_global_offset_z
      - .offset:         152
        .size:           2
        .value_kind:     hidden_grid_dims
    .group_segment_fixed_size: 0
    .kernarg_segment_align: 8
    .kernarg_segment_size: 344
    .language:       OpenCL C
    .language_version:
      - 2
      - 0
    .max_flat_workgroup_size: 256
    .name:           _ZN9rocsparseL21csrmvn_general_kernelILj256ELj32EllfdddEEvbT2_NS_24const_host_device_scalarIT6_EEPKT1_S7_PKS1_PKT3_PKT4_S4_PT5_21rocsparse_index_base_b
    .private_segment_fixed_size: 0
    .sgpr_count:     32
    .sgpr_spill_count: 0
    .symbol:         _ZN9rocsparseL21csrmvn_general_kernelILj256ELj32EllfdddEEvbT2_NS_24const_host_device_scalarIT6_EEPKT1_S7_PKS1_PKT3_PKT4_S4_PT5_21rocsparse_index_base_b.kd
    .uniform_work_group_size: 1
    .uses_dynamic_stack: false
    .vgpr_count:     28
    .vgpr_spill_count: 0
    .wavefront_size: 64
  - .agpr_count:     0
    .args:
      - .offset:         0
        .size:           1
        .value_kind:     by_value
      - .offset:         8
        .size:           8
        .value_kind:     by_value
      - .offset:         16
        .size:           8
        .value_kind:     by_value
      - .address_space:  global
        .offset:         24
        .size:           8
        .value_kind:     global_buffer
      - .address_space:  global
        .offset:         32
        .size:           8
        .value_kind:     global_buffer
      - .actual_access:  read_only
        .address_space:  global
        .offset:         40
        .size:           8
        .value_kind:     global_buffer
      - .actual_access:  read_only
        .address_space:  global
        .offset:         48
        .size:           8
        .value_kind:     global_buffer
      - .actual_access:  read_only
        .address_space:  global
        .offset:         56
        .size:           8
        .value_kind:     global_buffer
      - .offset:         64
        .size:           8
        .value_kind:     by_value
      - .address_space:  global
        .offset:         72
        .size:           8
        .value_kind:     global_buffer
      - .offset:         80
        .size:           4
        .value_kind:     by_value
      - .offset:         84
        .size:           1
        .value_kind:     by_value
      - .offset:         88
        .size:           4
        .value_kind:     hidden_block_count_x
      - .offset:         92
        .size:           4
        .value_kind:     hidden_block_count_y
      - .offset:         96
        .size:           4
        .value_kind:     hidden_block_count_z
      - .offset:         100
        .size:           2
        .value_kind:     hidden_group_size_x
      - .offset:         102
        .size:           2
        .value_kind:     hidden_group_size_y
      - .offset:         104
        .size:           2
        .value_kind:     hidden_group_size_z
      - .offset:         106
        .size:           2
        .value_kind:     hidden_remainder_x
      - .offset:         108
        .size:           2
        .value_kind:     hidden_remainder_y
      - .offset:         110
        .size:           2
        .value_kind:     hidden_remainder_z
      - .offset:         128
        .size:           8
        .value_kind:     hidden_global_offset_x
      - .offset:         136
        .size:           8
        .value_kind:     hidden_global_offset_y
      - .offset:         144
        .size:           8
        .value_kind:     hidden_global_offset_z
      - .offset:         152
        .size:           2
        .value_kind:     hidden_grid_dims
    .group_segment_fixed_size: 0
    .kernarg_segment_align: 8
    .kernarg_segment_size: 344
    .language:       OpenCL C
    .language_version:
      - 2
      - 0
    .max_flat_workgroup_size: 256
    .name:           _ZN9rocsparseL21csrmvn_general_kernelILj256ELj64EllfdddEEvbT2_NS_24const_host_device_scalarIT6_EEPKT1_S7_PKS1_PKT3_PKT4_S4_PT5_21rocsparse_index_base_b
    .private_segment_fixed_size: 0
    .sgpr_count:     32
    .sgpr_spill_count: 0
    .symbol:         _ZN9rocsparseL21csrmvn_general_kernelILj256ELj64EllfdddEEvbT2_NS_24const_host_device_scalarIT6_EEPKT1_S7_PKS1_PKT3_PKT4_S4_PT5_21rocsparse_index_base_b.kd
    .uniform_work_group_size: 1
    .uses_dynamic_stack: false
    .vgpr_count:     28
    .vgpr_spill_count: 0
    .wavefront_size: 64
  - .agpr_count:     0
    .args:
      - .offset:         0
        .size:           1
        .value_kind:     by_value
      - .offset:         1
        .size:           1
        .value_kind:     by_value
      - .offset:         8
        .size:           8
        .value_kind:     by_value
      - .offset:         16
        .size:           8
        .value_kind:     by_value
      - .address_space:  global
        .offset:         24
        .size:           8
        .value_kind:     global_buffer
      - .address_space:  global
        .offset:         32
        .size:           8
        .value_kind:     global_buffer
      - .actual_access:  read_only
        .address_space:  global
        .offset:         40
        .size:           8
        .value_kind:     global_buffer
      - .actual_access:  read_only
        .address_space:  global
        .offset:         48
        .size:           8
        .value_kind:     global_buffer
      - .actual_access:  read_only
        .address_space:  global
        .offset:         56
        .size:           8
        .value_kind:     global_buffer
      - .address_space:  global
        .offset:         64
        .size:           8
        .value_kind:     global_buffer
      - .offset:         72
        .size:           4
        .value_kind:     by_value
      - .offset:         76
        .size:           1
        .value_kind:     by_value
      - .offset:         80
        .size:           4
        .value_kind:     hidden_block_count_x
      - .offset:         84
        .size:           4
        .value_kind:     hidden_block_count_y
      - .offset:         88
        .size:           4
        .value_kind:     hidden_block_count_z
      - .offset:         92
        .size:           2
        .value_kind:     hidden_group_size_x
      - .offset:         94
        .size:           2
        .value_kind:     hidden_group_size_y
      - .offset:         96
        .size:           2
        .value_kind:     hidden_group_size_z
      - .offset:         98
        .size:           2
        .value_kind:     hidden_remainder_x
      - .offset:         100
        .size:           2
        .value_kind:     hidden_remainder_y
      - .offset:         102
        .size:           2
        .value_kind:     hidden_remainder_z
      - .offset:         120
        .size:           8
        .value_kind:     hidden_global_offset_x
      - .offset:         128
        .size:           8
        .value_kind:     hidden_global_offset_y
      - .offset:         136
        .size:           8
        .value_kind:     hidden_global_offset_z
      - .offset:         144
        .size:           2
        .value_kind:     hidden_grid_dims
    .group_segment_fixed_size: 0
    .kernarg_segment_align: 8
    .kernarg_segment_size: 336
    .language:       OpenCL C
    .language_version:
      - 2
      - 0
    .max_flat_workgroup_size: 256
    .name:           _ZN9rocsparseL21csrmvt_general_kernelILj256ELj4EllfdddEEvbbT2_NS_24const_host_device_scalarIT6_EEPKT1_S7_PKS1_PKT3_PKT4_PT5_21rocsparse_index_base_b
    .private_segment_fixed_size: 0
    .sgpr_count:     32
    .sgpr_spill_count: 0
    .symbol:         _ZN9rocsparseL21csrmvt_general_kernelILj256ELj4EllfdddEEvbbT2_NS_24const_host_device_scalarIT6_EEPKT1_S7_PKS1_PKT3_PKT4_PT5_21rocsparse_index_base_b.kd
    .uniform_work_group_size: 1
    .uses_dynamic_stack: false
    .vgpr_count:     26
    .vgpr_spill_count: 0
    .wavefront_size: 64
  - .agpr_count:     0
    .args:
      - .offset:         0
        .size:           1
        .value_kind:     by_value
      - .offset:         1
        .size:           1
        .value_kind:     by_value
      - .offset:         8
        .size:           8
        .value_kind:     by_value
      - .offset:         16
        .size:           8
        .value_kind:     by_value
      - .address_space:  global
        .offset:         24
        .size:           8
        .value_kind:     global_buffer
      - .address_space:  global
        .offset:         32
        .size:           8
        .value_kind:     global_buffer
      - .actual_access:  read_only
        .address_space:  global
        .offset:         40
        .size:           8
        .value_kind:     global_buffer
      - .actual_access:  read_only
        .address_space:  global
        .offset:         48
        .size:           8
        .value_kind:     global_buffer
      - .actual_access:  read_only
        .address_space:  global
        .offset:         56
        .size:           8
        .value_kind:     global_buffer
      - .address_space:  global
        .offset:         64
        .size:           8
        .value_kind:     global_buffer
      - .offset:         72
        .size:           4
        .value_kind:     by_value
      - .offset:         76
        .size:           1
        .value_kind:     by_value
      - .offset:         80
        .size:           4
        .value_kind:     hidden_block_count_x
      - .offset:         84
        .size:           4
        .value_kind:     hidden_block_count_y
      - .offset:         88
        .size:           4
        .value_kind:     hidden_block_count_z
      - .offset:         92
        .size:           2
        .value_kind:     hidden_group_size_x
      - .offset:         94
        .size:           2
        .value_kind:     hidden_group_size_y
      - .offset:         96
        .size:           2
        .value_kind:     hidden_group_size_z
      - .offset:         98
        .size:           2
        .value_kind:     hidden_remainder_x
      - .offset:         100
        .size:           2
        .value_kind:     hidden_remainder_y
      - .offset:         102
        .size:           2
        .value_kind:     hidden_remainder_z
      - .offset:         120
        .size:           8
        .value_kind:     hidden_global_offset_x
      - .offset:         128
        .size:           8
        .value_kind:     hidden_global_offset_y
      - .offset:         136
        .size:           8
        .value_kind:     hidden_global_offset_z
      - .offset:         144
        .size:           2
        .value_kind:     hidden_grid_dims
    .group_segment_fixed_size: 0
    .kernarg_segment_align: 8
    .kernarg_segment_size: 336
    .language:       OpenCL C
    .language_version:
      - 2
      - 0
    .max_flat_workgroup_size: 256
    .name:           _ZN9rocsparseL21csrmvt_general_kernelILj256ELj8EllfdddEEvbbT2_NS_24const_host_device_scalarIT6_EEPKT1_S7_PKS1_PKT3_PKT4_PT5_21rocsparse_index_base_b
    .private_segment_fixed_size: 0
    .sgpr_count:     32
    .sgpr_spill_count: 0
    .symbol:         _ZN9rocsparseL21csrmvt_general_kernelILj256ELj8EllfdddEEvbbT2_NS_24const_host_device_scalarIT6_EEPKT1_S7_PKS1_PKT3_PKT4_PT5_21rocsparse_index_base_b.kd
    .uniform_work_group_size: 1
    .uses_dynamic_stack: false
    .vgpr_count:     26
    .vgpr_spill_count: 0
    .wavefront_size: 64
  - .agpr_count:     0
    .args:
      - .offset:         0
        .size:           1
        .value_kind:     by_value
      - .offset:         1
        .size:           1
        .value_kind:     by_value
      - .offset:         8
        .size:           8
        .value_kind:     by_value
      - .offset:         16
        .size:           8
        .value_kind:     by_value
      - .address_space:  global
        .offset:         24
        .size:           8
        .value_kind:     global_buffer
      - .address_space:  global
        .offset:         32
        .size:           8
        .value_kind:     global_buffer
      - .actual_access:  read_only
        .address_space:  global
        .offset:         40
        .size:           8
        .value_kind:     global_buffer
      - .actual_access:  read_only
        .address_space:  global
        .offset:         48
        .size:           8
        .value_kind:     global_buffer
      - .actual_access:  read_only
        .address_space:  global
        .offset:         56
        .size:           8
        .value_kind:     global_buffer
      - .address_space:  global
        .offset:         64
        .size:           8
        .value_kind:     global_buffer
      - .offset:         72
        .size:           4
        .value_kind:     by_value
      - .offset:         76
        .size:           1
        .value_kind:     by_value
      - .offset:         80
        .size:           4
        .value_kind:     hidden_block_count_x
      - .offset:         84
        .size:           4
        .value_kind:     hidden_block_count_y
      - .offset:         88
        .size:           4
        .value_kind:     hidden_block_count_z
      - .offset:         92
        .size:           2
        .value_kind:     hidden_group_size_x
      - .offset:         94
        .size:           2
        .value_kind:     hidden_group_size_y
      - .offset:         96
        .size:           2
        .value_kind:     hidden_group_size_z
      - .offset:         98
        .size:           2
        .value_kind:     hidden_remainder_x
      - .offset:         100
        .size:           2
        .value_kind:     hidden_remainder_y
      - .offset:         102
        .size:           2
        .value_kind:     hidden_remainder_z
      - .offset:         120
        .size:           8
        .value_kind:     hidden_global_offset_x
      - .offset:         128
        .size:           8
        .value_kind:     hidden_global_offset_y
      - .offset:         136
        .size:           8
        .value_kind:     hidden_global_offset_z
      - .offset:         144
        .size:           2
        .value_kind:     hidden_grid_dims
    .group_segment_fixed_size: 0
    .kernarg_segment_align: 8
    .kernarg_segment_size: 336
    .language:       OpenCL C
    .language_version:
      - 2
      - 0
    .max_flat_workgroup_size: 256
    .name:           _ZN9rocsparseL21csrmvt_general_kernelILj256ELj16EllfdddEEvbbT2_NS_24const_host_device_scalarIT6_EEPKT1_S7_PKS1_PKT3_PKT4_PT5_21rocsparse_index_base_b
    .private_segment_fixed_size: 0
    .sgpr_count:     32
    .sgpr_spill_count: 0
    .symbol:         _ZN9rocsparseL21csrmvt_general_kernelILj256ELj16EllfdddEEvbbT2_NS_24const_host_device_scalarIT6_EEPKT1_S7_PKS1_PKT3_PKT4_PT5_21rocsparse_index_base_b.kd
    .uniform_work_group_size: 1
    .uses_dynamic_stack: false
    .vgpr_count:     26
    .vgpr_spill_count: 0
    .wavefront_size: 64
  - .agpr_count:     0
    .args:
      - .offset:         0
        .size:           1
        .value_kind:     by_value
      - .offset:         1
        .size:           1
        .value_kind:     by_value
      - .offset:         8
        .size:           8
        .value_kind:     by_value
      - .offset:         16
        .size:           8
        .value_kind:     by_value
      - .address_space:  global
        .offset:         24
        .size:           8
        .value_kind:     global_buffer
      - .address_space:  global
        .offset:         32
        .size:           8
        .value_kind:     global_buffer
      - .actual_access:  read_only
        .address_space:  global
        .offset:         40
        .size:           8
        .value_kind:     global_buffer
      - .actual_access:  read_only
        .address_space:  global
        .offset:         48
        .size:           8
        .value_kind:     global_buffer
      - .actual_access:  read_only
        .address_space:  global
        .offset:         56
        .size:           8
        .value_kind:     global_buffer
      - .address_space:  global
        .offset:         64
        .size:           8
        .value_kind:     global_buffer
      - .offset:         72
        .size:           4
        .value_kind:     by_value
      - .offset:         76
        .size:           1
        .value_kind:     by_value
      - .offset:         80
        .size:           4
        .value_kind:     hidden_block_count_x
      - .offset:         84
        .size:           4
        .value_kind:     hidden_block_count_y
      - .offset:         88
        .size:           4
        .value_kind:     hidden_block_count_z
      - .offset:         92
        .size:           2
        .value_kind:     hidden_group_size_x
      - .offset:         94
        .size:           2
        .value_kind:     hidden_group_size_y
      - .offset:         96
        .size:           2
        .value_kind:     hidden_group_size_z
      - .offset:         98
        .size:           2
        .value_kind:     hidden_remainder_x
      - .offset:         100
        .size:           2
        .value_kind:     hidden_remainder_y
      - .offset:         102
        .size:           2
        .value_kind:     hidden_remainder_z
      - .offset:         120
        .size:           8
        .value_kind:     hidden_global_offset_x
      - .offset:         128
        .size:           8
        .value_kind:     hidden_global_offset_y
      - .offset:         136
        .size:           8
        .value_kind:     hidden_global_offset_z
      - .offset:         144
        .size:           2
        .value_kind:     hidden_grid_dims
    .group_segment_fixed_size: 0
    .kernarg_segment_align: 8
    .kernarg_segment_size: 336
    .language:       OpenCL C
    .language_version:
      - 2
      - 0
    .max_flat_workgroup_size: 256
    .name:           _ZN9rocsparseL21csrmvt_general_kernelILj256ELj32EllfdddEEvbbT2_NS_24const_host_device_scalarIT6_EEPKT1_S7_PKS1_PKT3_PKT4_PT5_21rocsparse_index_base_b
    .private_segment_fixed_size: 0
    .sgpr_count:     32
    .sgpr_spill_count: 0
    .symbol:         _ZN9rocsparseL21csrmvt_general_kernelILj256ELj32EllfdddEEvbbT2_NS_24const_host_device_scalarIT6_EEPKT1_S7_PKS1_PKT3_PKT4_PT5_21rocsparse_index_base_b.kd
    .uniform_work_group_size: 1
    .uses_dynamic_stack: false
    .vgpr_count:     26
    .vgpr_spill_count: 0
    .wavefront_size: 64
  - .agpr_count:     0
    .args:
      - .offset:         0
        .size:           1
        .value_kind:     by_value
      - .offset:         1
        .size:           1
        .value_kind:     by_value
      - .offset:         8
        .size:           8
        .value_kind:     by_value
      - .offset:         16
        .size:           8
        .value_kind:     by_value
      - .address_space:  global
        .offset:         24
        .size:           8
        .value_kind:     global_buffer
      - .address_space:  global
        .offset:         32
        .size:           8
        .value_kind:     global_buffer
      - .actual_access:  read_only
        .address_space:  global
        .offset:         40
        .size:           8
        .value_kind:     global_buffer
      - .actual_access:  read_only
        .address_space:  global
        .offset:         48
        .size:           8
        .value_kind:     global_buffer
      - .actual_access:  read_only
        .address_space:  global
        .offset:         56
        .size:           8
        .value_kind:     global_buffer
      - .address_space:  global
        .offset:         64
        .size:           8
        .value_kind:     global_buffer
      - .offset:         72
        .size:           4
        .value_kind:     by_value
      - .offset:         76
        .size:           1
        .value_kind:     by_value
      - .offset:         80
        .size:           4
        .value_kind:     hidden_block_count_x
      - .offset:         84
        .size:           4
        .value_kind:     hidden_block_count_y
      - .offset:         88
        .size:           4
        .value_kind:     hidden_block_count_z
      - .offset:         92
        .size:           2
        .value_kind:     hidden_group_size_x
      - .offset:         94
        .size:           2
        .value_kind:     hidden_group_size_y
      - .offset:         96
        .size:           2
        .value_kind:     hidden_group_size_z
      - .offset:         98
        .size:           2
        .value_kind:     hidden_remainder_x
      - .offset:         100
        .size:           2
        .value_kind:     hidden_remainder_y
      - .offset:         102
        .size:           2
        .value_kind:     hidden_remainder_z
      - .offset:         120
        .size:           8
        .value_kind:     hidden_global_offset_x
      - .offset:         128
        .size:           8
        .value_kind:     hidden_global_offset_y
      - .offset:         136
        .size:           8
        .value_kind:     hidden_global_offset_z
      - .offset:         144
        .size:           2
        .value_kind:     hidden_grid_dims
    .group_segment_fixed_size: 0
    .kernarg_segment_align: 8
    .kernarg_segment_size: 336
    .language:       OpenCL C
    .language_version:
      - 2
      - 0
    .max_flat_workgroup_size: 256
    .name:           _ZN9rocsparseL21csrmvt_general_kernelILj256ELj64EllfdddEEvbbT2_NS_24const_host_device_scalarIT6_EEPKT1_S7_PKS1_PKT3_PKT4_PT5_21rocsparse_index_base_b
    .private_segment_fixed_size: 0
    .sgpr_count:     32
    .sgpr_spill_count: 0
    .symbol:         _ZN9rocsparseL21csrmvt_general_kernelILj256ELj64EllfdddEEvbbT2_NS_24const_host_device_scalarIT6_EEPKT1_S7_PKS1_PKT3_PKT4_PT5_21rocsparse_index_base_b.kd
    .uniform_work_group_size: 1
    .uses_dynamic_stack: false
    .vgpr_count:     26
    .vgpr_spill_count: 0
    .wavefront_size: 64
  - .agpr_count:     0
    .args:
      - .offset:         0
        .size:           1
        .value_kind:     by_value
      - .offset:         4
        .size:           4
        .value_kind:     by_value
      - .offset:         8
        .size:           16
        .value_kind:     by_value
      - .address_space:  global
        .offset:         24
        .size:           8
        .value_kind:     global_buffer
      - .address_space:  global
        .offset:         32
        .size:           8
        .value_kind:     global_buffer
      - .actual_access:  read_only
        .address_space:  global
        .offset:         40
        .size:           8
        .value_kind:     global_buffer
      - .actual_access:  read_only
        .address_space:  global
        .offset:         48
        .size:           8
        .value_kind:     global_buffer
      - .actual_access:  read_only
        .address_space:  global
        .offset:         56
        .size:           8
        .value_kind:     global_buffer
      - .offset:         64
        .size:           16
        .value_kind:     by_value
      - .address_space:  global
        .offset:         80
        .size:           8
        .value_kind:     global_buffer
      - .offset:         88
        .size:           4
        .value_kind:     by_value
      - .offset:         92
        .size:           1
        .value_kind:     by_value
      - .offset:         96
        .size:           4
        .value_kind:     hidden_block_count_x
      - .offset:         100
        .size:           4
        .value_kind:     hidden_block_count_y
      - .offset:         104
        .size:           4
        .value_kind:     hidden_block_count_z
      - .offset:         108
        .size:           2
        .value_kind:     hidden_group_size_x
      - .offset:         110
        .size:           2
        .value_kind:     hidden_group_size_y
      - .offset:         112
        .size:           2
        .value_kind:     hidden_group_size_z
      - .offset:         114
        .size:           2
        .value_kind:     hidden_remainder_x
      - .offset:         116
        .size:           2
        .value_kind:     hidden_remainder_y
      - .offset:         118
        .size:           2
        .value_kind:     hidden_remainder_z
      - .offset:         136
        .size:           8
        .value_kind:     hidden_global_offset_x
      - .offset:         144
        .size:           8
        .value_kind:     hidden_global_offset_y
      - .offset:         152
        .size:           8
        .value_kind:     hidden_global_offset_z
      - .offset:         160
        .size:           2
        .value_kind:     hidden_grid_dims
    .group_segment_fixed_size: 4096
    .kernarg_segment_align: 8
    .kernarg_segment_size: 352
    .language:       OpenCL C
    .language_version:
      - 2
      - 0
    .max_flat_workgroup_size: 256
    .name:           _ZN9rocsparseL21csrmvn_general_kernelILj256ELj2Eiid21rocsparse_complex_numIdES2_S2_EEvbT2_NS_24const_host_device_scalarIT6_EEPKT1_S9_PKS3_PKT3_PKT4_S6_PT5_21rocsparse_index_base_b
    .private_segment_fixed_size: 0
    .sgpr_count:     30
    .sgpr_spill_count: 0
    .symbol:         _ZN9rocsparseL21csrmvn_general_kernelILj256ELj2Eiid21rocsparse_complex_numIdES2_S2_EEvbT2_NS_24const_host_device_scalarIT6_EEPKT1_S9_PKS3_PKT3_PKT4_S6_PT5_21rocsparse_index_base_b.kd
    .uniform_work_group_size: 1
    .uses_dynamic_stack: false
    .vgpr_count:     34
    .vgpr_spill_count: 0
    .wavefront_size: 64
  - .agpr_count:     0
    .args:
      - .offset:         0
        .size:           1
        .value_kind:     by_value
      - .offset:         4
        .size:           4
        .value_kind:     by_value
      - .offset:         8
        .size:           16
        .value_kind:     by_value
      - .address_space:  global
        .offset:         24
        .size:           8
        .value_kind:     global_buffer
      - .address_space:  global
        .offset:         32
        .size:           8
        .value_kind:     global_buffer
      - .actual_access:  read_only
        .address_space:  global
        .offset:         40
        .size:           8
        .value_kind:     global_buffer
      - .actual_access:  read_only
        .address_space:  global
        .offset:         48
        .size:           8
        .value_kind:     global_buffer
      - .actual_access:  read_only
        .address_space:  global
        .offset:         56
        .size:           8
        .value_kind:     global_buffer
      - .offset:         64
        .size:           16
        .value_kind:     by_value
      - .address_space:  global
        .offset:         80
        .size:           8
        .value_kind:     global_buffer
      - .offset:         88
        .size:           4
        .value_kind:     by_value
      - .offset:         92
        .size:           1
        .value_kind:     by_value
      - .offset:         96
        .size:           4
        .value_kind:     hidden_block_count_x
      - .offset:         100
        .size:           4
        .value_kind:     hidden_block_count_y
      - .offset:         104
        .size:           4
        .value_kind:     hidden_block_count_z
      - .offset:         108
        .size:           2
        .value_kind:     hidden_group_size_x
      - .offset:         110
        .size:           2
        .value_kind:     hidden_group_size_y
      - .offset:         112
        .size:           2
        .value_kind:     hidden_group_size_z
      - .offset:         114
        .size:           2
        .value_kind:     hidden_remainder_x
      - .offset:         116
        .size:           2
        .value_kind:     hidden_remainder_y
      - .offset:         118
        .size:           2
        .value_kind:     hidden_remainder_z
      - .offset:         136
        .size:           8
        .value_kind:     hidden_global_offset_x
      - .offset:         144
        .size:           8
        .value_kind:     hidden_global_offset_y
      - .offset:         152
        .size:           8
        .value_kind:     hidden_global_offset_z
      - .offset:         160
        .size:           2
        .value_kind:     hidden_grid_dims
    .group_segment_fixed_size: 4096
    .kernarg_segment_align: 8
    .kernarg_segment_size: 352
    .language:       OpenCL C
    .language_version:
      - 2
      - 0
    .max_flat_workgroup_size: 256
    .name:           _ZN9rocsparseL21csrmvn_general_kernelILj256ELj4Eiid21rocsparse_complex_numIdES2_S2_EEvbT2_NS_24const_host_device_scalarIT6_EEPKT1_S9_PKS3_PKT3_PKT4_S6_PT5_21rocsparse_index_base_b
    .private_segment_fixed_size: 0
    .sgpr_count:     30
    .sgpr_spill_count: 0
    .symbol:         _ZN9rocsparseL21csrmvn_general_kernelILj256ELj4Eiid21rocsparse_complex_numIdES2_S2_EEvbT2_NS_24const_host_device_scalarIT6_EEPKT1_S9_PKS3_PKT3_PKT4_S6_PT5_21rocsparse_index_base_b.kd
    .uniform_work_group_size: 1
    .uses_dynamic_stack: false
    .vgpr_count:     34
    .vgpr_spill_count: 0
    .wavefront_size: 64
  - .agpr_count:     0
    .args:
      - .offset:         0
        .size:           1
        .value_kind:     by_value
      - .offset:         4
        .size:           4
        .value_kind:     by_value
      - .offset:         8
        .size:           16
        .value_kind:     by_value
      - .address_space:  global
        .offset:         24
        .size:           8
        .value_kind:     global_buffer
      - .address_space:  global
        .offset:         32
        .size:           8
        .value_kind:     global_buffer
      - .actual_access:  read_only
        .address_space:  global
        .offset:         40
        .size:           8
        .value_kind:     global_buffer
      - .actual_access:  read_only
        .address_space:  global
        .offset:         48
        .size:           8
        .value_kind:     global_buffer
      - .actual_access:  read_only
        .address_space:  global
        .offset:         56
        .size:           8
        .value_kind:     global_buffer
      - .offset:         64
        .size:           16
        .value_kind:     by_value
      - .address_space:  global
        .offset:         80
        .size:           8
        .value_kind:     global_buffer
      - .offset:         88
        .size:           4
        .value_kind:     by_value
      - .offset:         92
        .size:           1
        .value_kind:     by_value
      - .offset:         96
        .size:           4
        .value_kind:     hidden_block_count_x
      - .offset:         100
        .size:           4
        .value_kind:     hidden_block_count_y
      - .offset:         104
        .size:           4
        .value_kind:     hidden_block_count_z
      - .offset:         108
        .size:           2
        .value_kind:     hidden_group_size_x
      - .offset:         110
        .size:           2
        .value_kind:     hidden_group_size_y
      - .offset:         112
        .size:           2
        .value_kind:     hidden_group_size_z
      - .offset:         114
        .size:           2
        .value_kind:     hidden_remainder_x
      - .offset:         116
        .size:           2
        .value_kind:     hidden_remainder_y
      - .offset:         118
        .size:           2
        .value_kind:     hidden_remainder_z
      - .offset:         136
        .size:           8
        .value_kind:     hidden_global_offset_x
      - .offset:         144
        .size:           8
        .value_kind:     hidden_global_offset_y
      - .offset:         152
        .size:           8
        .value_kind:     hidden_global_offset_z
      - .offset:         160
        .size:           2
        .value_kind:     hidden_grid_dims
    .group_segment_fixed_size: 4096
    .kernarg_segment_align: 8
    .kernarg_segment_size: 352
    .language:       OpenCL C
    .language_version:
      - 2
      - 0
    .max_flat_workgroup_size: 256
    .name:           _ZN9rocsparseL21csrmvn_general_kernelILj256ELj8Eiid21rocsparse_complex_numIdES2_S2_EEvbT2_NS_24const_host_device_scalarIT6_EEPKT1_S9_PKS3_PKT3_PKT4_S6_PT5_21rocsparse_index_base_b
    .private_segment_fixed_size: 0
    .sgpr_count:     30
    .sgpr_spill_count: 0
    .symbol:         _ZN9rocsparseL21csrmvn_general_kernelILj256ELj8Eiid21rocsparse_complex_numIdES2_S2_EEvbT2_NS_24const_host_device_scalarIT6_EEPKT1_S9_PKS3_PKT3_PKT4_S6_PT5_21rocsparse_index_base_b.kd
    .uniform_work_group_size: 1
    .uses_dynamic_stack: false
    .vgpr_count:     34
    .vgpr_spill_count: 0
    .wavefront_size: 64
  - .agpr_count:     0
    .args:
      - .offset:         0
        .size:           1
        .value_kind:     by_value
      - .offset:         4
        .size:           4
        .value_kind:     by_value
      - .offset:         8
        .size:           16
        .value_kind:     by_value
      - .address_space:  global
        .offset:         24
        .size:           8
        .value_kind:     global_buffer
      - .address_space:  global
        .offset:         32
        .size:           8
        .value_kind:     global_buffer
      - .actual_access:  read_only
        .address_space:  global
        .offset:         40
        .size:           8
        .value_kind:     global_buffer
      - .actual_access:  read_only
        .address_space:  global
        .offset:         48
        .size:           8
        .value_kind:     global_buffer
      - .actual_access:  read_only
        .address_space:  global
        .offset:         56
        .size:           8
        .value_kind:     global_buffer
      - .offset:         64
        .size:           16
        .value_kind:     by_value
      - .address_space:  global
        .offset:         80
        .size:           8
        .value_kind:     global_buffer
      - .offset:         88
        .size:           4
        .value_kind:     by_value
      - .offset:         92
        .size:           1
        .value_kind:     by_value
      - .offset:         96
        .size:           4
        .value_kind:     hidden_block_count_x
      - .offset:         100
        .size:           4
        .value_kind:     hidden_block_count_y
      - .offset:         104
        .size:           4
        .value_kind:     hidden_block_count_z
      - .offset:         108
        .size:           2
        .value_kind:     hidden_group_size_x
      - .offset:         110
        .size:           2
        .value_kind:     hidden_group_size_y
      - .offset:         112
        .size:           2
        .value_kind:     hidden_group_size_z
      - .offset:         114
        .size:           2
        .value_kind:     hidden_remainder_x
      - .offset:         116
        .size:           2
        .value_kind:     hidden_remainder_y
      - .offset:         118
        .size:           2
        .value_kind:     hidden_remainder_z
      - .offset:         136
        .size:           8
        .value_kind:     hidden_global_offset_x
      - .offset:         144
        .size:           8
        .value_kind:     hidden_global_offset_y
      - .offset:         152
        .size:           8
        .value_kind:     hidden_global_offset_z
      - .offset:         160
        .size:           2
        .value_kind:     hidden_grid_dims
    .group_segment_fixed_size: 4096
    .kernarg_segment_align: 8
    .kernarg_segment_size: 352
    .language:       OpenCL C
    .language_version:
      - 2
      - 0
    .max_flat_workgroup_size: 256
    .name:           _ZN9rocsparseL21csrmvn_general_kernelILj256ELj16Eiid21rocsparse_complex_numIdES2_S2_EEvbT2_NS_24const_host_device_scalarIT6_EEPKT1_S9_PKS3_PKT3_PKT4_S6_PT5_21rocsparse_index_base_b
    .private_segment_fixed_size: 0
    .sgpr_count:     30
    .sgpr_spill_count: 0
    .symbol:         _ZN9rocsparseL21csrmvn_general_kernelILj256ELj16Eiid21rocsparse_complex_numIdES2_S2_EEvbT2_NS_24const_host_device_scalarIT6_EEPKT1_S9_PKS3_PKT3_PKT4_S6_PT5_21rocsparse_index_base_b.kd
    .uniform_work_group_size: 1
    .uses_dynamic_stack: false
    .vgpr_count:     34
    .vgpr_spill_count: 0
    .wavefront_size: 64
  - .agpr_count:     0
    .args:
      - .offset:         0
        .size:           1
        .value_kind:     by_value
      - .offset:         4
        .size:           4
        .value_kind:     by_value
      - .offset:         8
        .size:           16
        .value_kind:     by_value
      - .address_space:  global
        .offset:         24
        .size:           8
        .value_kind:     global_buffer
      - .address_space:  global
        .offset:         32
        .size:           8
        .value_kind:     global_buffer
      - .actual_access:  read_only
        .address_space:  global
        .offset:         40
        .size:           8
        .value_kind:     global_buffer
      - .actual_access:  read_only
        .address_space:  global
        .offset:         48
        .size:           8
        .value_kind:     global_buffer
      - .actual_access:  read_only
        .address_space:  global
        .offset:         56
        .size:           8
        .value_kind:     global_buffer
      - .offset:         64
        .size:           16
        .value_kind:     by_value
      - .address_space:  global
        .offset:         80
        .size:           8
        .value_kind:     global_buffer
      - .offset:         88
        .size:           4
        .value_kind:     by_value
      - .offset:         92
        .size:           1
        .value_kind:     by_value
      - .offset:         96
        .size:           4
        .value_kind:     hidden_block_count_x
      - .offset:         100
        .size:           4
        .value_kind:     hidden_block_count_y
      - .offset:         104
        .size:           4
        .value_kind:     hidden_block_count_z
      - .offset:         108
        .size:           2
        .value_kind:     hidden_group_size_x
      - .offset:         110
        .size:           2
        .value_kind:     hidden_group_size_y
      - .offset:         112
        .size:           2
        .value_kind:     hidden_group_size_z
      - .offset:         114
        .size:           2
        .value_kind:     hidden_remainder_x
      - .offset:         116
        .size:           2
        .value_kind:     hidden_remainder_y
      - .offset:         118
        .size:           2
        .value_kind:     hidden_remainder_z
      - .offset:         136
        .size:           8
        .value_kind:     hidden_global_offset_x
      - .offset:         144
        .size:           8
        .value_kind:     hidden_global_offset_y
      - .offset:         152
        .size:           8
        .value_kind:     hidden_global_offset_z
      - .offset:         160
        .size:           2
        .value_kind:     hidden_grid_dims
    .group_segment_fixed_size: 4096
    .kernarg_segment_align: 8
    .kernarg_segment_size: 352
    .language:       OpenCL C
    .language_version:
      - 2
      - 0
    .max_flat_workgroup_size: 256
    .name:           _ZN9rocsparseL21csrmvn_general_kernelILj256ELj32Eiid21rocsparse_complex_numIdES2_S2_EEvbT2_NS_24const_host_device_scalarIT6_EEPKT1_S9_PKS3_PKT3_PKT4_S6_PT5_21rocsparse_index_base_b
    .private_segment_fixed_size: 0
    .sgpr_count:     30
    .sgpr_spill_count: 0
    .symbol:         _ZN9rocsparseL21csrmvn_general_kernelILj256ELj32Eiid21rocsparse_complex_numIdES2_S2_EEvbT2_NS_24const_host_device_scalarIT6_EEPKT1_S9_PKS3_PKT3_PKT4_S6_PT5_21rocsparse_index_base_b.kd
    .uniform_work_group_size: 1
    .uses_dynamic_stack: false
    .vgpr_count:     34
    .vgpr_spill_count: 0
    .wavefront_size: 64
  - .agpr_count:     0
    .args:
      - .offset:         0
        .size:           1
        .value_kind:     by_value
      - .offset:         4
        .size:           4
        .value_kind:     by_value
      - .offset:         8
        .size:           16
        .value_kind:     by_value
      - .address_space:  global
        .offset:         24
        .size:           8
        .value_kind:     global_buffer
      - .address_space:  global
        .offset:         32
        .size:           8
        .value_kind:     global_buffer
      - .actual_access:  read_only
        .address_space:  global
        .offset:         40
        .size:           8
        .value_kind:     global_buffer
      - .actual_access:  read_only
        .address_space:  global
        .offset:         48
        .size:           8
        .value_kind:     global_buffer
      - .actual_access:  read_only
        .address_space:  global
        .offset:         56
        .size:           8
        .value_kind:     global_buffer
      - .offset:         64
        .size:           16
        .value_kind:     by_value
      - .address_space:  global
        .offset:         80
        .size:           8
        .value_kind:     global_buffer
      - .offset:         88
        .size:           4
        .value_kind:     by_value
      - .offset:         92
        .size:           1
        .value_kind:     by_value
      - .offset:         96
        .size:           4
        .value_kind:     hidden_block_count_x
      - .offset:         100
        .size:           4
        .value_kind:     hidden_block_count_y
      - .offset:         104
        .size:           4
        .value_kind:     hidden_block_count_z
      - .offset:         108
        .size:           2
        .value_kind:     hidden_group_size_x
      - .offset:         110
        .size:           2
        .value_kind:     hidden_group_size_y
      - .offset:         112
        .size:           2
        .value_kind:     hidden_group_size_z
      - .offset:         114
        .size:           2
        .value_kind:     hidden_remainder_x
      - .offset:         116
        .size:           2
        .value_kind:     hidden_remainder_y
      - .offset:         118
        .size:           2
        .value_kind:     hidden_remainder_z
      - .offset:         136
        .size:           8
        .value_kind:     hidden_global_offset_x
      - .offset:         144
        .size:           8
        .value_kind:     hidden_global_offset_y
      - .offset:         152
        .size:           8
        .value_kind:     hidden_global_offset_z
      - .offset:         160
        .size:           2
        .value_kind:     hidden_grid_dims
    .group_segment_fixed_size: 4096
    .kernarg_segment_align: 8
    .kernarg_segment_size: 352
    .language:       OpenCL C
    .language_version:
      - 2
      - 0
    .max_flat_workgroup_size: 256
    .name:           _ZN9rocsparseL21csrmvn_general_kernelILj256ELj64Eiid21rocsparse_complex_numIdES2_S2_EEvbT2_NS_24const_host_device_scalarIT6_EEPKT1_S9_PKS3_PKT3_PKT4_S6_PT5_21rocsparse_index_base_b
    .private_segment_fixed_size: 0
    .sgpr_count:     30
    .sgpr_spill_count: 0
    .symbol:         _ZN9rocsparseL21csrmvn_general_kernelILj256ELj64Eiid21rocsparse_complex_numIdES2_S2_EEvbT2_NS_24const_host_device_scalarIT6_EEPKT1_S9_PKS3_PKT3_PKT4_S6_PT5_21rocsparse_index_base_b.kd
    .uniform_work_group_size: 1
    .uses_dynamic_stack: false
    .vgpr_count:     34
    .vgpr_spill_count: 0
    .wavefront_size: 64
  - .agpr_count:     0
    .args:
      - .offset:         0
        .size:           1
        .value_kind:     by_value
      - .offset:         1
        .size:           1
        .value_kind:     by_value
      - .offset:         4
        .size:           4
        .value_kind:     by_value
      - .offset:         8
        .size:           16
        .value_kind:     by_value
      - .address_space:  global
        .offset:         24
        .size:           8
        .value_kind:     global_buffer
      - .address_space:  global
        .offset:         32
        .size:           8
        .value_kind:     global_buffer
      - .actual_access:  read_only
        .address_space:  global
        .offset:         40
        .size:           8
        .value_kind:     global_buffer
      - .actual_access:  read_only
        .address_space:  global
        .offset:         48
        .size:           8
        .value_kind:     global_buffer
      - .actual_access:  read_only
        .address_space:  global
        .offset:         56
        .size:           8
        .value_kind:     global_buffer
      - .address_space:  global
        .offset:         64
        .size:           8
        .value_kind:     global_buffer
      - .offset:         72
        .size:           4
        .value_kind:     by_value
      - .offset:         76
        .size:           1
        .value_kind:     by_value
      - .offset:         80
        .size:           4
        .value_kind:     hidden_block_count_x
      - .offset:         84
        .size:           4
        .value_kind:     hidden_block_count_y
      - .offset:         88
        .size:           4
        .value_kind:     hidden_block_count_z
      - .offset:         92
        .size:           2
        .value_kind:     hidden_group_size_x
      - .offset:         94
        .size:           2
        .value_kind:     hidden_group_size_y
      - .offset:         96
        .size:           2
        .value_kind:     hidden_group_size_z
      - .offset:         98
        .size:           2
        .value_kind:     hidden_remainder_x
      - .offset:         100
        .size:           2
        .value_kind:     hidden_remainder_y
      - .offset:         102
        .size:           2
        .value_kind:     hidden_remainder_z
      - .offset:         120
        .size:           8
        .value_kind:     hidden_global_offset_x
      - .offset:         128
        .size:           8
        .value_kind:     hidden_global_offset_y
      - .offset:         136
        .size:           8
        .value_kind:     hidden_global_offset_z
      - .offset:         144
        .size:           2
        .value_kind:     hidden_grid_dims
    .group_segment_fixed_size: 2048
    .kernarg_segment_align: 8
    .kernarg_segment_size: 336
    .language:       OpenCL C
    .language_version:
      - 2
      - 0
    .max_flat_workgroup_size: 256
    .name:           _ZN9rocsparseL21csrmvt_general_kernelILj256ELj4Eiid21rocsparse_complex_numIdES2_S2_EEvbbT2_NS_24const_host_device_scalarIT6_EEPKT1_S9_PKS3_PKT3_PKT4_PT5_21rocsparse_index_base_b
    .private_segment_fixed_size: 0
    .sgpr_count:     34
    .sgpr_spill_count: 0
    .symbol:         _ZN9rocsparseL21csrmvt_general_kernelILj256ELj4Eiid21rocsparse_complex_numIdES2_S2_EEvbbT2_NS_24const_host_device_scalarIT6_EEPKT1_S9_PKS3_PKT3_PKT4_PT5_21rocsparse_index_base_b.kd
    .uniform_work_group_size: 1
    .uses_dynamic_stack: false
    .vgpr_count:     32
    .vgpr_spill_count: 0
    .wavefront_size: 64
  - .agpr_count:     0
    .args:
      - .offset:         0
        .size:           1
        .value_kind:     by_value
      - .offset:         1
        .size:           1
        .value_kind:     by_value
      - .offset:         4
        .size:           4
        .value_kind:     by_value
      - .offset:         8
        .size:           16
        .value_kind:     by_value
      - .address_space:  global
        .offset:         24
        .size:           8
        .value_kind:     global_buffer
      - .address_space:  global
        .offset:         32
        .size:           8
        .value_kind:     global_buffer
      - .actual_access:  read_only
        .address_space:  global
        .offset:         40
        .size:           8
        .value_kind:     global_buffer
      - .actual_access:  read_only
        .address_space:  global
        .offset:         48
        .size:           8
        .value_kind:     global_buffer
      - .actual_access:  read_only
        .address_space:  global
        .offset:         56
        .size:           8
        .value_kind:     global_buffer
      - .address_space:  global
        .offset:         64
        .size:           8
        .value_kind:     global_buffer
      - .offset:         72
        .size:           4
        .value_kind:     by_value
      - .offset:         76
        .size:           1
        .value_kind:     by_value
      - .offset:         80
        .size:           4
        .value_kind:     hidden_block_count_x
      - .offset:         84
        .size:           4
        .value_kind:     hidden_block_count_y
      - .offset:         88
        .size:           4
        .value_kind:     hidden_block_count_z
      - .offset:         92
        .size:           2
        .value_kind:     hidden_group_size_x
      - .offset:         94
        .size:           2
        .value_kind:     hidden_group_size_y
      - .offset:         96
        .size:           2
        .value_kind:     hidden_group_size_z
      - .offset:         98
        .size:           2
        .value_kind:     hidden_remainder_x
      - .offset:         100
        .size:           2
        .value_kind:     hidden_remainder_y
      - .offset:         102
        .size:           2
        .value_kind:     hidden_remainder_z
      - .offset:         120
        .size:           8
        .value_kind:     hidden_global_offset_x
      - .offset:         128
        .size:           8
        .value_kind:     hidden_global_offset_y
      - .offset:         136
        .size:           8
        .value_kind:     hidden_global_offset_z
      - .offset:         144
        .size:           2
        .value_kind:     hidden_grid_dims
    .group_segment_fixed_size: 2048
    .kernarg_segment_align: 8
    .kernarg_segment_size: 336
    .language:       OpenCL C
    .language_version:
      - 2
      - 0
    .max_flat_workgroup_size: 256
    .name:           _ZN9rocsparseL21csrmvt_general_kernelILj256ELj8Eiid21rocsparse_complex_numIdES2_S2_EEvbbT2_NS_24const_host_device_scalarIT6_EEPKT1_S9_PKS3_PKT3_PKT4_PT5_21rocsparse_index_base_b
    .private_segment_fixed_size: 0
    .sgpr_count:     34
    .sgpr_spill_count: 0
    .symbol:         _ZN9rocsparseL21csrmvt_general_kernelILj256ELj8Eiid21rocsparse_complex_numIdES2_S2_EEvbbT2_NS_24const_host_device_scalarIT6_EEPKT1_S9_PKS3_PKT3_PKT4_PT5_21rocsparse_index_base_b.kd
    .uniform_work_group_size: 1
    .uses_dynamic_stack: false
    .vgpr_count:     32
    .vgpr_spill_count: 0
    .wavefront_size: 64
  - .agpr_count:     0
    .args:
      - .offset:         0
        .size:           1
        .value_kind:     by_value
      - .offset:         1
        .size:           1
        .value_kind:     by_value
      - .offset:         4
        .size:           4
        .value_kind:     by_value
      - .offset:         8
        .size:           16
        .value_kind:     by_value
      - .address_space:  global
        .offset:         24
        .size:           8
        .value_kind:     global_buffer
      - .address_space:  global
        .offset:         32
        .size:           8
        .value_kind:     global_buffer
      - .actual_access:  read_only
        .address_space:  global
        .offset:         40
        .size:           8
        .value_kind:     global_buffer
      - .actual_access:  read_only
        .address_space:  global
        .offset:         48
        .size:           8
        .value_kind:     global_buffer
      - .actual_access:  read_only
        .address_space:  global
        .offset:         56
        .size:           8
        .value_kind:     global_buffer
      - .address_space:  global
        .offset:         64
        .size:           8
        .value_kind:     global_buffer
      - .offset:         72
        .size:           4
        .value_kind:     by_value
      - .offset:         76
        .size:           1
        .value_kind:     by_value
      - .offset:         80
        .size:           4
        .value_kind:     hidden_block_count_x
      - .offset:         84
        .size:           4
        .value_kind:     hidden_block_count_y
      - .offset:         88
        .size:           4
        .value_kind:     hidden_block_count_z
      - .offset:         92
        .size:           2
        .value_kind:     hidden_group_size_x
      - .offset:         94
        .size:           2
        .value_kind:     hidden_group_size_y
      - .offset:         96
        .size:           2
        .value_kind:     hidden_group_size_z
      - .offset:         98
        .size:           2
        .value_kind:     hidden_remainder_x
      - .offset:         100
        .size:           2
        .value_kind:     hidden_remainder_y
      - .offset:         102
        .size:           2
        .value_kind:     hidden_remainder_z
      - .offset:         120
        .size:           8
        .value_kind:     hidden_global_offset_x
      - .offset:         128
        .size:           8
        .value_kind:     hidden_global_offset_y
      - .offset:         136
        .size:           8
        .value_kind:     hidden_global_offset_z
      - .offset:         144
        .size:           2
        .value_kind:     hidden_grid_dims
    .group_segment_fixed_size: 2048
    .kernarg_segment_align: 8
    .kernarg_segment_size: 336
    .language:       OpenCL C
    .language_version:
      - 2
      - 0
    .max_flat_workgroup_size: 256
    .name:           _ZN9rocsparseL21csrmvt_general_kernelILj256ELj16Eiid21rocsparse_complex_numIdES2_S2_EEvbbT2_NS_24const_host_device_scalarIT6_EEPKT1_S9_PKS3_PKT3_PKT4_PT5_21rocsparse_index_base_b
    .private_segment_fixed_size: 0
    .sgpr_count:     34
    .sgpr_spill_count: 0
    .symbol:         _ZN9rocsparseL21csrmvt_general_kernelILj256ELj16Eiid21rocsparse_complex_numIdES2_S2_EEvbbT2_NS_24const_host_device_scalarIT6_EEPKT1_S9_PKS3_PKT3_PKT4_PT5_21rocsparse_index_base_b.kd
    .uniform_work_group_size: 1
    .uses_dynamic_stack: false
    .vgpr_count:     32
    .vgpr_spill_count: 0
    .wavefront_size: 64
  - .agpr_count:     0
    .args:
      - .offset:         0
        .size:           1
        .value_kind:     by_value
      - .offset:         1
        .size:           1
        .value_kind:     by_value
      - .offset:         4
        .size:           4
        .value_kind:     by_value
      - .offset:         8
        .size:           16
        .value_kind:     by_value
      - .address_space:  global
        .offset:         24
        .size:           8
        .value_kind:     global_buffer
      - .address_space:  global
        .offset:         32
        .size:           8
        .value_kind:     global_buffer
      - .actual_access:  read_only
        .address_space:  global
        .offset:         40
        .size:           8
        .value_kind:     global_buffer
      - .actual_access:  read_only
        .address_space:  global
        .offset:         48
        .size:           8
        .value_kind:     global_buffer
      - .actual_access:  read_only
        .address_space:  global
        .offset:         56
        .size:           8
        .value_kind:     global_buffer
      - .address_space:  global
        .offset:         64
        .size:           8
        .value_kind:     global_buffer
      - .offset:         72
        .size:           4
        .value_kind:     by_value
      - .offset:         76
        .size:           1
        .value_kind:     by_value
      - .offset:         80
        .size:           4
        .value_kind:     hidden_block_count_x
      - .offset:         84
        .size:           4
        .value_kind:     hidden_block_count_y
      - .offset:         88
        .size:           4
        .value_kind:     hidden_block_count_z
      - .offset:         92
        .size:           2
        .value_kind:     hidden_group_size_x
      - .offset:         94
        .size:           2
        .value_kind:     hidden_group_size_y
      - .offset:         96
        .size:           2
        .value_kind:     hidden_group_size_z
      - .offset:         98
        .size:           2
        .value_kind:     hidden_remainder_x
      - .offset:         100
        .size:           2
        .value_kind:     hidden_remainder_y
      - .offset:         102
        .size:           2
        .value_kind:     hidden_remainder_z
      - .offset:         120
        .size:           8
        .value_kind:     hidden_global_offset_x
      - .offset:         128
        .size:           8
        .value_kind:     hidden_global_offset_y
      - .offset:         136
        .size:           8
        .value_kind:     hidden_global_offset_z
      - .offset:         144
        .size:           2
        .value_kind:     hidden_grid_dims
    .group_segment_fixed_size: 2048
    .kernarg_segment_align: 8
    .kernarg_segment_size: 336
    .language:       OpenCL C
    .language_version:
      - 2
      - 0
    .max_flat_workgroup_size: 256
    .name:           _ZN9rocsparseL21csrmvt_general_kernelILj256ELj32Eiid21rocsparse_complex_numIdES2_S2_EEvbbT2_NS_24const_host_device_scalarIT6_EEPKT1_S9_PKS3_PKT3_PKT4_PT5_21rocsparse_index_base_b
    .private_segment_fixed_size: 0
    .sgpr_count:     34
    .sgpr_spill_count: 0
    .symbol:         _ZN9rocsparseL21csrmvt_general_kernelILj256ELj32Eiid21rocsparse_complex_numIdES2_S2_EEvbbT2_NS_24const_host_device_scalarIT6_EEPKT1_S9_PKS3_PKT3_PKT4_PT5_21rocsparse_index_base_b.kd
    .uniform_work_group_size: 1
    .uses_dynamic_stack: false
    .vgpr_count:     32
    .vgpr_spill_count: 0
    .wavefront_size: 64
  - .agpr_count:     0
    .args:
      - .offset:         0
        .size:           1
        .value_kind:     by_value
      - .offset:         1
        .size:           1
        .value_kind:     by_value
      - .offset:         4
        .size:           4
        .value_kind:     by_value
      - .offset:         8
        .size:           16
        .value_kind:     by_value
      - .address_space:  global
        .offset:         24
        .size:           8
        .value_kind:     global_buffer
      - .address_space:  global
        .offset:         32
        .size:           8
        .value_kind:     global_buffer
      - .actual_access:  read_only
        .address_space:  global
        .offset:         40
        .size:           8
        .value_kind:     global_buffer
      - .actual_access:  read_only
        .address_space:  global
        .offset:         48
        .size:           8
        .value_kind:     global_buffer
      - .actual_access:  read_only
        .address_space:  global
        .offset:         56
        .size:           8
        .value_kind:     global_buffer
      - .address_space:  global
        .offset:         64
        .size:           8
        .value_kind:     global_buffer
      - .offset:         72
        .size:           4
        .value_kind:     by_value
      - .offset:         76
        .size:           1
        .value_kind:     by_value
      - .offset:         80
        .size:           4
        .value_kind:     hidden_block_count_x
      - .offset:         84
        .size:           4
        .value_kind:     hidden_block_count_y
      - .offset:         88
        .size:           4
        .value_kind:     hidden_block_count_z
      - .offset:         92
        .size:           2
        .value_kind:     hidden_group_size_x
      - .offset:         94
        .size:           2
        .value_kind:     hidden_group_size_y
      - .offset:         96
        .size:           2
        .value_kind:     hidden_group_size_z
      - .offset:         98
        .size:           2
        .value_kind:     hidden_remainder_x
      - .offset:         100
        .size:           2
        .value_kind:     hidden_remainder_y
      - .offset:         102
        .size:           2
        .value_kind:     hidden_remainder_z
      - .offset:         120
        .size:           8
        .value_kind:     hidden_global_offset_x
      - .offset:         128
        .size:           8
        .value_kind:     hidden_global_offset_y
      - .offset:         136
        .size:           8
        .value_kind:     hidden_global_offset_z
      - .offset:         144
        .size:           2
        .value_kind:     hidden_grid_dims
    .group_segment_fixed_size: 2048
    .kernarg_segment_align: 8
    .kernarg_segment_size: 336
    .language:       OpenCL C
    .language_version:
      - 2
      - 0
    .max_flat_workgroup_size: 256
    .name:           _ZN9rocsparseL21csrmvt_general_kernelILj256ELj64Eiid21rocsparse_complex_numIdES2_S2_EEvbbT2_NS_24const_host_device_scalarIT6_EEPKT1_S9_PKS3_PKT3_PKT4_PT5_21rocsparse_index_base_b
    .private_segment_fixed_size: 0
    .sgpr_count:     34
    .sgpr_spill_count: 0
    .symbol:         _ZN9rocsparseL21csrmvt_general_kernelILj256ELj64Eiid21rocsparse_complex_numIdES2_S2_EEvbbT2_NS_24const_host_device_scalarIT6_EEPKT1_S9_PKS3_PKT3_PKT4_PT5_21rocsparse_index_base_b.kd
    .uniform_work_group_size: 1
    .uses_dynamic_stack: false
    .vgpr_count:     32
    .vgpr_spill_count: 0
    .wavefront_size: 64
  - .agpr_count:     0
    .args:
      - .offset:         0
        .size:           1
        .value_kind:     by_value
      - .offset:         4
        .size:           4
        .value_kind:     by_value
      - .offset:         8
        .size:           16
        .value_kind:     by_value
      - .address_space:  global
        .offset:         24
        .size:           8
        .value_kind:     global_buffer
      - .address_space:  global
        .offset:         32
        .size:           8
        .value_kind:     global_buffer
      - .actual_access:  read_only
        .address_space:  global
        .offset:         40
        .size:           8
        .value_kind:     global_buffer
      - .actual_access:  read_only
        .address_space:  global
        .offset:         48
        .size:           8
        .value_kind:     global_buffer
      - .actual_access:  read_only
        .address_space:  global
        .offset:         56
        .size:           8
        .value_kind:     global_buffer
      - .offset:         64
        .size:           16
        .value_kind:     by_value
      - .address_space:  global
        .offset:         80
        .size:           8
        .value_kind:     global_buffer
      - .offset:         88
        .size:           4
        .value_kind:     by_value
      - .offset:         92
        .size:           1
        .value_kind:     by_value
      - .offset:         96
        .size:           4
        .value_kind:     hidden_block_count_x
      - .offset:         100
        .size:           4
        .value_kind:     hidden_block_count_y
      - .offset:         104
        .size:           4
        .value_kind:     hidden_block_count_z
      - .offset:         108
        .size:           2
        .value_kind:     hidden_group_size_x
      - .offset:         110
        .size:           2
        .value_kind:     hidden_group_size_y
      - .offset:         112
        .size:           2
        .value_kind:     hidden_group_size_z
      - .offset:         114
        .size:           2
        .value_kind:     hidden_remainder_x
      - .offset:         116
        .size:           2
        .value_kind:     hidden_remainder_y
      - .offset:         118
        .size:           2
        .value_kind:     hidden_remainder_z
      - .offset:         136
        .size:           8
        .value_kind:     hidden_global_offset_x
      - .offset:         144
        .size:           8
        .value_kind:     hidden_global_offset_y
      - .offset:         152
        .size:           8
        .value_kind:     hidden_global_offset_z
      - .offset:         160
        .size:           2
        .value_kind:     hidden_grid_dims
    .group_segment_fixed_size: 4096
    .kernarg_segment_align: 8
    .kernarg_segment_size: 352
    .language:       OpenCL C
    .language_version:
      - 2
      - 0
    .max_flat_workgroup_size: 256
    .name:           _ZN9rocsparseL21csrmvn_general_kernelILj256ELj2Elid21rocsparse_complex_numIdES2_S2_EEvbT2_NS_24const_host_device_scalarIT6_EEPKT1_S9_PKS3_PKT3_PKT4_S6_PT5_21rocsparse_index_base_b
    .private_segment_fixed_size: 0
    .sgpr_count:     30
    .sgpr_spill_count: 0
    .symbol:         _ZN9rocsparseL21csrmvn_general_kernelILj256ELj2Elid21rocsparse_complex_numIdES2_S2_EEvbT2_NS_24const_host_device_scalarIT6_EEPKT1_S9_PKS3_PKT3_PKT4_S6_PT5_21rocsparse_index_base_b.kd
    .uniform_work_group_size: 1
    .uses_dynamic_stack: false
    .vgpr_count:     40
    .vgpr_spill_count: 0
    .wavefront_size: 64
  - .agpr_count:     0
    .args:
      - .offset:         0
        .size:           1
        .value_kind:     by_value
      - .offset:         4
        .size:           4
        .value_kind:     by_value
      - .offset:         8
        .size:           16
        .value_kind:     by_value
      - .address_space:  global
        .offset:         24
        .size:           8
        .value_kind:     global_buffer
      - .address_space:  global
        .offset:         32
        .size:           8
        .value_kind:     global_buffer
      - .actual_access:  read_only
        .address_space:  global
        .offset:         40
        .size:           8
        .value_kind:     global_buffer
      - .actual_access:  read_only
        .address_space:  global
        .offset:         48
        .size:           8
        .value_kind:     global_buffer
      - .actual_access:  read_only
        .address_space:  global
        .offset:         56
        .size:           8
        .value_kind:     global_buffer
      - .offset:         64
        .size:           16
        .value_kind:     by_value
      - .address_space:  global
        .offset:         80
        .size:           8
        .value_kind:     global_buffer
      - .offset:         88
        .size:           4
        .value_kind:     by_value
      - .offset:         92
        .size:           1
        .value_kind:     by_value
      - .offset:         96
        .size:           4
        .value_kind:     hidden_block_count_x
      - .offset:         100
        .size:           4
        .value_kind:     hidden_block_count_y
      - .offset:         104
        .size:           4
        .value_kind:     hidden_block_count_z
      - .offset:         108
        .size:           2
        .value_kind:     hidden_group_size_x
      - .offset:         110
        .size:           2
        .value_kind:     hidden_group_size_y
      - .offset:         112
        .size:           2
        .value_kind:     hidden_group_size_z
      - .offset:         114
        .size:           2
        .value_kind:     hidden_remainder_x
      - .offset:         116
        .size:           2
        .value_kind:     hidden_remainder_y
      - .offset:         118
        .size:           2
        .value_kind:     hidden_remainder_z
      - .offset:         136
        .size:           8
        .value_kind:     hidden_global_offset_x
      - .offset:         144
        .size:           8
        .value_kind:     hidden_global_offset_y
      - .offset:         152
        .size:           8
        .value_kind:     hidden_global_offset_z
      - .offset:         160
        .size:           2
        .value_kind:     hidden_grid_dims
    .group_segment_fixed_size: 4096
    .kernarg_segment_align: 8
    .kernarg_segment_size: 352
    .language:       OpenCL C
    .language_version:
      - 2
      - 0
    .max_flat_workgroup_size: 256
    .name:           _ZN9rocsparseL21csrmvn_general_kernelILj256ELj4Elid21rocsparse_complex_numIdES2_S2_EEvbT2_NS_24const_host_device_scalarIT6_EEPKT1_S9_PKS3_PKT3_PKT4_S6_PT5_21rocsparse_index_base_b
    .private_segment_fixed_size: 0
    .sgpr_count:     30
    .sgpr_spill_count: 0
    .symbol:         _ZN9rocsparseL21csrmvn_general_kernelILj256ELj4Elid21rocsparse_complex_numIdES2_S2_EEvbT2_NS_24const_host_device_scalarIT6_EEPKT1_S9_PKS3_PKT3_PKT4_S6_PT5_21rocsparse_index_base_b.kd
    .uniform_work_group_size: 1
    .uses_dynamic_stack: false
    .vgpr_count:     40
    .vgpr_spill_count: 0
    .wavefront_size: 64
  - .agpr_count:     0
    .args:
      - .offset:         0
        .size:           1
        .value_kind:     by_value
      - .offset:         4
        .size:           4
        .value_kind:     by_value
      - .offset:         8
        .size:           16
        .value_kind:     by_value
      - .address_space:  global
        .offset:         24
        .size:           8
        .value_kind:     global_buffer
      - .address_space:  global
        .offset:         32
        .size:           8
        .value_kind:     global_buffer
      - .actual_access:  read_only
        .address_space:  global
        .offset:         40
        .size:           8
        .value_kind:     global_buffer
      - .actual_access:  read_only
        .address_space:  global
        .offset:         48
        .size:           8
        .value_kind:     global_buffer
      - .actual_access:  read_only
        .address_space:  global
        .offset:         56
        .size:           8
        .value_kind:     global_buffer
      - .offset:         64
        .size:           16
        .value_kind:     by_value
      - .address_space:  global
        .offset:         80
        .size:           8
        .value_kind:     global_buffer
      - .offset:         88
        .size:           4
        .value_kind:     by_value
      - .offset:         92
        .size:           1
        .value_kind:     by_value
      - .offset:         96
        .size:           4
        .value_kind:     hidden_block_count_x
      - .offset:         100
        .size:           4
        .value_kind:     hidden_block_count_y
      - .offset:         104
        .size:           4
        .value_kind:     hidden_block_count_z
      - .offset:         108
        .size:           2
        .value_kind:     hidden_group_size_x
      - .offset:         110
        .size:           2
        .value_kind:     hidden_group_size_y
      - .offset:         112
        .size:           2
        .value_kind:     hidden_group_size_z
      - .offset:         114
        .size:           2
        .value_kind:     hidden_remainder_x
      - .offset:         116
        .size:           2
        .value_kind:     hidden_remainder_y
      - .offset:         118
        .size:           2
        .value_kind:     hidden_remainder_z
      - .offset:         136
        .size:           8
        .value_kind:     hidden_global_offset_x
      - .offset:         144
        .size:           8
        .value_kind:     hidden_global_offset_y
      - .offset:         152
        .size:           8
        .value_kind:     hidden_global_offset_z
      - .offset:         160
        .size:           2
        .value_kind:     hidden_grid_dims
    .group_segment_fixed_size: 4096
    .kernarg_segment_align: 8
    .kernarg_segment_size: 352
    .language:       OpenCL C
    .language_version:
      - 2
      - 0
    .max_flat_workgroup_size: 256
    .name:           _ZN9rocsparseL21csrmvn_general_kernelILj256ELj8Elid21rocsparse_complex_numIdES2_S2_EEvbT2_NS_24const_host_device_scalarIT6_EEPKT1_S9_PKS3_PKT3_PKT4_S6_PT5_21rocsparse_index_base_b
    .private_segment_fixed_size: 0
    .sgpr_count:     30
    .sgpr_spill_count: 0
    .symbol:         _ZN9rocsparseL21csrmvn_general_kernelILj256ELj8Elid21rocsparse_complex_numIdES2_S2_EEvbT2_NS_24const_host_device_scalarIT6_EEPKT1_S9_PKS3_PKT3_PKT4_S6_PT5_21rocsparse_index_base_b.kd
    .uniform_work_group_size: 1
    .uses_dynamic_stack: false
    .vgpr_count:     40
    .vgpr_spill_count: 0
    .wavefront_size: 64
  - .agpr_count:     0
    .args:
      - .offset:         0
        .size:           1
        .value_kind:     by_value
      - .offset:         4
        .size:           4
        .value_kind:     by_value
      - .offset:         8
        .size:           16
        .value_kind:     by_value
      - .address_space:  global
        .offset:         24
        .size:           8
        .value_kind:     global_buffer
      - .address_space:  global
        .offset:         32
        .size:           8
        .value_kind:     global_buffer
      - .actual_access:  read_only
        .address_space:  global
        .offset:         40
        .size:           8
        .value_kind:     global_buffer
      - .actual_access:  read_only
        .address_space:  global
        .offset:         48
        .size:           8
        .value_kind:     global_buffer
      - .actual_access:  read_only
        .address_space:  global
        .offset:         56
        .size:           8
        .value_kind:     global_buffer
      - .offset:         64
        .size:           16
        .value_kind:     by_value
      - .address_space:  global
        .offset:         80
        .size:           8
        .value_kind:     global_buffer
      - .offset:         88
        .size:           4
        .value_kind:     by_value
      - .offset:         92
        .size:           1
        .value_kind:     by_value
      - .offset:         96
        .size:           4
        .value_kind:     hidden_block_count_x
      - .offset:         100
        .size:           4
        .value_kind:     hidden_block_count_y
      - .offset:         104
        .size:           4
        .value_kind:     hidden_block_count_z
      - .offset:         108
        .size:           2
        .value_kind:     hidden_group_size_x
      - .offset:         110
        .size:           2
        .value_kind:     hidden_group_size_y
      - .offset:         112
        .size:           2
        .value_kind:     hidden_group_size_z
      - .offset:         114
        .size:           2
        .value_kind:     hidden_remainder_x
      - .offset:         116
        .size:           2
        .value_kind:     hidden_remainder_y
      - .offset:         118
        .size:           2
        .value_kind:     hidden_remainder_z
      - .offset:         136
        .size:           8
        .value_kind:     hidden_global_offset_x
      - .offset:         144
        .size:           8
        .value_kind:     hidden_global_offset_y
      - .offset:         152
        .size:           8
        .value_kind:     hidden_global_offset_z
      - .offset:         160
        .size:           2
        .value_kind:     hidden_grid_dims
    .group_segment_fixed_size: 4096
    .kernarg_segment_align: 8
    .kernarg_segment_size: 352
    .language:       OpenCL C
    .language_version:
      - 2
      - 0
    .max_flat_workgroup_size: 256
    .name:           _ZN9rocsparseL21csrmvn_general_kernelILj256ELj16Elid21rocsparse_complex_numIdES2_S2_EEvbT2_NS_24const_host_device_scalarIT6_EEPKT1_S9_PKS3_PKT3_PKT4_S6_PT5_21rocsparse_index_base_b
    .private_segment_fixed_size: 0
    .sgpr_count:     30
    .sgpr_spill_count: 0
    .symbol:         _ZN9rocsparseL21csrmvn_general_kernelILj256ELj16Elid21rocsparse_complex_numIdES2_S2_EEvbT2_NS_24const_host_device_scalarIT6_EEPKT1_S9_PKS3_PKT3_PKT4_S6_PT5_21rocsparse_index_base_b.kd
    .uniform_work_group_size: 1
    .uses_dynamic_stack: false
    .vgpr_count:     40
    .vgpr_spill_count: 0
    .wavefront_size: 64
  - .agpr_count:     0
    .args:
      - .offset:         0
        .size:           1
        .value_kind:     by_value
      - .offset:         4
        .size:           4
        .value_kind:     by_value
      - .offset:         8
        .size:           16
        .value_kind:     by_value
      - .address_space:  global
        .offset:         24
        .size:           8
        .value_kind:     global_buffer
      - .address_space:  global
        .offset:         32
        .size:           8
        .value_kind:     global_buffer
      - .actual_access:  read_only
        .address_space:  global
        .offset:         40
        .size:           8
        .value_kind:     global_buffer
      - .actual_access:  read_only
        .address_space:  global
        .offset:         48
        .size:           8
        .value_kind:     global_buffer
      - .actual_access:  read_only
        .address_space:  global
        .offset:         56
        .size:           8
        .value_kind:     global_buffer
      - .offset:         64
        .size:           16
        .value_kind:     by_value
      - .address_space:  global
        .offset:         80
        .size:           8
        .value_kind:     global_buffer
      - .offset:         88
        .size:           4
        .value_kind:     by_value
      - .offset:         92
        .size:           1
        .value_kind:     by_value
      - .offset:         96
        .size:           4
        .value_kind:     hidden_block_count_x
      - .offset:         100
        .size:           4
        .value_kind:     hidden_block_count_y
      - .offset:         104
        .size:           4
        .value_kind:     hidden_block_count_z
      - .offset:         108
        .size:           2
        .value_kind:     hidden_group_size_x
      - .offset:         110
        .size:           2
        .value_kind:     hidden_group_size_y
      - .offset:         112
        .size:           2
        .value_kind:     hidden_group_size_z
      - .offset:         114
        .size:           2
        .value_kind:     hidden_remainder_x
      - .offset:         116
        .size:           2
        .value_kind:     hidden_remainder_y
      - .offset:         118
        .size:           2
        .value_kind:     hidden_remainder_z
      - .offset:         136
        .size:           8
        .value_kind:     hidden_global_offset_x
      - .offset:         144
        .size:           8
        .value_kind:     hidden_global_offset_y
      - .offset:         152
        .size:           8
        .value_kind:     hidden_global_offset_z
      - .offset:         160
        .size:           2
        .value_kind:     hidden_grid_dims
    .group_segment_fixed_size: 4096
    .kernarg_segment_align: 8
    .kernarg_segment_size: 352
    .language:       OpenCL C
    .language_version:
      - 2
      - 0
    .max_flat_workgroup_size: 256
    .name:           _ZN9rocsparseL21csrmvn_general_kernelILj256ELj32Elid21rocsparse_complex_numIdES2_S2_EEvbT2_NS_24const_host_device_scalarIT6_EEPKT1_S9_PKS3_PKT3_PKT4_S6_PT5_21rocsparse_index_base_b
    .private_segment_fixed_size: 0
    .sgpr_count:     30
    .sgpr_spill_count: 0
    .symbol:         _ZN9rocsparseL21csrmvn_general_kernelILj256ELj32Elid21rocsparse_complex_numIdES2_S2_EEvbT2_NS_24const_host_device_scalarIT6_EEPKT1_S9_PKS3_PKT3_PKT4_S6_PT5_21rocsparse_index_base_b.kd
    .uniform_work_group_size: 1
    .uses_dynamic_stack: false
    .vgpr_count:     40
    .vgpr_spill_count: 0
    .wavefront_size: 64
  - .agpr_count:     0
    .args:
      - .offset:         0
        .size:           1
        .value_kind:     by_value
      - .offset:         4
        .size:           4
        .value_kind:     by_value
      - .offset:         8
        .size:           16
        .value_kind:     by_value
      - .address_space:  global
        .offset:         24
        .size:           8
        .value_kind:     global_buffer
      - .address_space:  global
        .offset:         32
        .size:           8
        .value_kind:     global_buffer
      - .actual_access:  read_only
        .address_space:  global
        .offset:         40
        .size:           8
        .value_kind:     global_buffer
      - .actual_access:  read_only
        .address_space:  global
        .offset:         48
        .size:           8
        .value_kind:     global_buffer
      - .actual_access:  read_only
        .address_space:  global
        .offset:         56
        .size:           8
        .value_kind:     global_buffer
      - .offset:         64
        .size:           16
        .value_kind:     by_value
      - .address_space:  global
        .offset:         80
        .size:           8
        .value_kind:     global_buffer
      - .offset:         88
        .size:           4
        .value_kind:     by_value
      - .offset:         92
        .size:           1
        .value_kind:     by_value
      - .offset:         96
        .size:           4
        .value_kind:     hidden_block_count_x
      - .offset:         100
        .size:           4
        .value_kind:     hidden_block_count_y
      - .offset:         104
        .size:           4
        .value_kind:     hidden_block_count_z
      - .offset:         108
        .size:           2
        .value_kind:     hidden_group_size_x
      - .offset:         110
        .size:           2
        .value_kind:     hidden_group_size_y
      - .offset:         112
        .size:           2
        .value_kind:     hidden_group_size_z
      - .offset:         114
        .size:           2
        .value_kind:     hidden_remainder_x
      - .offset:         116
        .size:           2
        .value_kind:     hidden_remainder_y
      - .offset:         118
        .size:           2
        .value_kind:     hidden_remainder_z
      - .offset:         136
        .size:           8
        .value_kind:     hidden_global_offset_x
      - .offset:         144
        .size:           8
        .value_kind:     hidden_global_offset_y
      - .offset:         152
        .size:           8
        .value_kind:     hidden_global_offset_z
      - .offset:         160
        .size:           2
        .value_kind:     hidden_grid_dims
    .group_segment_fixed_size: 4096
    .kernarg_segment_align: 8
    .kernarg_segment_size: 352
    .language:       OpenCL C
    .language_version:
      - 2
      - 0
    .max_flat_workgroup_size: 256
    .name:           _ZN9rocsparseL21csrmvn_general_kernelILj256ELj64Elid21rocsparse_complex_numIdES2_S2_EEvbT2_NS_24const_host_device_scalarIT6_EEPKT1_S9_PKS3_PKT3_PKT4_S6_PT5_21rocsparse_index_base_b
    .private_segment_fixed_size: 0
    .sgpr_count:     30
    .sgpr_spill_count: 0
    .symbol:         _ZN9rocsparseL21csrmvn_general_kernelILj256ELj64Elid21rocsparse_complex_numIdES2_S2_EEvbT2_NS_24const_host_device_scalarIT6_EEPKT1_S9_PKS3_PKT3_PKT4_S6_PT5_21rocsparse_index_base_b.kd
    .uniform_work_group_size: 1
    .uses_dynamic_stack: false
    .vgpr_count:     40
    .vgpr_spill_count: 0
    .wavefront_size: 64
  - .agpr_count:     0
    .args:
      - .offset:         0
        .size:           1
        .value_kind:     by_value
      - .offset:         1
        .size:           1
        .value_kind:     by_value
      - .offset:         4
        .size:           4
        .value_kind:     by_value
      - .offset:         8
        .size:           16
        .value_kind:     by_value
      - .address_space:  global
        .offset:         24
        .size:           8
        .value_kind:     global_buffer
      - .address_space:  global
        .offset:         32
        .size:           8
        .value_kind:     global_buffer
      - .actual_access:  read_only
        .address_space:  global
        .offset:         40
        .size:           8
        .value_kind:     global_buffer
      - .actual_access:  read_only
        .address_space:  global
        .offset:         48
        .size:           8
        .value_kind:     global_buffer
      - .actual_access:  read_only
        .address_space:  global
        .offset:         56
        .size:           8
        .value_kind:     global_buffer
      - .address_space:  global
        .offset:         64
        .size:           8
        .value_kind:     global_buffer
      - .offset:         72
        .size:           4
        .value_kind:     by_value
      - .offset:         76
        .size:           1
        .value_kind:     by_value
      - .offset:         80
        .size:           4
        .value_kind:     hidden_block_count_x
      - .offset:         84
        .size:           4
        .value_kind:     hidden_block_count_y
      - .offset:         88
        .size:           4
        .value_kind:     hidden_block_count_z
      - .offset:         92
        .size:           2
        .value_kind:     hidden_group_size_x
      - .offset:         94
        .size:           2
        .value_kind:     hidden_group_size_y
      - .offset:         96
        .size:           2
        .value_kind:     hidden_group_size_z
      - .offset:         98
        .size:           2
        .value_kind:     hidden_remainder_x
      - .offset:         100
        .size:           2
        .value_kind:     hidden_remainder_y
      - .offset:         102
        .size:           2
        .value_kind:     hidden_remainder_z
      - .offset:         120
        .size:           8
        .value_kind:     hidden_global_offset_x
      - .offset:         128
        .size:           8
        .value_kind:     hidden_global_offset_y
      - .offset:         136
        .size:           8
        .value_kind:     hidden_global_offset_z
      - .offset:         144
        .size:           2
        .value_kind:     hidden_grid_dims
    .group_segment_fixed_size: 2048
    .kernarg_segment_align: 8
    .kernarg_segment_size: 336
    .language:       OpenCL C
    .language_version:
      - 2
      - 0
    .max_flat_workgroup_size: 256
    .name:           _ZN9rocsparseL21csrmvt_general_kernelILj256ELj4Elid21rocsparse_complex_numIdES2_S2_EEvbbT2_NS_24const_host_device_scalarIT6_EEPKT1_S9_PKS3_PKT3_PKT4_PT5_21rocsparse_index_base_b
    .private_segment_fixed_size: 0
    .sgpr_count:     34
    .sgpr_spill_count: 0
    .symbol:         _ZN9rocsparseL21csrmvt_general_kernelILj256ELj4Elid21rocsparse_complex_numIdES2_S2_EEvbbT2_NS_24const_host_device_scalarIT6_EEPKT1_S9_PKS3_PKT3_PKT4_PT5_21rocsparse_index_base_b.kd
    .uniform_work_group_size: 1
    .uses_dynamic_stack: false
    .vgpr_count:     35
    .vgpr_spill_count: 0
    .wavefront_size: 64
  - .agpr_count:     0
    .args:
      - .offset:         0
        .size:           1
        .value_kind:     by_value
      - .offset:         1
        .size:           1
        .value_kind:     by_value
      - .offset:         4
        .size:           4
        .value_kind:     by_value
      - .offset:         8
        .size:           16
        .value_kind:     by_value
      - .address_space:  global
        .offset:         24
        .size:           8
        .value_kind:     global_buffer
      - .address_space:  global
        .offset:         32
        .size:           8
        .value_kind:     global_buffer
      - .actual_access:  read_only
        .address_space:  global
        .offset:         40
        .size:           8
        .value_kind:     global_buffer
      - .actual_access:  read_only
        .address_space:  global
        .offset:         48
        .size:           8
        .value_kind:     global_buffer
      - .actual_access:  read_only
        .address_space:  global
        .offset:         56
        .size:           8
        .value_kind:     global_buffer
      - .address_space:  global
        .offset:         64
        .size:           8
        .value_kind:     global_buffer
      - .offset:         72
        .size:           4
        .value_kind:     by_value
      - .offset:         76
        .size:           1
        .value_kind:     by_value
      - .offset:         80
        .size:           4
        .value_kind:     hidden_block_count_x
      - .offset:         84
        .size:           4
        .value_kind:     hidden_block_count_y
      - .offset:         88
        .size:           4
        .value_kind:     hidden_block_count_z
      - .offset:         92
        .size:           2
        .value_kind:     hidden_group_size_x
      - .offset:         94
        .size:           2
        .value_kind:     hidden_group_size_y
      - .offset:         96
        .size:           2
        .value_kind:     hidden_group_size_z
      - .offset:         98
        .size:           2
        .value_kind:     hidden_remainder_x
      - .offset:         100
        .size:           2
        .value_kind:     hidden_remainder_y
      - .offset:         102
        .size:           2
        .value_kind:     hidden_remainder_z
      - .offset:         120
        .size:           8
        .value_kind:     hidden_global_offset_x
      - .offset:         128
        .size:           8
        .value_kind:     hidden_global_offset_y
      - .offset:         136
        .size:           8
        .value_kind:     hidden_global_offset_z
      - .offset:         144
        .size:           2
        .value_kind:     hidden_grid_dims
    .group_segment_fixed_size: 2048
    .kernarg_segment_align: 8
    .kernarg_segment_size: 336
    .language:       OpenCL C
    .language_version:
      - 2
      - 0
    .max_flat_workgroup_size: 256
    .name:           _ZN9rocsparseL21csrmvt_general_kernelILj256ELj8Elid21rocsparse_complex_numIdES2_S2_EEvbbT2_NS_24const_host_device_scalarIT6_EEPKT1_S9_PKS3_PKT3_PKT4_PT5_21rocsparse_index_base_b
    .private_segment_fixed_size: 0
    .sgpr_count:     34
    .sgpr_spill_count: 0
    .symbol:         _ZN9rocsparseL21csrmvt_general_kernelILj256ELj8Elid21rocsparse_complex_numIdES2_S2_EEvbbT2_NS_24const_host_device_scalarIT6_EEPKT1_S9_PKS3_PKT3_PKT4_PT5_21rocsparse_index_base_b.kd
    .uniform_work_group_size: 1
    .uses_dynamic_stack: false
    .vgpr_count:     35
    .vgpr_spill_count: 0
    .wavefront_size: 64
  - .agpr_count:     0
    .args:
      - .offset:         0
        .size:           1
        .value_kind:     by_value
      - .offset:         1
        .size:           1
        .value_kind:     by_value
      - .offset:         4
        .size:           4
        .value_kind:     by_value
      - .offset:         8
        .size:           16
        .value_kind:     by_value
      - .address_space:  global
        .offset:         24
        .size:           8
        .value_kind:     global_buffer
      - .address_space:  global
        .offset:         32
        .size:           8
        .value_kind:     global_buffer
      - .actual_access:  read_only
        .address_space:  global
        .offset:         40
        .size:           8
        .value_kind:     global_buffer
      - .actual_access:  read_only
        .address_space:  global
        .offset:         48
        .size:           8
        .value_kind:     global_buffer
      - .actual_access:  read_only
        .address_space:  global
        .offset:         56
        .size:           8
        .value_kind:     global_buffer
      - .address_space:  global
        .offset:         64
        .size:           8
        .value_kind:     global_buffer
      - .offset:         72
        .size:           4
        .value_kind:     by_value
      - .offset:         76
        .size:           1
        .value_kind:     by_value
      - .offset:         80
        .size:           4
        .value_kind:     hidden_block_count_x
      - .offset:         84
        .size:           4
        .value_kind:     hidden_block_count_y
      - .offset:         88
        .size:           4
        .value_kind:     hidden_block_count_z
      - .offset:         92
        .size:           2
        .value_kind:     hidden_group_size_x
      - .offset:         94
        .size:           2
        .value_kind:     hidden_group_size_y
      - .offset:         96
        .size:           2
        .value_kind:     hidden_group_size_z
      - .offset:         98
        .size:           2
        .value_kind:     hidden_remainder_x
      - .offset:         100
        .size:           2
        .value_kind:     hidden_remainder_y
      - .offset:         102
        .size:           2
        .value_kind:     hidden_remainder_z
      - .offset:         120
        .size:           8
        .value_kind:     hidden_global_offset_x
      - .offset:         128
        .size:           8
        .value_kind:     hidden_global_offset_y
      - .offset:         136
        .size:           8
        .value_kind:     hidden_global_offset_z
      - .offset:         144
        .size:           2
        .value_kind:     hidden_grid_dims
    .group_segment_fixed_size: 2048
    .kernarg_segment_align: 8
    .kernarg_segment_size: 336
    .language:       OpenCL C
    .language_version:
      - 2
      - 0
    .max_flat_workgroup_size: 256
    .name:           _ZN9rocsparseL21csrmvt_general_kernelILj256ELj16Elid21rocsparse_complex_numIdES2_S2_EEvbbT2_NS_24const_host_device_scalarIT6_EEPKT1_S9_PKS3_PKT3_PKT4_PT5_21rocsparse_index_base_b
    .private_segment_fixed_size: 0
    .sgpr_count:     34
    .sgpr_spill_count: 0
    .symbol:         _ZN9rocsparseL21csrmvt_general_kernelILj256ELj16Elid21rocsparse_complex_numIdES2_S2_EEvbbT2_NS_24const_host_device_scalarIT6_EEPKT1_S9_PKS3_PKT3_PKT4_PT5_21rocsparse_index_base_b.kd
    .uniform_work_group_size: 1
    .uses_dynamic_stack: false
    .vgpr_count:     35
    .vgpr_spill_count: 0
    .wavefront_size: 64
  - .agpr_count:     0
    .args:
      - .offset:         0
        .size:           1
        .value_kind:     by_value
      - .offset:         1
        .size:           1
        .value_kind:     by_value
      - .offset:         4
        .size:           4
        .value_kind:     by_value
      - .offset:         8
        .size:           16
        .value_kind:     by_value
      - .address_space:  global
        .offset:         24
        .size:           8
        .value_kind:     global_buffer
      - .address_space:  global
        .offset:         32
        .size:           8
        .value_kind:     global_buffer
      - .actual_access:  read_only
        .address_space:  global
        .offset:         40
        .size:           8
        .value_kind:     global_buffer
      - .actual_access:  read_only
        .address_space:  global
        .offset:         48
        .size:           8
        .value_kind:     global_buffer
      - .actual_access:  read_only
        .address_space:  global
        .offset:         56
        .size:           8
        .value_kind:     global_buffer
      - .address_space:  global
        .offset:         64
        .size:           8
        .value_kind:     global_buffer
      - .offset:         72
        .size:           4
        .value_kind:     by_value
      - .offset:         76
        .size:           1
        .value_kind:     by_value
      - .offset:         80
        .size:           4
        .value_kind:     hidden_block_count_x
      - .offset:         84
        .size:           4
        .value_kind:     hidden_block_count_y
      - .offset:         88
        .size:           4
        .value_kind:     hidden_block_count_z
      - .offset:         92
        .size:           2
        .value_kind:     hidden_group_size_x
      - .offset:         94
        .size:           2
        .value_kind:     hidden_group_size_y
      - .offset:         96
        .size:           2
        .value_kind:     hidden_group_size_z
      - .offset:         98
        .size:           2
        .value_kind:     hidden_remainder_x
      - .offset:         100
        .size:           2
        .value_kind:     hidden_remainder_y
      - .offset:         102
        .size:           2
        .value_kind:     hidden_remainder_z
      - .offset:         120
        .size:           8
        .value_kind:     hidden_global_offset_x
      - .offset:         128
        .size:           8
        .value_kind:     hidden_global_offset_y
      - .offset:         136
        .size:           8
        .value_kind:     hidden_global_offset_z
      - .offset:         144
        .size:           2
        .value_kind:     hidden_grid_dims
    .group_segment_fixed_size: 2048
    .kernarg_segment_align: 8
    .kernarg_segment_size: 336
    .language:       OpenCL C
    .language_version:
      - 2
      - 0
    .max_flat_workgroup_size: 256
    .name:           _ZN9rocsparseL21csrmvt_general_kernelILj256ELj32Elid21rocsparse_complex_numIdES2_S2_EEvbbT2_NS_24const_host_device_scalarIT6_EEPKT1_S9_PKS3_PKT3_PKT4_PT5_21rocsparse_index_base_b
    .private_segment_fixed_size: 0
    .sgpr_count:     34
    .sgpr_spill_count: 0
    .symbol:         _ZN9rocsparseL21csrmvt_general_kernelILj256ELj32Elid21rocsparse_complex_numIdES2_S2_EEvbbT2_NS_24const_host_device_scalarIT6_EEPKT1_S9_PKS3_PKT3_PKT4_PT5_21rocsparse_index_base_b.kd
    .uniform_work_group_size: 1
    .uses_dynamic_stack: false
    .vgpr_count:     35
    .vgpr_spill_count: 0
    .wavefront_size: 64
  - .agpr_count:     0
    .args:
      - .offset:         0
        .size:           1
        .value_kind:     by_value
      - .offset:         1
        .size:           1
        .value_kind:     by_value
      - .offset:         4
        .size:           4
        .value_kind:     by_value
      - .offset:         8
        .size:           16
        .value_kind:     by_value
      - .address_space:  global
        .offset:         24
        .size:           8
        .value_kind:     global_buffer
      - .address_space:  global
        .offset:         32
        .size:           8
        .value_kind:     global_buffer
      - .actual_access:  read_only
        .address_space:  global
        .offset:         40
        .size:           8
        .value_kind:     global_buffer
      - .actual_access:  read_only
        .address_space:  global
        .offset:         48
        .size:           8
        .value_kind:     global_buffer
      - .actual_access:  read_only
        .address_space:  global
        .offset:         56
        .size:           8
        .value_kind:     global_buffer
      - .address_space:  global
        .offset:         64
        .size:           8
        .value_kind:     global_buffer
      - .offset:         72
        .size:           4
        .value_kind:     by_value
      - .offset:         76
        .size:           1
        .value_kind:     by_value
      - .offset:         80
        .size:           4
        .value_kind:     hidden_block_count_x
      - .offset:         84
        .size:           4
        .value_kind:     hidden_block_count_y
      - .offset:         88
        .size:           4
        .value_kind:     hidden_block_count_z
      - .offset:         92
        .size:           2
        .value_kind:     hidden_group_size_x
      - .offset:         94
        .size:           2
        .value_kind:     hidden_group_size_y
      - .offset:         96
        .size:           2
        .value_kind:     hidden_group_size_z
      - .offset:         98
        .size:           2
        .value_kind:     hidden_remainder_x
      - .offset:         100
        .size:           2
        .value_kind:     hidden_remainder_y
      - .offset:         102
        .size:           2
        .value_kind:     hidden_remainder_z
      - .offset:         120
        .size:           8
        .value_kind:     hidden_global_offset_x
      - .offset:         128
        .size:           8
        .value_kind:     hidden_global_offset_y
      - .offset:         136
        .size:           8
        .value_kind:     hidden_global_offset_z
      - .offset:         144
        .size:           2
        .value_kind:     hidden_grid_dims
    .group_segment_fixed_size: 2048
    .kernarg_segment_align: 8
    .kernarg_segment_size: 336
    .language:       OpenCL C
    .language_version:
      - 2
      - 0
    .max_flat_workgroup_size: 256
    .name:           _ZN9rocsparseL21csrmvt_general_kernelILj256ELj64Elid21rocsparse_complex_numIdES2_S2_EEvbbT2_NS_24const_host_device_scalarIT6_EEPKT1_S9_PKS3_PKT3_PKT4_PT5_21rocsparse_index_base_b
    .private_segment_fixed_size: 0
    .sgpr_count:     34
    .sgpr_spill_count: 0
    .symbol:         _ZN9rocsparseL21csrmvt_general_kernelILj256ELj64Elid21rocsparse_complex_numIdES2_S2_EEvbbT2_NS_24const_host_device_scalarIT6_EEPKT1_S9_PKS3_PKT3_PKT4_PT5_21rocsparse_index_base_b.kd
    .uniform_work_group_size: 1
    .uses_dynamic_stack: false
    .vgpr_count:     35
    .vgpr_spill_count: 0
    .wavefront_size: 64
  - .agpr_count:     0
    .args:
      - .offset:         0
        .size:           1
        .value_kind:     by_value
      - .offset:         8
        .size:           8
        .value_kind:     by_value
      - .offset:         16
        .size:           16
        .value_kind:     by_value
      - .address_space:  global
        .offset:         32
        .size:           8
        .value_kind:     global_buffer
      - .address_space:  global
        .offset:         40
        .size:           8
        .value_kind:     global_buffer
      - .actual_access:  read_only
        .address_space:  global
        .offset:         48
        .size:           8
        .value_kind:     global_buffer
      - .actual_access:  read_only
        .address_space:  global
        .offset:         56
        .size:           8
        .value_kind:     global_buffer
      - .actual_access:  read_only
        .address_space:  global
        .offset:         64
        .size:           8
        .value_kind:     global_buffer
      - .offset:         72
        .size:           16
        .value_kind:     by_value
      - .address_space:  global
        .offset:         88
        .size:           8
        .value_kind:     global_buffer
      - .offset:         96
        .size:           4
        .value_kind:     by_value
      - .offset:         100
        .size:           1
        .value_kind:     by_value
      - .offset:         104
        .size:           4
        .value_kind:     hidden_block_count_x
      - .offset:         108
        .size:           4
        .value_kind:     hidden_block_count_y
      - .offset:         112
        .size:           4
        .value_kind:     hidden_block_count_z
      - .offset:         116
        .size:           2
        .value_kind:     hidden_group_size_x
      - .offset:         118
        .size:           2
        .value_kind:     hidden_group_size_y
      - .offset:         120
        .size:           2
        .value_kind:     hidden_group_size_z
      - .offset:         122
        .size:           2
        .value_kind:     hidden_remainder_x
      - .offset:         124
        .size:           2
        .value_kind:     hidden_remainder_y
      - .offset:         126
        .size:           2
        .value_kind:     hidden_remainder_z
      - .offset:         144
        .size:           8
        .value_kind:     hidden_global_offset_x
      - .offset:         152
        .size:           8
        .value_kind:     hidden_global_offset_y
      - .offset:         160
        .size:           8
        .value_kind:     hidden_global_offset_z
      - .offset:         168
        .size:           2
        .value_kind:     hidden_grid_dims
    .group_segment_fixed_size: 4096
    .kernarg_segment_align: 8
    .kernarg_segment_size: 360
    .language:       OpenCL C
    .language_version:
      - 2
      - 0
    .max_flat_workgroup_size: 256
    .name:           _ZN9rocsparseL21csrmvn_general_kernelILj256ELj2Elld21rocsparse_complex_numIdES2_S2_EEvbT2_NS_24const_host_device_scalarIT6_EEPKT1_S9_PKS3_PKT3_PKT4_S6_PT5_21rocsparse_index_base_b
    .private_segment_fixed_size: 0
    .sgpr_count:     30
    .sgpr_spill_count: 0
    .symbol:         _ZN9rocsparseL21csrmvn_general_kernelILj256ELj2Elld21rocsparse_complex_numIdES2_S2_EEvbT2_NS_24const_host_device_scalarIT6_EEPKT1_S9_PKS3_PKT3_PKT4_S6_PT5_21rocsparse_index_base_b.kd
    .uniform_work_group_size: 1
    .uses_dynamic_stack: false
    .vgpr_count:     40
    .vgpr_spill_count: 0
    .wavefront_size: 64
  - .agpr_count:     0
    .args:
      - .offset:         0
        .size:           1
        .value_kind:     by_value
      - .offset:         8
        .size:           8
        .value_kind:     by_value
      - .offset:         16
        .size:           16
        .value_kind:     by_value
      - .address_space:  global
        .offset:         32
        .size:           8
        .value_kind:     global_buffer
      - .address_space:  global
        .offset:         40
        .size:           8
        .value_kind:     global_buffer
      - .actual_access:  read_only
        .address_space:  global
        .offset:         48
        .size:           8
        .value_kind:     global_buffer
      - .actual_access:  read_only
        .address_space:  global
        .offset:         56
        .size:           8
        .value_kind:     global_buffer
      - .actual_access:  read_only
        .address_space:  global
        .offset:         64
        .size:           8
        .value_kind:     global_buffer
      - .offset:         72
        .size:           16
        .value_kind:     by_value
      - .address_space:  global
        .offset:         88
        .size:           8
        .value_kind:     global_buffer
      - .offset:         96
        .size:           4
        .value_kind:     by_value
      - .offset:         100
        .size:           1
        .value_kind:     by_value
      - .offset:         104
        .size:           4
        .value_kind:     hidden_block_count_x
      - .offset:         108
        .size:           4
        .value_kind:     hidden_block_count_y
      - .offset:         112
        .size:           4
        .value_kind:     hidden_block_count_z
      - .offset:         116
        .size:           2
        .value_kind:     hidden_group_size_x
      - .offset:         118
        .size:           2
        .value_kind:     hidden_group_size_y
      - .offset:         120
        .size:           2
        .value_kind:     hidden_group_size_z
      - .offset:         122
        .size:           2
        .value_kind:     hidden_remainder_x
      - .offset:         124
        .size:           2
        .value_kind:     hidden_remainder_y
      - .offset:         126
        .size:           2
        .value_kind:     hidden_remainder_z
      - .offset:         144
        .size:           8
        .value_kind:     hidden_global_offset_x
      - .offset:         152
        .size:           8
        .value_kind:     hidden_global_offset_y
      - .offset:         160
        .size:           8
        .value_kind:     hidden_global_offset_z
      - .offset:         168
        .size:           2
        .value_kind:     hidden_grid_dims
    .group_segment_fixed_size: 4096
    .kernarg_segment_align: 8
    .kernarg_segment_size: 360
    .language:       OpenCL C
    .language_version:
      - 2
      - 0
    .max_flat_workgroup_size: 256
    .name:           _ZN9rocsparseL21csrmvn_general_kernelILj256ELj4Elld21rocsparse_complex_numIdES2_S2_EEvbT2_NS_24const_host_device_scalarIT6_EEPKT1_S9_PKS3_PKT3_PKT4_S6_PT5_21rocsparse_index_base_b
    .private_segment_fixed_size: 0
    .sgpr_count:     30
    .sgpr_spill_count: 0
    .symbol:         _ZN9rocsparseL21csrmvn_general_kernelILj256ELj4Elld21rocsparse_complex_numIdES2_S2_EEvbT2_NS_24const_host_device_scalarIT6_EEPKT1_S9_PKS3_PKT3_PKT4_S6_PT5_21rocsparse_index_base_b.kd
    .uniform_work_group_size: 1
    .uses_dynamic_stack: false
    .vgpr_count:     40
    .vgpr_spill_count: 0
    .wavefront_size: 64
  - .agpr_count:     0
    .args:
      - .offset:         0
        .size:           1
        .value_kind:     by_value
      - .offset:         8
        .size:           8
        .value_kind:     by_value
      - .offset:         16
        .size:           16
        .value_kind:     by_value
      - .address_space:  global
        .offset:         32
        .size:           8
        .value_kind:     global_buffer
      - .address_space:  global
        .offset:         40
        .size:           8
        .value_kind:     global_buffer
      - .actual_access:  read_only
        .address_space:  global
        .offset:         48
        .size:           8
        .value_kind:     global_buffer
      - .actual_access:  read_only
        .address_space:  global
        .offset:         56
        .size:           8
        .value_kind:     global_buffer
      - .actual_access:  read_only
        .address_space:  global
        .offset:         64
        .size:           8
        .value_kind:     global_buffer
      - .offset:         72
        .size:           16
        .value_kind:     by_value
      - .address_space:  global
        .offset:         88
        .size:           8
        .value_kind:     global_buffer
      - .offset:         96
        .size:           4
        .value_kind:     by_value
      - .offset:         100
        .size:           1
        .value_kind:     by_value
      - .offset:         104
        .size:           4
        .value_kind:     hidden_block_count_x
      - .offset:         108
        .size:           4
        .value_kind:     hidden_block_count_y
      - .offset:         112
        .size:           4
        .value_kind:     hidden_block_count_z
      - .offset:         116
        .size:           2
        .value_kind:     hidden_group_size_x
      - .offset:         118
        .size:           2
        .value_kind:     hidden_group_size_y
      - .offset:         120
        .size:           2
        .value_kind:     hidden_group_size_z
      - .offset:         122
        .size:           2
        .value_kind:     hidden_remainder_x
      - .offset:         124
        .size:           2
        .value_kind:     hidden_remainder_y
      - .offset:         126
        .size:           2
        .value_kind:     hidden_remainder_z
      - .offset:         144
        .size:           8
        .value_kind:     hidden_global_offset_x
      - .offset:         152
        .size:           8
        .value_kind:     hidden_global_offset_y
      - .offset:         160
        .size:           8
        .value_kind:     hidden_global_offset_z
      - .offset:         168
        .size:           2
        .value_kind:     hidden_grid_dims
    .group_segment_fixed_size: 4096
    .kernarg_segment_align: 8
    .kernarg_segment_size: 360
    .language:       OpenCL C
    .language_version:
      - 2
      - 0
    .max_flat_workgroup_size: 256
    .name:           _ZN9rocsparseL21csrmvn_general_kernelILj256ELj8Elld21rocsparse_complex_numIdES2_S2_EEvbT2_NS_24const_host_device_scalarIT6_EEPKT1_S9_PKS3_PKT3_PKT4_S6_PT5_21rocsparse_index_base_b
    .private_segment_fixed_size: 0
    .sgpr_count:     30
    .sgpr_spill_count: 0
    .symbol:         _ZN9rocsparseL21csrmvn_general_kernelILj256ELj8Elld21rocsparse_complex_numIdES2_S2_EEvbT2_NS_24const_host_device_scalarIT6_EEPKT1_S9_PKS3_PKT3_PKT4_S6_PT5_21rocsparse_index_base_b.kd
    .uniform_work_group_size: 1
    .uses_dynamic_stack: false
    .vgpr_count:     40
    .vgpr_spill_count: 0
    .wavefront_size: 64
  - .agpr_count:     0
    .args:
      - .offset:         0
        .size:           1
        .value_kind:     by_value
      - .offset:         8
        .size:           8
        .value_kind:     by_value
      - .offset:         16
        .size:           16
        .value_kind:     by_value
      - .address_space:  global
        .offset:         32
        .size:           8
        .value_kind:     global_buffer
      - .address_space:  global
        .offset:         40
        .size:           8
        .value_kind:     global_buffer
      - .actual_access:  read_only
        .address_space:  global
        .offset:         48
        .size:           8
        .value_kind:     global_buffer
      - .actual_access:  read_only
        .address_space:  global
        .offset:         56
        .size:           8
        .value_kind:     global_buffer
      - .actual_access:  read_only
        .address_space:  global
        .offset:         64
        .size:           8
        .value_kind:     global_buffer
      - .offset:         72
        .size:           16
        .value_kind:     by_value
      - .address_space:  global
        .offset:         88
        .size:           8
        .value_kind:     global_buffer
      - .offset:         96
        .size:           4
        .value_kind:     by_value
      - .offset:         100
        .size:           1
        .value_kind:     by_value
      - .offset:         104
        .size:           4
        .value_kind:     hidden_block_count_x
      - .offset:         108
        .size:           4
        .value_kind:     hidden_block_count_y
      - .offset:         112
        .size:           4
        .value_kind:     hidden_block_count_z
      - .offset:         116
        .size:           2
        .value_kind:     hidden_group_size_x
      - .offset:         118
        .size:           2
        .value_kind:     hidden_group_size_y
      - .offset:         120
        .size:           2
        .value_kind:     hidden_group_size_z
      - .offset:         122
        .size:           2
        .value_kind:     hidden_remainder_x
      - .offset:         124
        .size:           2
        .value_kind:     hidden_remainder_y
      - .offset:         126
        .size:           2
        .value_kind:     hidden_remainder_z
      - .offset:         144
        .size:           8
        .value_kind:     hidden_global_offset_x
      - .offset:         152
        .size:           8
        .value_kind:     hidden_global_offset_y
      - .offset:         160
        .size:           8
        .value_kind:     hidden_global_offset_z
      - .offset:         168
        .size:           2
        .value_kind:     hidden_grid_dims
    .group_segment_fixed_size: 4096
    .kernarg_segment_align: 8
    .kernarg_segment_size: 360
    .language:       OpenCL C
    .language_version:
      - 2
      - 0
    .max_flat_workgroup_size: 256
    .name:           _ZN9rocsparseL21csrmvn_general_kernelILj256ELj16Elld21rocsparse_complex_numIdES2_S2_EEvbT2_NS_24const_host_device_scalarIT6_EEPKT1_S9_PKS3_PKT3_PKT4_S6_PT5_21rocsparse_index_base_b
    .private_segment_fixed_size: 0
    .sgpr_count:     32
    .sgpr_spill_count: 0
    .symbol:         _ZN9rocsparseL21csrmvn_general_kernelILj256ELj16Elld21rocsparse_complex_numIdES2_S2_EEvbT2_NS_24const_host_device_scalarIT6_EEPKT1_S9_PKS3_PKT3_PKT4_S6_PT5_21rocsparse_index_base_b.kd
    .uniform_work_group_size: 1
    .uses_dynamic_stack: false
    .vgpr_count:     40
    .vgpr_spill_count: 0
    .wavefront_size: 64
  - .agpr_count:     0
    .args:
      - .offset:         0
        .size:           1
        .value_kind:     by_value
      - .offset:         8
        .size:           8
        .value_kind:     by_value
      - .offset:         16
        .size:           16
        .value_kind:     by_value
      - .address_space:  global
        .offset:         32
        .size:           8
        .value_kind:     global_buffer
      - .address_space:  global
        .offset:         40
        .size:           8
        .value_kind:     global_buffer
      - .actual_access:  read_only
        .address_space:  global
        .offset:         48
        .size:           8
        .value_kind:     global_buffer
      - .actual_access:  read_only
        .address_space:  global
        .offset:         56
        .size:           8
        .value_kind:     global_buffer
      - .actual_access:  read_only
        .address_space:  global
        .offset:         64
        .size:           8
        .value_kind:     global_buffer
      - .offset:         72
        .size:           16
        .value_kind:     by_value
      - .address_space:  global
        .offset:         88
        .size:           8
        .value_kind:     global_buffer
      - .offset:         96
        .size:           4
        .value_kind:     by_value
      - .offset:         100
        .size:           1
        .value_kind:     by_value
      - .offset:         104
        .size:           4
        .value_kind:     hidden_block_count_x
      - .offset:         108
        .size:           4
        .value_kind:     hidden_block_count_y
      - .offset:         112
        .size:           4
        .value_kind:     hidden_block_count_z
      - .offset:         116
        .size:           2
        .value_kind:     hidden_group_size_x
      - .offset:         118
        .size:           2
        .value_kind:     hidden_group_size_y
      - .offset:         120
        .size:           2
        .value_kind:     hidden_group_size_z
      - .offset:         122
        .size:           2
        .value_kind:     hidden_remainder_x
      - .offset:         124
        .size:           2
        .value_kind:     hidden_remainder_y
      - .offset:         126
        .size:           2
        .value_kind:     hidden_remainder_z
      - .offset:         144
        .size:           8
        .value_kind:     hidden_global_offset_x
      - .offset:         152
        .size:           8
        .value_kind:     hidden_global_offset_y
      - .offset:         160
        .size:           8
        .value_kind:     hidden_global_offset_z
      - .offset:         168
        .size:           2
        .value_kind:     hidden_grid_dims
    .group_segment_fixed_size: 4096
    .kernarg_segment_align: 8
    .kernarg_segment_size: 360
    .language:       OpenCL C
    .language_version:
      - 2
      - 0
    .max_flat_workgroup_size: 256
    .name:           _ZN9rocsparseL21csrmvn_general_kernelILj256ELj32Elld21rocsparse_complex_numIdES2_S2_EEvbT2_NS_24const_host_device_scalarIT6_EEPKT1_S9_PKS3_PKT3_PKT4_S6_PT5_21rocsparse_index_base_b
    .private_segment_fixed_size: 0
    .sgpr_count:     32
    .sgpr_spill_count: 0
    .symbol:         _ZN9rocsparseL21csrmvn_general_kernelILj256ELj32Elld21rocsparse_complex_numIdES2_S2_EEvbT2_NS_24const_host_device_scalarIT6_EEPKT1_S9_PKS3_PKT3_PKT4_S6_PT5_21rocsparse_index_base_b.kd
    .uniform_work_group_size: 1
    .uses_dynamic_stack: false
    .vgpr_count:     40
    .vgpr_spill_count: 0
    .wavefront_size: 64
  - .agpr_count:     0
    .args:
      - .offset:         0
        .size:           1
        .value_kind:     by_value
      - .offset:         8
        .size:           8
        .value_kind:     by_value
      - .offset:         16
        .size:           16
        .value_kind:     by_value
      - .address_space:  global
        .offset:         32
        .size:           8
        .value_kind:     global_buffer
      - .address_space:  global
        .offset:         40
        .size:           8
        .value_kind:     global_buffer
      - .actual_access:  read_only
        .address_space:  global
        .offset:         48
        .size:           8
        .value_kind:     global_buffer
      - .actual_access:  read_only
        .address_space:  global
        .offset:         56
        .size:           8
        .value_kind:     global_buffer
      - .actual_access:  read_only
        .address_space:  global
        .offset:         64
        .size:           8
        .value_kind:     global_buffer
      - .offset:         72
        .size:           16
        .value_kind:     by_value
      - .address_space:  global
        .offset:         88
        .size:           8
        .value_kind:     global_buffer
      - .offset:         96
        .size:           4
        .value_kind:     by_value
      - .offset:         100
        .size:           1
        .value_kind:     by_value
      - .offset:         104
        .size:           4
        .value_kind:     hidden_block_count_x
      - .offset:         108
        .size:           4
        .value_kind:     hidden_block_count_y
      - .offset:         112
        .size:           4
        .value_kind:     hidden_block_count_z
      - .offset:         116
        .size:           2
        .value_kind:     hidden_group_size_x
      - .offset:         118
        .size:           2
        .value_kind:     hidden_group_size_y
      - .offset:         120
        .size:           2
        .value_kind:     hidden_group_size_z
      - .offset:         122
        .size:           2
        .value_kind:     hidden_remainder_x
      - .offset:         124
        .size:           2
        .value_kind:     hidden_remainder_y
      - .offset:         126
        .size:           2
        .value_kind:     hidden_remainder_z
      - .offset:         144
        .size:           8
        .value_kind:     hidden_global_offset_x
      - .offset:         152
        .size:           8
        .value_kind:     hidden_global_offset_y
      - .offset:         160
        .size:           8
        .value_kind:     hidden_global_offset_z
      - .offset:         168
        .size:           2
        .value_kind:     hidden_grid_dims
    .group_segment_fixed_size: 4096
    .kernarg_segment_align: 8
    .kernarg_segment_size: 360
    .language:       OpenCL C
    .language_version:
      - 2
      - 0
    .max_flat_workgroup_size: 256
    .name:           _ZN9rocsparseL21csrmvn_general_kernelILj256ELj64Elld21rocsparse_complex_numIdES2_S2_EEvbT2_NS_24const_host_device_scalarIT6_EEPKT1_S9_PKS3_PKT3_PKT4_S6_PT5_21rocsparse_index_base_b
    .private_segment_fixed_size: 0
    .sgpr_count:     32
    .sgpr_spill_count: 0
    .symbol:         _ZN9rocsparseL21csrmvn_general_kernelILj256ELj64Elld21rocsparse_complex_numIdES2_S2_EEvbT2_NS_24const_host_device_scalarIT6_EEPKT1_S9_PKS3_PKT3_PKT4_S6_PT5_21rocsparse_index_base_b.kd
    .uniform_work_group_size: 1
    .uses_dynamic_stack: false
    .vgpr_count:     40
    .vgpr_spill_count: 0
    .wavefront_size: 64
  - .agpr_count:     0
    .args:
      - .offset:         0
        .size:           1
        .value_kind:     by_value
      - .offset:         1
        .size:           1
        .value_kind:     by_value
      - .offset:         8
        .size:           8
        .value_kind:     by_value
      - .offset:         16
        .size:           16
        .value_kind:     by_value
      - .address_space:  global
        .offset:         32
        .size:           8
        .value_kind:     global_buffer
      - .address_space:  global
        .offset:         40
        .size:           8
        .value_kind:     global_buffer
      - .actual_access:  read_only
        .address_space:  global
        .offset:         48
        .size:           8
        .value_kind:     global_buffer
      - .actual_access:  read_only
        .address_space:  global
        .offset:         56
        .size:           8
        .value_kind:     global_buffer
      - .actual_access:  read_only
        .address_space:  global
        .offset:         64
        .size:           8
        .value_kind:     global_buffer
      - .address_space:  global
        .offset:         72
        .size:           8
        .value_kind:     global_buffer
      - .offset:         80
        .size:           4
        .value_kind:     by_value
      - .offset:         84
        .size:           1
        .value_kind:     by_value
      - .offset:         88
        .size:           4
        .value_kind:     hidden_block_count_x
      - .offset:         92
        .size:           4
        .value_kind:     hidden_block_count_y
      - .offset:         96
        .size:           4
        .value_kind:     hidden_block_count_z
      - .offset:         100
        .size:           2
        .value_kind:     hidden_group_size_x
      - .offset:         102
        .size:           2
        .value_kind:     hidden_group_size_y
      - .offset:         104
        .size:           2
        .value_kind:     hidden_group_size_z
      - .offset:         106
        .size:           2
        .value_kind:     hidden_remainder_x
      - .offset:         108
        .size:           2
        .value_kind:     hidden_remainder_y
      - .offset:         110
        .size:           2
        .value_kind:     hidden_remainder_z
      - .offset:         128
        .size:           8
        .value_kind:     hidden_global_offset_x
      - .offset:         136
        .size:           8
        .value_kind:     hidden_global_offset_y
      - .offset:         144
        .size:           8
        .value_kind:     hidden_global_offset_z
      - .offset:         152
        .size:           2
        .value_kind:     hidden_grid_dims
    .group_segment_fixed_size: 2048
    .kernarg_segment_align: 8
    .kernarg_segment_size: 344
    .language:       OpenCL C
    .language_version:
      - 2
      - 0
    .max_flat_workgroup_size: 256
    .name:           _ZN9rocsparseL21csrmvt_general_kernelILj256ELj4Elld21rocsparse_complex_numIdES2_S2_EEvbbT2_NS_24const_host_device_scalarIT6_EEPKT1_S9_PKS3_PKT3_PKT4_PT5_21rocsparse_index_base_b
    .private_segment_fixed_size: 0
    .sgpr_count:     34
    .sgpr_spill_count: 0
    .symbol:         _ZN9rocsparseL21csrmvt_general_kernelILj256ELj4Elld21rocsparse_complex_numIdES2_S2_EEvbbT2_NS_24const_host_device_scalarIT6_EEPKT1_S9_PKS3_PKT3_PKT4_PT5_21rocsparse_index_base_b.kd
    .uniform_work_group_size: 1
    .uses_dynamic_stack: false
    .vgpr_count:     36
    .vgpr_spill_count: 0
    .wavefront_size: 64
  - .agpr_count:     0
    .args:
      - .offset:         0
        .size:           1
        .value_kind:     by_value
      - .offset:         1
        .size:           1
        .value_kind:     by_value
      - .offset:         8
        .size:           8
        .value_kind:     by_value
      - .offset:         16
        .size:           16
        .value_kind:     by_value
      - .address_space:  global
        .offset:         32
        .size:           8
        .value_kind:     global_buffer
      - .address_space:  global
        .offset:         40
        .size:           8
        .value_kind:     global_buffer
      - .actual_access:  read_only
        .address_space:  global
        .offset:         48
        .size:           8
        .value_kind:     global_buffer
      - .actual_access:  read_only
        .address_space:  global
        .offset:         56
        .size:           8
        .value_kind:     global_buffer
      - .actual_access:  read_only
        .address_space:  global
        .offset:         64
        .size:           8
        .value_kind:     global_buffer
      - .address_space:  global
        .offset:         72
        .size:           8
        .value_kind:     global_buffer
      - .offset:         80
        .size:           4
        .value_kind:     by_value
      - .offset:         84
        .size:           1
        .value_kind:     by_value
      - .offset:         88
        .size:           4
        .value_kind:     hidden_block_count_x
      - .offset:         92
        .size:           4
        .value_kind:     hidden_block_count_y
      - .offset:         96
        .size:           4
        .value_kind:     hidden_block_count_z
      - .offset:         100
        .size:           2
        .value_kind:     hidden_group_size_x
      - .offset:         102
        .size:           2
        .value_kind:     hidden_group_size_y
      - .offset:         104
        .size:           2
        .value_kind:     hidden_group_size_z
      - .offset:         106
        .size:           2
        .value_kind:     hidden_remainder_x
      - .offset:         108
        .size:           2
        .value_kind:     hidden_remainder_y
      - .offset:         110
        .size:           2
        .value_kind:     hidden_remainder_z
      - .offset:         128
        .size:           8
        .value_kind:     hidden_global_offset_x
      - .offset:         136
        .size:           8
        .value_kind:     hidden_global_offset_y
      - .offset:         144
        .size:           8
        .value_kind:     hidden_global_offset_z
      - .offset:         152
        .size:           2
        .value_kind:     hidden_grid_dims
    .group_segment_fixed_size: 2048
    .kernarg_segment_align: 8
    .kernarg_segment_size: 344
    .language:       OpenCL C
    .language_version:
      - 2
      - 0
    .max_flat_workgroup_size: 256
    .name:           _ZN9rocsparseL21csrmvt_general_kernelILj256ELj8Elld21rocsparse_complex_numIdES2_S2_EEvbbT2_NS_24const_host_device_scalarIT6_EEPKT1_S9_PKS3_PKT3_PKT4_PT5_21rocsparse_index_base_b
    .private_segment_fixed_size: 0
    .sgpr_count:     34
    .sgpr_spill_count: 0
    .symbol:         _ZN9rocsparseL21csrmvt_general_kernelILj256ELj8Elld21rocsparse_complex_numIdES2_S2_EEvbbT2_NS_24const_host_device_scalarIT6_EEPKT1_S9_PKS3_PKT3_PKT4_PT5_21rocsparse_index_base_b.kd
    .uniform_work_group_size: 1
    .uses_dynamic_stack: false
    .vgpr_count:     36
    .vgpr_spill_count: 0
    .wavefront_size: 64
  - .agpr_count:     0
    .args:
      - .offset:         0
        .size:           1
        .value_kind:     by_value
      - .offset:         1
        .size:           1
        .value_kind:     by_value
      - .offset:         8
        .size:           8
        .value_kind:     by_value
      - .offset:         16
        .size:           16
        .value_kind:     by_value
      - .address_space:  global
        .offset:         32
        .size:           8
        .value_kind:     global_buffer
      - .address_space:  global
        .offset:         40
        .size:           8
        .value_kind:     global_buffer
      - .actual_access:  read_only
        .address_space:  global
        .offset:         48
        .size:           8
        .value_kind:     global_buffer
      - .actual_access:  read_only
        .address_space:  global
        .offset:         56
        .size:           8
        .value_kind:     global_buffer
      - .actual_access:  read_only
        .address_space:  global
        .offset:         64
        .size:           8
        .value_kind:     global_buffer
      - .address_space:  global
        .offset:         72
        .size:           8
        .value_kind:     global_buffer
      - .offset:         80
        .size:           4
        .value_kind:     by_value
      - .offset:         84
        .size:           1
        .value_kind:     by_value
      - .offset:         88
        .size:           4
        .value_kind:     hidden_block_count_x
      - .offset:         92
        .size:           4
        .value_kind:     hidden_block_count_y
      - .offset:         96
        .size:           4
        .value_kind:     hidden_block_count_z
      - .offset:         100
        .size:           2
        .value_kind:     hidden_group_size_x
      - .offset:         102
        .size:           2
        .value_kind:     hidden_group_size_y
      - .offset:         104
        .size:           2
        .value_kind:     hidden_group_size_z
      - .offset:         106
        .size:           2
        .value_kind:     hidden_remainder_x
      - .offset:         108
        .size:           2
        .value_kind:     hidden_remainder_y
      - .offset:         110
        .size:           2
        .value_kind:     hidden_remainder_z
      - .offset:         128
        .size:           8
        .value_kind:     hidden_global_offset_x
      - .offset:         136
        .size:           8
        .value_kind:     hidden_global_offset_y
      - .offset:         144
        .size:           8
        .value_kind:     hidden_global_offset_z
      - .offset:         152
        .size:           2
        .value_kind:     hidden_grid_dims
    .group_segment_fixed_size: 2048
    .kernarg_segment_align: 8
    .kernarg_segment_size: 344
    .language:       OpenCL C
    .language_version:
      - 2
      - 0
    .max_flat_workgroup_size: 256
    .name:           _ZN9rocsparseL21csrmvt_general_kernelILj256ELj16Elld21rocsparse_complex_numIdES2_S2_EEvbbT2_NS_24const_host_device_scalarIT6_EEPKT1_S9_PKS3_PKT3_PKT4_PT5_21rocsparse_index_base_b
    .private_segment_fixed_size: 0
    .sgpr_count:     34
    .sgpr_spill_count: 0
    .symbol:         _ZN9rocsparseL21csrmvt_general_kernelILj256ELj16Elld21rocsparse_complex_numIdES2_S2_EEvbbT2_NS_24const_host_device_scalarIT6_EEPKT1_S9_PKS3_PKT3_PKT4_PT5_21rocsparse_index_base_b.kd
    .uniform_work_group_size: 1
    .uses_dynamic_stack: false
    .vgpr_count:     36
    .vgpr_spill_count: 0
    .wavefront_size: 64
  - .agpr_count:     0
    .args:
      - .offset:         0
        .size:           1
        .value_kind:     by_value
      - .offset:         1
        .size:           1
        .value_kind:     by_value
      - .offset:         8
        .size:           8
        .value_kind:     by_value
      - .offset:         16
        .size:           16
        .value_kind:     by_value
      - .address_space:  global
        .offset:         32
        .size:           8
        .value_kind:     global_buffer
      - .address_space:  global
        .offset:         40
        .size:           8
        .value_kind:     global_buffer
      - .actual_access:  read_only
        .address_space:  global
        .offset:         48
        .size:           8
        .value_kind:     global_buffer
      - .actual_access:  read_only
        .address_space:  global
        .offset:         56
        .size:           8
        .value_kind:     global_buffer
      - .actual_access:  read_only
        .address_space:  global
        .offset:         64
        .size:           8
        .value_kind:     global_buffer
      - .address_space:  global
        .offset:         72
        .size:           8
        .value_kind:     global_buffer
      - .offset:         80
        .size:           4
        .value_kind:     by_value
      - .offset:         84
        .size:           1
        .value_kind:     by_value
      - .offset:         88
        .size:           4
        .value_kind:     hidden_block_count_x
      - .offset:         92
        .size:           4
        .value_kind:     hidden_block_count_y
      - .offset:         96
        .size:           4
        .value_kind:     hidden_block_count_z
      - .offset:         100
        .size:           2
        .value_kind:     hidden_group_size_x
      - .offset:         102
        .size:           2
        .value_kind:     hidden_group_size_y
      - .offset:         104
        .size:           2
        .value_kind:     hidden_group_size_z
      - .offset:         106
        .size:           2
        .value_kind:     hidden_remainder_x
      - .offset:         108
        .size:           2
        .value_kind:     hidden_remainder_y
      - .offset:         110
        .size:           2
        .value_kind:     hidden_remainder_z
      - .offset:         128
        .size:           8
        .value_kind:     hidden_global_offset_x
      - .offset:         136
        .size:           8
        .value_kind:     hidden_global_offset_y
      - .offset:         144
        .size:           8
        .value_kind:     hidden_global_offset_z
      - .offset:         152
        .size:           2
        .value_kind:     hidden_grid_dims
    .group_segment_fixed_size: 2048
    .kernarg_segment_align: 8
    .kernarg_segment_size: 344
    .language:       OpenCL C
    .language_version:
      - 2
      - 0
    .max_flat_workgroup_size: 256
    .name:           _ZN9rocsparseL21csrmvt_general_kernelILj256ELj32Elld21rocsparse_complex_numIdES2_S2_EEvbbT2_NS_24const_host_device_scalarIT6_EEPKT1_S9_PKS3_PKT3_PKT4_PT5_21rocsparse_index_base_b
    .private_segment_fixed_size: 0
    .sgpr_count:     34
    .sgpr_spill_count: 0
    .symbol:         _ZN9rocsparseL21csrmvt_general_kernelILj256ELj32Elld21rocsparse_complex_numIdES2_S2_EEvbbT2_NS_24const_host_device_scalarIT6_EEPKT1_S9_PKS3_PKT3_PKT4_PT5_21rocsparse_index_base_b.kd
    .uniform_work_group_size: 1
    .uses_dynamic_stack: false
    .vgpr_count:     36
    .vgpr_spill_count: 0
    .wavefront_size: 64
  - .agpr_count:     0
    .args:
      - .offset:         0
        .size:           1
        .value_kind:     by_value
      - .offset:         1
        .size:           1
        .value_kind:     by_value
      - .offset:         8
        .size:           8
        .value_kind:     by_value
      - .offset:         16
        .size:           16
        .value_kind:     by_value
      - .address_space:  global
        .offset:         32
        .size:           8
        .value_kind:     global_buffer
      - .address_space:  global
        .offset:         40
        .size:           8
        .value_kind:     global_buffer
      - .actual_access:  read_only
        .address_space:  global
        .offset:         48
        .size:           8
        .value_kind:     global_buffer
      - .actual_access:  read_only
        .address_space:  global
        .offset:         56
        .size:           8
        .value_kind:     global_buffer
      - .actual_access:  read_only
        .address_space:  global
        .offset:         64
        .size:           8
        .value_kind:     global_buffer
      - .address_space:  global
        .offset:         72
        .size:           8
        .value_kind:     global_buffer
      - .offset:         80
        .size:           4
        .value_kind:     by_value
      - .offset:         84
        .size:           1
        .value_kind:     by_value
      - .offset:         88
        .size:           4
        .value_kind:     hidden_block_count_x
      - .offset:         92
        .size:           4
        .value_kind:     hidden_block_count_y
      - .offset:         96
        .size:           4
        .value_kind:     hidden_block_count_z
      - .offset:         100
        .size:           2
        .value_kind:     hidden_group_size_x
      - .offset:         102
        .size:           2
        .value_kind:     hidden_group_size_y
      - .offset:         104
        .size:           2
        .value_kind:     hidden_group_size_z
      - .offset:         106
        .size:           2
        .value_kind:     hidden_remainder_x
      - .offset:         108
        .size:           2
        .value_kind:     hidden_remainder_y
      - .offset:         110
        .size:           2
        .value_kind:     hidden_remainder_z
      - .offset:         128
        .size:           8
        .value_kind:     hidden_global_offset_x
      - .offset:         136
        .size:           8
        .value_kind:     hidden_global_offset_y
      - .offset:         144
        .size:           8
        .value_kind:     hidden_global_offset_z
      - .offset:         152
        .size:           2
        .value_kind:     hidden_grid_dims
    .group_segment_fixed_size: 2048
    .kernarg_segment_align: 8
    .kernarg_segment_size: 344
    .language:       OpenCL C
    .language_version:
      - 2
      - 0
    .max_flat_workgroup_size: 256
    .name:           _ZN9rocsparseL21csrmvt_general_kernelILj256ELj64Elld21rocsparse_complex_numIdES2_S2_EEvbbT2_NS_24const_host_device_scalarIT6_EEPKT1_S9_PKS3_PKT3_PKT4_PT5_21rocsparse_index_base_b
    .private_segment_fixed_size: 0
    .sgpr_count:     34
    .sgpr_spill_count: 0
    .symbol:         _ZN9rocsparseL21csrmvt_general_kernelILj256ELj64Elld21rocsparse_complex_numIdES2_S2_EEvbbT2_NS_24const_host_device_scalarIT6_EEPKT1_S9_PKS3_PKT3_PKT4_PT5_21rocsparse_index_base_b.kd
    .uniform_work_group_size: 1
    .uses_dynamic_stack: false
    .vgpr_count:     36
    .vgpr_spill_count: 0
    .wavefront_size: 64
  - .agpr_count:     0
    .args:
      - .offset:         0
        .size:           1
        .value_kind:     by_value
      - .offset:         4
        .size:           4
        .value_kind:     by_value
      - .offset:         8
        .size:           16
        .value_kind:     by_value
      - .address_space:  global
        .offset:         24
        .size:           8
        .value_kind:     global_buffer
      - .address_space:  global
        .offset:         32
        .size:           8
        .value_kind:     global_buffer
      - .actual_access:  read_only
        .address_space:  global
        .offset:         40
        .size:           8
        .value_kind:     global_buffer
      - .actual_access:  read_only
        .address_space:  global
        .offset:         48
        .size:           8
        .value_kind:     global_buffer
      - .actual_access:  read_only
        .address_space:  global
        .offset:         56
        .size:           8
        .value_kind:     global_buffer
      - .offset:         64
        .size:           16
        .value_kind:     by_value
      - .address_space:  global
        .offset:         80
        .size:           8
        .value_kind:     global_buffer
      - .offset:         88
        .size:           4
        .value_kind:     by_value
      - .offset:         92
        .size:           1
        .value_kind:     by_value
      - .offset:         96
        .size:           4
        .value_kind:     hidden_block_count_x
      - .offset:         100
        .size:           4
        .value_kind:     hidden_block_count_y
      - .offset:         104
        .size:           4
        .value_kind:     hidden_block_count_z
      - .offset:         108
        .size:           2
        .value_kind:     hidden_group_size_x
      - .offset:         110
        .size:           2
        .value_kind:     hidden_group_size_y
      - .offset:         112
        .size:           2
        .value_kind:     hidden_group_size_z
      - .offset:         114
        .size:           2
        .value_kind:     hidden_remainder_x
      - .offset:         116
        .size:           2
        .value_kind:     hidden_remainder_y
      - .offset:         118
        .size:           2
        .value_kind:     hidden_remainder_z
      - .offset:         136
        .size:           8
        .value_kind:     hidden_global_offset_x
      - .offset:         144
        .size:           8
        .value_kind:     hidden_global_offset_y
      - .offset:         152
        .size:           8
        .value_kind:     hidden_global_offset_z
      - .offset:         160
        .size:           2
        .value_kind:     hidden_grid_dims
    .group_segment_fixed_size: 4096
    .kernarg_segment_align: 8
    .kernarg_segment_size: 352
    .language:       OpenCL C
    .language_version:
      - 2
      - 0
    .max_flat_workgroup_size: 256
    .name:           _ZN9rocsparseL21csrmvn_general_kernelILj256ELj2Eii21rocsparse_complex_numIfES1_IdES3_S3_EEvbT2_NS_24const_host_device_scalarIT6_EEPKT1_SA_PKS4_PKT3_PKT4_S7_PT5_21rocsparse_index_base_b
    .private_segment_fixed_size: 0
    .sgpr_count:     31
    .sgpr_spill_count: 0
    .symbol:         _ZN9rocsparseL21csrmvn_general_kernelILj256ELj2Eii21rocsparse_complex_numIfES1_IdES3_S3_EEvbT2_NS_24const_host_device_scalarIT6_EEPKT1_SA_PKS4_PKT3_PKT4_S7_PT5_21rocsparse_index_base_b.kd
    .uniform_work_group_size: 1
    .uses_dynamic_stack: false
    .vgpr_count:     32
    .vgpr_spill_count: 0
    .wavefront_size: 64
  - .agpr_count:     0
    .args:
      - .offset:         0
        .size:           1
        .value_kind:     by_value
      - .offset:         4
        .size:           4
        .value_kind:     by_value
      - .offset:         8
        .size:           16
        .value_kind:     by_value
      - .address_space:  global
        .offset:         24
        .size:           8
        .value_kind:     global_buffer
      - .address_space:  global
        .offset:         32
        .size:           8
        .value_kind:     global_buffer
      - .actual_access:  read_only
        .address_space:  global
        .offset:         40
        .size:           8
        .value_kind:     global_buffer
      - .actual_access:  read_only
        .address_space:  global
        .offset:         48
        .size:           8
        .value_kind:     global_buffer
      - .actual_access:  read_only
        .address_space:  global
        .offset:         56
        .size:           8
        .value_kind:     global_buffer
      - .offset:         64
        .size:           16
        .value_kind:     by_value
      - .address_space:  global
        .offset:         80
        .size:           8
        .value_kind:     global_buffer
      - .offset:         88
        .size:           4
        .value_kind:     by_value
      - .offset:         92
        .size:           1
        .value_kind:     by_value
      - .offset:         96
        .size:           4
        .value_kind:     hidden_block_count_x
      - .offset:         100
        .size:           4
        .value_kind:     hidden_block_count_y
      - .offset:         104
        .size:           4
        .value_kind:     hidden_block_count_z
      - .offset:         108
        .size:           2
        .value_kind:     hidden_group_size_x
      - .offset:         110
        .size:           2
        .value_kind:     hidden_group_size_y
      - .offset:         112
        .size:           2
        .value_kind:     hidden_group_size_z
      - .offset:         114
        .size:           2
        .value_kind:     hidden_remainder_x
      - .offset:         116
        .size:           2
        .value_kind:     hidden_remainder_y
      - .offset:         118
        .size:           2
        .value_kind:     hidden_remainder_z
      - .offset:         136
        .size:           8
        .value_kind:     hidden_global_offset_x
      - .offset:         144
        .size:           8
        .value_kind:     hidden_global_offset_y
      - .offset:         152
        .size:           8
        .value_kind:     hidden_global_offset_z
      - .offset:         160
        .size:           2
        .value_kind:     hidden_grid_dims
    .group_segment_fixed_size: 4096
    .kernarg_segment_align: 8
    .kernarg_segment_size: 352
    .language:       OpenCL C
    .language_version:
      - 2
      - 0
    .max_flat_workgroup_size: 256
    .name:           _ZN9rocsparseL21csrmvn_general_kernelILj256ELj4Eii21rocsparse_complex_numIfES1_IdES3_S3_EEvbT2_NS_24const_host_device_scalarIT6_EEPKT1_SA_PKS4_PKT3_PKT4_S7_PT5_21rocsparse_index_base_b
    .private_segment_fixed_size: 0
    .sgpr_count:     31
    .sgpr_spill_count: 0
    .symbol:         _ZN9rocsparseL21csrmvn_general_kernelILj256ELj4Eii21rocsparse_complex_numIfES1_IdES3_S3_EEvbT2_NS_24const_host_device_scalarIT6_EEPKT1_SA_PKS4_PKT3_PKT4_S7_PT5_21rocsparse_index_base_b.kd
    .uniform_work_group_size: 1
    .uses_dynamic_stack: false
    .vgpr_count:     32
    .vgpr_spill_count: 0
    .wavefront_size: 64
  - .agpr_count:     0
    .args:
      - .offset:         0
        .size:           1
        .value_kind:     by_value
      - .offset:         4
        .size:           4
        .value_kind:     by_value
      - .offset:         8
        .size:           16
        .value_kind:     by_value
      - .address_space:  global
        .offset:         24
        .size:           8
        .value_kind:     global_buffer
      - .address_space:  global
        .offset:         32
        .size:           8
        .value_kind:     global_buffer
      - .actual_access:  read_only
        .address_space:  global
        .offset:         40
        .size:           8
        .value_kind:     global_buffer
      - .actual_access:  read_only
        .address_space:  global
        .offset:         48
        .size:           8
        .value_kind:     global_buffer
      - .actual_access:  read_only
        .address_space:  global
        .offset:         56
        .size:           8
        .value_kind:     global_buffer
      - .offset:         64
        .size:           16
        .value_kind:     by_value
      - .address_space:  global
        .offset:         80
        .size:           8
        .value_kind:     global_buffer
      - .offset:         88
        .size:           4
        .value_kind:     by_value
      - .offset:         92
        .size:           1
        .value_kind:     by_value
      - .offset:         96
        .size:           4
        .value_kind:     hidden_block_count_x
      - .offset:         100
        .size:           4
        .value_kind:     hidden_block_count_y
      - .offset:         104
        .size:           4
        .value_kind:     hidden_block_count_z
      - .offset:         108
        .size:           2
        .value_kind:     hidden_group_size_x
      - .offset:         110
        .size:           2
        .value_kind:     hidden_group_size_y
      - .offset:         112
        .size:           2
        .value_kind:     hidden_group_size_z
      - .offset:         114
        .size:           2
        .value_kind:     hidden_remainder_x
      - .offset:         116
        .size:           2
        .value_kind:     hidden_remainder_y
      - .offset:         118
        .size:           2
        .value_kind:     hidden_remainder_z
      - .offset:         136
        .size:           8
        .value_kind:     hidden_global_offset_x
      - .offset:         144
        .size:           8
        .value_kind:     hidden_global_offset_y
      - .offset:         152
        .size:           8
        .value_kind:     hidden_global_offset_z
      - .offset:         160
        .size:           2
        .value_kind:     hidden_grid_dims
    .group_segment_fixed_size: 4096
    .kernarg_segment_align: 8
    .kernarg_segment_size: 352
    .language:       OpenCL C
    .language_version:
      - 2
      - 0
    .max_flat_workgroup_size: 256
    .name:           _ZN9rocsparseL21csrmvn_general_kernelILj256ELj8Eii21rocsparse_complex_numIfES1_IdES3_S3_EEvbT2_NS_24const_host_device_scalarIT6_EEPKT1_SA_PKS4_PKT3_PKT4_S7_PT5_21rocsparse_index_base_b
    .private_segment_fixed_size: 0
    .sgpr_count:     31
    .sgpr_spill_count: 0
    .symbol:         _ZN9rocsparseL21csrmvn_general_kernelILj256ELj8Eii21rocsparse_complex_numIfES1_IdES3_S3_EEvbT2_NS_24const_host_device_scalarIT6_EEPKT1_SA_PKS4_PKT3_PKT4_S7_PT5_21rocsparse_index_base_b.kd
    .uniform_work_group_size: 1
    .uses_dynamic_stack: false
    .vgpr_count:     32
    .vgpr_spill_count: 0
    .wavefront_size: 64
  - .agpr_count:     0
    .args:
      - .offset:         0
        .size:           1
        .value_kind:     by_value
      - .offset:         4
        .size:           4
        .value_kind:     by_value
      - .offset:         8
        .size:           16
        .value_kind:     by_value
      - .address_space:  global
        .offset:         24
        .size:           8
        .value_kind:     global_buffer
      - .address_space:  global
        .offset:         32
        .size:           8
        .value_kind:     global_buffer
      - .actual_access:  read_only
        .address_space:  global
        .offset:         40
        .size:           8
        .value_kind:     global_buffer
      - .actual_access:  read_only
        .address_space:  global
        .offset:         48
        .size:           8
        .value_kind:     global_buffer
      - .actual_access:  read_only
        .address_space:  global
        .offset:         56
        .size:           8
        .value_kind:     global_buffer
      - .offset:         64
        .size:           16
        .value_kind:     by_value
      - .address_space:  global
        .offset:         80
        .size:           8
        .value_kind:     global_buffer
      - .offset:         88
        .size:           4
        .value_kind:     by_value
      - .offset:         92
        .size:           1
        .value_kind:     by_value
      - .offset:         96
        .size:           4
        .value_kind:     hidden_block_count_x
      - .offset:         100
        .size:           4
        .value_kind:     hidden_block_count_y
      - .offset:         104
        .size:           4
        .value_kind:     hidden_block_count_z
      - .offset:         108
        .size:           2
        .value_kind:     hidden_group_size_x
      - .offset:         110
        .size:           2
        .value_kind:     hidden_group_size_y
      - .offset:         112
        .size:           2
        .value_kind:     hidden_group_size_z
      - .offset:         114
        .size:           2
        .value_kind:     hidden_remainder_x
      - .offset:         116
        .size:           2
        .value_kind:     hidden_remainder_y
      - .offset:         118
        .size:           2
        .value_kind:     hidden_remainder_z
      - .offset:         136
        .size:           8
        .value_kind:     hidden_global_offset_x
      - .offset:         144
        .size:           8
        .value_kind:     hidden_global_offset_y
      - .offset:         152
        .size:           8
        .value_kind:     hidden_global_offset_z
      - .offset:         160
        .size:           2
        .value_kind:     hidden_grid_dims
    .group_segment_fixed_size: 4096
    .kernarg_segment_align: 8
    .kernarg_segment_size: 352
    .language:       OpenCL C
    .language_version:
      - 2
      - 0
    .max_flat_workgroup_size: 256
    .name:           _ZN9rocsparseL21csrmvn_general_kernelILj256ELj16Eii21rocsparse_complex_numIfES1_IdES3_S3_EEvbT2_NS_24const_host_device_scalarIT6_EEPKT1_SA_PKS4_PKT3_PKT4_S7_PT5_21rocsparse_index_base_b
    .private_segment_fixed_size: 0
    .sgpr_count:     31
    .sgpr_spill_count: 0
    .symbol:         _ZN9rocsparseL21csrmvn_general_kernelILj256ELj16Eii21rocsparse_complex_numIfES1_IdES3_S3_EEvbT2_NS_24const_host_device_scalarIT6_EEPKT1_SA_PKS4_PKT3_PKT4_S7_PT5_21rocsparse_index_base_b.kd
    .uniform_work_group_size: 1
    .uses_dynamic_stack: false
    .vgpr_count:     32
    .vgpr_spill_count: 0
    .wavefront_size: 64
  - .agpr_count:     0
    .args:
      - .offset:         0
        .size:           1
        .value_kind:     by_value
      - .offset:         4
        .size:           4
        .value_kind:     by_value
      - .offset:         8
        .size:           16
        .value_kind:     by_value
      - .address_space:  global
        .offset:         24
        .size:           8
        .value_kind:     global_buffer
      - .address_space:  global
        .offset:         32
        .size:           8
        .value_kind:     global_buffer
      - .actual_access:  read_only
        .address_space:  global
        .offset:         40
        .size:           8
        .value_kind:     global_buffer
      - .actual_access:  read_only
        .address_space:  global
        .offset:         48
        .size:           8
        .value_kind:     global_buffer
      - .actual_access:  read_only
        .address_space:  global
        .offset:         56
        .size:           8
        .value_kind:     global_buffer
      - .offset:         64
        .size:           16
        .value_kind:     by_value
      - .address_space:  global
        .offset:         80
        .size:           8
        .value_kind:     global_buffer
      - .offset:         88
        .size:           4
        .value_kind:     by_value
      - .offset:         92
        .size:           1
        .value_kind:     by_value
      - .offset:         96
        .size:           4
        .value_kind:     hidden_block_count_x
      - .offset:         100
        .size:           4
        .value_kind:     hidden_block_count_y
      - .offset:         104
        .size:           4
        .value_kind:     hidden_block_count_z
      - .offset:         108
        .size:           2
        .value_kind:     hidden_group_size_x
      - .offset:         110
        .size:           2
        .value_kind:     hidden_group_size_y
      - .offset:         112
        .size:           2
        .value_kind:     hidden_group_size_z
      - .offset:         114
        .size:           2
        .value_kind:     hidden_remainder_x
      - .offset:         116
        .size:           2
        .value_kind:     hidden_remainder_y
      - .offset:         118
        .size:           2
        .value_kind:     hidden_remainder_z
      - .offset:         136
        .size:           8
        .value_kind:     hidden_global_offset_x
      - .offset:         144
        .size:           8
        .value_kind:     hidden_global_offset_y
      - .offset:         152
        .size:           8
        .value_kind:     hidden_global_offset_z
      - .offset:         160
        .size:           2
        .value_kind:     hidden_grid_dims
    .group_segment_fixed_size: 4096
    .kernarg_segment_align: 8
    .kernarg_segment_size: 352
    .language:       OpenCL C
    .language_version:
      - 2
      - 0
    .max_flat_workgroup_size: 256
    .name:           _ZN9rocsparseL21csrmvn_general_kernelILj256ELj32Eii21rocsparse_complex_numIfES1_IdES3_S3_EEvbT2_NS_24const_host_device_scalarIT6_EEPKT1_SA_PKS4_PKT3_PKT4_S7_PT5_21rocsparse_index_base_b
    .private_segment_fixed_size: 0
    .sgpr_count:     31
    .sgpr_spill_count: 0
    .symbol:         _ZN9rocsparseL21csrmvn_general_kernelILj256ELj32Eii21rocsparse_complex_numIfES1_IdES3_S3_EEvbT2_NS_24const_host_device_scalarIT6_EEPKT1_SA_PKS4_PKT3_PKT4_S7_PT5_21rocsparse_index_base_b.kd
    .uniform_work_group_size: 1
    .uses_dynamic_stack: false
    .vgpr_count:     32
    .vgpr_spill_count: 0
    .wavefront_size: 64
  - .agpr_count:     0
    .args:
      - .offset:         0
        .size:           1
        .value_kind:     by_value
      - .offset:         4
        .size:           4
        .value_kind:     by_value
      - .offset:         8
        .size:           16
        .value_kind:     by_value
      - .address_space:  global
        .offset:         24
        .size:           8
        .value_kind:     global_buffer
      - .address_space:  global
        .offset:         32
        .size:           8
        .value_kind:     global_buffer
      - .actual_access:  read_only
        .address_space:  global
        .offset:         40
        .size:           8
        .value_kind:     global_buffer
      - .actual_access:  read_only
        .address_space:  global
        .offset:         48
        .size:           8
        .value_kind:     global_buffer
      - .actual_access:  read_only
        .address_space:  global
        .offset:         56
        .size:           8
        .value_kind:     global_buffer
      - .offset:         64
        .size:           16
        .value_kind:     by_value
      - .address_space:  global
        .offset:         80
        .size:           8
        .value_kind:     global_buffer
      - .offset:         88
        .size:           4
        .value_kind:     by_value
      - .offset:         92
        .size:           1
        .value_kind:     by_value
      - .offset:         96
        .size:           4
        .value_kind:     hidden_block_count_x
      - .offset:         100
        .size:           4
        .value_kind:     hidden_block_count_y
      - .offset:         104
        .size:           4
        .value_kind:     hidden_block_count_z
      - .offset:         108
        .size:           2
        .value_kind:     hidden_group_size_x
      - .offset:         110
        .size:           2
        .value_kind:     hidden_group_size_y
      - .offset:         112
        .size:           2
        .value_kind:     hidden_group_size_z
      - .offset:         114
        .size:           2
        .value_kind:     hidden_remainder_x
      - .offset:         116
        .size:           2
        .value_kind:     hidden_remainder_y
      - .offset:         118
        .size:           2
        .value_kind:     hidden_remainder_z
      - .offset:         136
        .size:           8
        .value_kind:     hidden_global_offset_x
      - .offset:         144
        .size:           8
        .value_kind:     hidden_global_offset_y
      - .offset:         152
        .size:           8
        .value_kind:     hidden_global_offset_z
      - .offset:         160
        .size:           2
        .value_kind:     hidden_grid_dims
    .group_segment_fixed_size: 4096
    .kernarg_segment_align: 8
    .kernarg_segment_size: 352
    .language:       OpenCL C
    .language_version:
      - 2
      - 0
    .max_flat_workgroup_size: 256
    .name:           _ZN9rocsparseL21csrmvn_general_kernelILj256ELj64Eii21rocsparse_complex_numIfES1_IdES3_S3_EEvbT2_NS_24const_host_device_scalarIT6_EEPKT1_SA_PKS4_PKT3_PKT4_S7_PT5_21rocsparse_index_base_b
    .private_segment_fixed_size: 0
    .sgpr_count:     31
    .sgpr_spill_count: 0
    .symbol:         _ZN9rocsparseL21csrmvn_general_kernelILj256ELj64Eii21rocsparse_complex_numIfES1_IdES3_S3_EEvbT2_NS_24const_host_device_scalarIT6_EEPKT1_SA_PKS4_PKT3_PKT4_S7_PT5_21rocsparse_index_base_b.kd
    .uniform_work_group_size: 1
    .uses_dynamic_stack: false
    .vgpr_count:     32
    .vgpr_spill_count: 0
    .wavefront_size: 64
  - .agpr_count:     0
    .args:
      - .offset:         0
        .size:           1
        .value_kind:     by_value
      - .offset:         1
        .size:           1
        .value_kind:     by_value
      - .offset:         4
        .size:           4
        .value_kind:     by_value
      - .offset:         8
        .size:           16
        .value_kind:     by_value
      - .address_space:  global
        .offset:         24
        .size:           8
        .value_kind:     global_buffer
      - .address_space:  global
        .offset:         32
        .size:           8
        .value_kind:     global_buffer
      - .actual_access:  read_only
        .address_space:  global
        .offset:         40
        .size:           8
        .value_kind:     global_buffer
      - .actual_access:  read_only
        .address_space:  global
        .offset:         48
        .size:           8
        .value_kind:     global_buffer
      - .actual_access:  read_only
        .address_space:  global
        .offset:         56
        .size:           8
        .value_kind:     global_buffer
      - .address_space:  global
        .offset:         64
        .size:           8
        .value_kind:     global_buffer
      - .offset:         72
        .size:           4
        .value_kind:     by_value
      - .offset:         76
        .size:           1
        .value_kind:     by_value
      - .offset:         80
        .size:           4
        .value_kind:     hidden_block_count_x
      - .offset:         84
        .size:           4
        .value_kind:     hidden_block_count_y
      - .offset:         88
        .size:           4
        .value_kind:     hidden_block_count_z
      - .offset:         92
        .size:           2
        .value_kind:     hidden_group_size_x
      - .offset:         94
        .size:           2
        .value_kind:     hidden_group_size_y
      - .offset:         96
        .size:           2
        .value_kind:     hidden_group_size_z
      - .offset:         98
        .size:           2
        .value_kind:     hidden_remainder_x
      - .offset:         100
        .size:           2
        .value_kind:     hidden_remainder_y
      - .offset:         102
        .size:           2
        .value_kind:     hidden_remainder_z
      - .offset:         120
        .size:           8
        .value_kind:     hidden_global_offset_x
      - .offset:         128
        .size:           8
        .value_kind:     hidden_global_offset_y
      - .offset:         136
        .size:           8
        .value_kind:     hidden_global_offset_z
      - .offset:         144
        .size:           2
        .value_kind:     hidden_grid_dims
    .group_segment_fixed_size: 2048
    .kernarg_segment_align: 8
    .kernarg_segment_size: 336
    .language:       OpenCL C
    .language_version:
      - 2
      - 0
    .max_flat_workgroup_size: 256
    .name:           _ZN9rocsparseL21csrmvt_general_kernelILj256ELj4Eii21rocsparse_complex_numIfES1_IdES3_S3_EEvbbT2_NS_24const_host_device_scalarIT6_EEPKT1_SA_PKS4_PKT3_PKT4_PT5_21rocsparse_index_base_b
    .private_segment_fixed_size: 0
    .sgpr_count:     34
    .sgpr_spill_count: 0
    .symbol:         _ZN9rocsparseL21csrmvt_general_kernelILj256ELj4Eii21rocsparse_complex_numIfES1_IdES3_S3_EEvbbT2_NS_24const_host_device_scalarIT6_EEPKT1_SA_PKS4_PKT3_PKT4_PT5_21rocsparse_index_base_b.kd
    .uniform_work_group_size: 1
    .uses_dynamic_stack: false
    .vgpr_count:     30
    .vgpr_spill_count: 0
    .wavefront_size: 64
  - .agpr_count:     0
    .args:
      - .offset:         0
        .size:           1
        .value_kind:     by_value
      - .offset:         1
        .size:           1
        .value_kind:     by_value
      - .offset:         4
        .size:           4
        .value_kind:     by_value
      - .offset:         8
        .size:           16
        .value_kind:     by_value
      - .address_space:  global
        .offset:         24
        .size:           8
        .value_kind:     global_buffer
      - .address_space:  global
        .offset:         32
        .size:           8
        .value_kind:     global_buffer
      - .actual_access:  read_only
        .address_space:  global
        .offset:         40
        .size:           8
        .value_kind:     global_buffer
      - .actual_access:  read_only
        .address_space:  global
        .offset:         48
        .size:           8
        .value_kind:     global_buffer
      - .actual_access:  read_only
        .address_space:  global
        .offset:         56
        .size:           8
        .value_kind:     global_buffer
      - .address_space:  global
        .offset:         64
        .size:           8
        .value_kind:     global_buffer
      - .offset:         72
        .size:           4
        .value_kind:     by_value
      - .offset:         76
        .size:           1
        .value_kind:     by_value
      - .offset:         80
        .size:           4
        .value_kind:     hidden_block_count_x
      - .offset:         84
        .size:           4
        .value_kind:     hidden_block_count_y
      - .offset:         88
        .size:           4
        .value_kind:     hidden_block_count_z
      - .offset:         92
        .size:           2
        .value_kind:     hidden_group_size_x
      - .offset:         94
        .size:           2
        .value_kind:     hidden_group_size_y
      - .offset:         96
        .size:           2
        .value_kind:     hidden_group_size_z
      - .offset:         98
        .size:           2
        .value_kind:     hidden_remainder_x
      - .offset:         100
        .size:           2
        .value_kind:     hidden_remainder_y
      - .offset:         102
        .size:           2
        .value_kind:     hidden_remainder_z
      - .offset:         120
        .size:           8
        .value_kind:     hidden_global_offset_x
      - .offset:         128
        .size:           8
        .value_kind:     hidden_global_offset_y
      - .offset:         136
        .size:           8
        .value_kind:     hidden_global_offset_z
      - .offset:         144
        .size:           2
        .value_kind:     hidden_grid_dims
    .group_segment_fixed_size: 2048
    .kernarg_segment_align: 8
    .kernarg_segment_size: 336
    .language:       OpenCL C
    .language_version:
      - 2
      - 0
    .max_flat_workgroup_size: 256
    .name:           _ZN9rocsparseL21csrmvt_general_kernelILj256ELj8Eii21rocsparse_complex_numIfES1_IdES3_S3_EEvbbT2_NS_24const_host_device_scalarIT6_EEPKT1_SA_PKS4_PKT3_PKT4_PT5_21rocsparse_index_base_b
    .private_segment_fixed_size: 0
    .sgpr_count:     34
    .sgpr_spill_count: 0
    .symbol:         _ZN9rocsparseL21csrmvt_general_kernelILj256ELj8Eii21rocsparse_complex_numIfES1_IdES3_S3_EEvbbT2_NS_24const_host_device_scalarIT6_EEPKT1_SA_PKS4_PKT3_PKT4_PT5_21rocsparse_index_base_b.kd
    .uniform_work_group_size: 1
    .uses_dynamic_stack: false
    .vgpr_count:     30
    .vgpr_spill_count: 0
    .wavefront_size: 64
  - .agpr_count:     0
    .args:
      - .offset:         0
        .size:           1
        .value_kind:     by_value
      - .offset:         1
        .size:           1
        .value_kind:     by_value
      - .offset:         4
        .size:           4
        .value_kind:     by_value
      - .offset:         8
        .size:           16
        .value_kind:     by_value
      - .address_space:  global
        .offset:         24
        .size:           8
        .value_kind:     global_buffer
      - .address_space:  global
        .offset:         32
        .size:           8
        .value_kind:     global_buffer
      - .actual_access:  read_only
        .address_space:  global
        .offset:         40
        .size:           8
        .value_kind:     global_buffer
      - .actual_access:  read_only
        .address_space:  global
        .offset:         48
        .size:           8
        .value_kind:     global_buffer
      - .actual_access:  read_only
        .address_space:  global
        .offset:         56
        .size:           8
        .value_kind:     global_buffer
      - .address_space:  global
        .offset:         64
        .size:           8
        .value_kind:     global_buffer
      - .offset:         72
        .size:           4
        .value_kind:     by_value
      - .offset:         76
        .size:           1
        .value_kind:     by_value
      - .offset:         80
        .size:           4
        .value_kind:     hidden_block_count_x
      - .offset:         84
        .size:           4
        .value_kind:     hidden_block_count_y
      - .offset:         88
        .size:           4
        .value_kind:     hidden_block_count_z
      - .offset:         92
        .size:           2
        .value_kind:     hidden_group_size_x
      - .offset:         94
        .size:           2
        .value_kind:     hidden_group_size_y
      - .offset:         96
        .size:           2
        .value_kind:     hidden_group_size_z
      - .offset:         98
        .size:           2
        .value_kind:     hidden_remainder_x
      - .offset:         100
        .size:           2
        .value_kind:     hidden_remainder_y
      - .offset:         102
        .size:           2
        .value_kind:     hidden_remainder_z
      - .offset:         120
        .size:           8
        .value_kind:     hidden_global_offset_x
      - .offset:         128
        .size:           8
        .value_kind:     hidden_global_offset_y
      - .offset:         136
        .size:           8
        .value_kind:     hidden_global_offset_z
      - .offset:         144
        .size:           2
        .value_kind:     hidden_grid_dims
    .group_segment_fixed_size: 2048
    .kernarg_segment_align: 8
    .kernarg_segment_size: 336
    .language:       OpenCL C
    .language_version:
      - 2
      - 0
    .max_flat_workgroup_size: 256
    .name:           _ZN9rocsparseL21csrmvt_general_kernelILj256ELj16Eii21rocsparse_complex_numIfES1_IdES3_S3_EEvbbT2_NS_24const_host_device_scalarIT6_EEPKT1_SA_PKS4_PKT3_PKT4_PT5_21rocsparse_index_base_b
    .private_segment_fixed_size: 0
    .sgpr_count:     34
    .sgpr_spill_count: 0
    .symbol:         _ZN9rocsparseL21csrmvt_general_kernelILj256ELj16Eii21rocsparse_complex_numIfES1_IdES3_S3_EEvbbT2_NS_24const_host_device_scalarIT6_EEPKT1_SA_PKS4_PKT3_PKT4_PT5_21rocsparse_index_base_b.kd
    .uniform_work_group_size: 1
    .uses_dynamic_stack: false
    .vgpr_count:     30
    .vgpr_spill_count: 0
    .wavefront_size: 64
  - .agpr_count:     0
    .args:
      - .offset:         0
        .size:           1
        .value_kind:     by_value
      - .offset:         1
        .size:           1
        .value_kind:     by_value
      - .offset:         4
        .size:           4
        .value_kind:     by_value
      - .offset:         8
        .size:           16
        .value_kind:     by_value
      - .address_space:  global
        .offset:         24
        .size:           8
        .value_kind:     global_buffer
      - .address_space:  global
        .offset:         32
        .size:           8
        .value_kind:     global_buffer
      - .actual_access:  read_only
        .address_space:  global
        .offset:         40
        .size:           8
        .value_kind:     global_buffer
      - .actual_access:  read_only
        .address_space:  global
        .offset:         48
        .size:           8
        .value_kind:     global_buffer
      - .actual_access:  read_only
        .address_space:  global
        .offset:         56
        .size:           8
        .value_kind:     global_buffer
      - .address_space:  global
        .offset:         64
        .size:           8
        .value_kind:     global_buffer
      - .offset:         72
        .size:           4
        .value_kind:     by_value
      - .offset:         76
        .size:           1
        .value_kind:     by_value
      - .offset:         80
        .size:           4
        .value_kind:     hidden_block_count_x
      - .offset:         84
        .size:           4
        .value_kind:     hidden_block_count_y
      - .offset:         88
        .size:           4
        .value_kind:     hidden_block_count_z
      - .offset:         92
        .size:           2
        .value_kind:     hidden_group_size_x
      - .offset:         94
        .size:           2
        .value_kind:     hidden_group_size_y
      - .offset:         96
        .size:           2
        .value_kind:     hidden_group_size_z
      - .offset:         98
        .size:           2
        .value_kind:     hidden_remainder_x
      - .offset:         100
        .size:           2
        .value_kind:     hidden_remainder_y
      - .offset:         102
        .size:           2
        .value_kind:     hidden_remainder_z
      - .offset:         120
        .size:           8
        .value_kind:     hidden_global_offset_x
      - .offset:         128
        .size:           8
        .value_kind:     hidden_global_offset_y
      - .offset:         136
        .size:           8
        .value_kind:     hidden_global_offset_z
      - .offset:         144
        .size:           2
        .value_kind:     hidden_grid_dims
    .group_segment_fixed_size: 2048
    .kernarg_segment_align: 8
    .kernarg_segment_size: 336
    .language:       OpenCL C
    .language_version:
      - 2
      - 0
    .max_flat_workgroup_size: 256
    .name:           _ZN9rocsparseL21csrmvt_general_kernelILj256ELj32Eii21rocsparse_complex_numIfES1_IdES3_S3_EEvbbT2_NS_24const_host_device_scalarIT6_EEPKT1_SA_PKS4_PKT3_PKT4_PT5_21rocsparse_index_base_b
    .private_segment_fixed_size: 0
    .sgpr_count:     34
    .sgpr_spill_count: 0
    .symbol:         _ZN9rocsparseL21csrmvt_general_kernelILj256ELj32Eii21rocsparse_complex_numIfES1_IdES3_S3_EEvbbT2_NS_24const_host_device_scalarIT6_EEPKT1_SA_PKS4_PKT3_PKT4_PT5_21rocsparse_index_base_b.kd
    .uniform_work_group_size: 1
    .uses_dynamic_stack: false
    .vgpr_count:     30
    .vgpr_spill_count: 0
    .wavefront_size: 64
  - .agpr_count:     0
    .args:
      - .offset:         0
        .size:           1
        .value_kind:     by_value
      - .offset:         1
        .size:           1
        .value_kind:     by_value
      - .offset:         4
        .size:           4
        .value_kind:     by_value
      - .offset:         8
        .size:           16
        .value_kind:     by_value
      - .address_space:  global
        .offset:         24
        .size:           8
        .value_kind:     global_buffer
      - .address_space:  global
        .offset:         32
        .size:           8
        .value_kind:     global_buffer
      - .actual_access:  read_only
        .address_space:  global
        .offset:         40
        .size:           8
        .value_kind:     global_buffer
      - .actual_access:  read_only
        .address_space:  global
        .offset:         48
        .size:           8
        .value_kind:     global_buffer
      - .actual_access:  read_only
        .address_space:  global
        .offset:         56
        .size:           8
        .value_kind:     global_buffer
      - .address_space:  global
        .offset:         64
        .size:           8
        .value_kind:     global_buffer
      - .offset:         72
        .size:           4
        .value_kind:     by_value
      - .offset:         76
        .size:           1
        .value_kind:     by_value
      - .offset:         80
        .size:           4
        .value_kind:     hidden_block_count_x
      - .offset:         84
        .size:           4
        .value_kind:     hidden_block_count_y
      - .offset:         88
        .size:           4
        .value_kind:     hidden_block_count_z
      - .offset:         92
        .size:           2
        .value_kind:     hidden_group_size_x
      - .offset:         94
        .size:           2
        .value_kind:     hidden_group_size_y
      - .offset:         96
        .size:           2
        .value_kind:     hidden_group_size_z
      - .offset:         98
        .size:           2
        .value_kind:     hidden_remainder_x
      - .offset:         100
        .size:           2
        .value_kind:     hidden_remainder_y
      - .offset:         102
        .size:           2
        .value_kind:     hidden_remainder_z
      - .offset:         120
        .size:           8
        .value_kind:     hidden_global_offset_x
      - .offset:         128
        .size:           8
        .value_kind:     hidden_global_offset_y
      - .offset:         136
        .size:           8
        .value_kind:     hidden_global_offset_z
      - .offset:         144
        .size:           2
        .value_kind:     hidden_grid_dims
    .group_segment_fixed_size: 2048
    .kernarg_segment_align: 8
    .kernarg_segment_size: 336
    .language:       OpenCL C
    .language_version:
      - 2
      - 0
    .max_flat_workgroup_size: 256
    .name:           _ZN9rocsparseL21csrmvt_general_kernelILj256ELj64Eii21rocsparse_complex_numIfES1_IdES3_S3_EEvbbT2_NS_24const_host_device_scalarIT6_EEPKT1_SA_PKS4_PKT3_PKT4_PT5_21rocsparse_index_base_b
    .private_segment_fixed_size: 0
    .sgpr_count:     34
    .sgpr_spill_count: 0
    .symbol:         _ZN9rocsparseL21csrmvt_general_kernelILj256ELj64Eii21rocsparse_complex_numIfES1_IdES3_S3_EEvbbT2_NS_24const_host_device_scalarIT6_EEPKT1_SA_PKS4_PKT3_PKT4_PT5_21rocsparse_index_base_b.kd
    .uniform_work_group_size: 1
    .uses_dynamic_stack: false
    .vgpr_count:     30
    .vgpr_spill_count: 0
    .wavefront_size: 64
  - .agpr_count:     0
    .args:
      - .offset:         0
        .size:           1
        .value_kind:     by_value
      - .offset:         4
        .size:           4
        .value_kind:     by_value
      - .offset:         8
        .size:           16
        .value_kind:     by_value
      - .address_space:  global
        .offset:         24
        .size:           8
        .value_kind:     global_buffer
      - .address_space:  global
        .offset:         32
        .size:           8
        .value_kind:     global_buffer
      - .actual_access:  read_only
        .address_space:  global
        .offset:         40
        .size:           8
        .value_kind:     global_buffer
      - .actual_access:  read_only
        .address_space:  global
        .offset:         48
        .size:           8
        .value_kind:     global_buffer
      - .actual_access:  read_only
        .address_space:  global
        .offset:         56
        .size:           8
        .value_kind:     global_buffer
      - .offset:         64
        .size:           16
        .value_kind:     by_value
      - .address_space:  global
        .offset:         80
        .size:           8
        .value_kind:     global_buffer
      - .offset:         88
        .size:           4
        .value_kind:     by_value
      - .offset:         92
        .size:           1
        .value_kind:     by_value
      - .offset:         96
        .size:           4
        .value_kind:     hidden_block_count_x
      - .offset:         100
        .size:           4
        .value_kind:     hidden_block_count_y
      - .offset:         104
        .size:           4
        .value_kind:     hidden_block_count_z
      - .offset:         108
        .size:           2
        .value_kind:     hidden_group_size_x
      - .offset:         110
        .size:           2
        .value_kind:     hidden_group_size_y
      - .offset:         112
        .size:           2
        .value_kind:     hidden_group_size_z
      - .offset:         114
        .size:           2
        .value_kind:     hidden_remainder_x
      - .offset:         116
        .size:           2
        .value_kind:     hidden_remainder_y
      - .offset:         118
        .size:           2
        .value_kind:     hidden_remainder_z
      - .offset:         136
        .size:           8
        .value_kind:     hidden_global_offset_x
      - .offset:         144
        .size:           8
        .value_kind:     hidden_global_offset_y
      - .offset:         152
        .size:           8
        .value_kind:     hidden_global_offset_z
      - .offset:         160
        .size:           2
        .value_kind:     hidden_grid_dims
    .group_segment_fixed_size: 4096
    .kernarg_segment_align: 8
    .kernarg_segment_size: 352
    .language:       OpenCL C
    .language_version:
      - 2
      - 0
    .max_flat_workgroup_size: 256
    .name:           _ZN9rocsparseL21csrmvn_general_kernelILj256ELj2Eli21rocsparse_complex_numIfES1_IdES3_S3_EEvbT2_NS_24const_host_device_scalarIT6_EEPKT1_SA_PKS4_PKT3_PKT4_S7_PT5_21rocsparse_index_base_b
    .private_segment_fixed_size: 0
    .sgpr_count:     30
    .sgpr_spill_count: 0
    .symbol:         _ZN9rocsparseL21csrmvn_general_kernelILj256ELj2Eli21rocsparse_complex_numIfES1_IdES3_S3_EEvbT2_NS_24const_host_device_scalarIT6_EEPKT1_SA_PKS4_PKT3_PKT4_S7_PT5_21rocsparse_index_base_b.kd
    .uniform_work_group_size: 1
    .uses_dynamic_stack: false
    .vgpr_count:     38
    .vgpr_spill_count: 0
    .wavefront_size: 64
  - .agpr_count:     0
    .args:
      - .offset:         0
        .size:           1
        .value_kind:     by_value
      - .offset:         4
        .size:           4
        .value_kind:     by_value
      - .offset:         8
        .size:           16
        .value_kind:     by_value
      - .address_space:  global
        .offset:         24
        .size:           8
        .value_kind:     global_buffer
      - .address_space:  global
        .offset:         32
        .size:           8
        .value_kind:     global_buffer
      - .actual_access:  read_only
        .address_space:  global
        .offset:         40
        .size:           8
        .value_kind:     global_buffer
      - .actual_access:  read_only
        .address_space:  global
        .offset:         48
        .size:           8
        .value_kind:     global_buffer
      - .actual_access:  read_only
        .address_space:  global
        .offset:         56
        .size:           8
        .value_kind:     global_buffer
      - .offset:         64
        .size:           16
        .value_kind:     by_value
      - .address_space:  global
        .offset:         80
        .size:           8
        .value_kind:     global_buffer
      - .offset:         88
        .size:           4
        .value_kind:     by_value
      - .offset:         92
        .size:           1
        .value_kind:     by_value
      - .offset:         96
        .size:           4
        .value_kind:     hidden_block_count_x
      - .offset:         100
        .size:           4
        .value_kind:     hidden_block_count_y
      - .offset:         104
        .size:           4
        .value_kind:     hidden_block_count_z
      - .offset:         108
        .size:           2
        .value_kind:     hidden_group_size_x
      - .offset:         110
        .size:           2
        .value_kind:     hidden_group_size_y
      - .offset:         112
        .size:           2
        .value_kind:     hidden_group_size_z
      - .offset:         114
        .size:           2
        .value_kind:     hidden_remainder_x
      - .offset:         116
        .size:           2
        .value_kind:     hidden_remainder_y
      - .offset:         118
        .size:           2
        .value_kind:     hidden_remainder_z
      - .offset:         136
        .size:           8
        .value_kind:     hidden_global_offset_x
      - .offset:         144
        .size:           8
        .value_kind:     hidden_global_offset_y
      - .offset:         152
        .size:           8
        .value_kind:     hidden_global_offset_z
      - .offset:         160
        .size:           2
        .value_kind:     hidden_grid_dims
    .group_segment_fixed_size: 4096
    .kernarg_segment_align: 8
    .kernarg_segment_size: 352
    .language:       OpenCL C
    .language_version:
      - 2
      - 0
    .max_flat_workgroup_size: 256
    .name:           _ZN9rocsparseL21csrmvn_general_kernelILj256ELj4Eli21rocsparse_complex_numIfES1_IdES3_S3_EEvbT2_NS_24const_host_device_scalarIT6_EEPKT1_SA_PKS4_PKT3_PKT4_S7_PT5_21rocsparse_index_base_b
    .private_segment_fixed_size: 0
    .sgpr_count:     30
    .sgpr_spill_count: 0
    .symbol:         _ZN9rocsparseL21csrmvn_general_kernelILj256ELj4Eli21rocsparse_complex_numIfES1_IdES3_S3_EEvbT2_NS_24const_host_device_scalarIT6_EEPKT1_SA_PKS4_PKT3_PKT4_S7_PT5_21rocsparse_index_base_b.kd
    .uniform_work_group_size: 1
    .uses_dynamic_stack: false
    .vgpr_count:     38
    .vgpr_spill_count: 0
    .wavefront_size: 64
  - .agpr_count:     0
    .args:
      - .offset:         0
        .size:           1
        .value_kind:     by_value
      - .offset:         4
        .size:           4
        .value_kind:     by_value
      - .offset:         8
        .size:           16
        .value_kind:     by_value
      - .address_space:  global
        .offset:         24
        .size:           8
        .value_kind:     global_buffer
      - .address_space:  global
        .offset:         32
        .size:           8
        .value_kind:     global_buffer
      - .actual_access:  read_only
        .address_space:  global
        .offset:         40
        .size:           8
        .value_kind:     global_buffer
      - .actual_access:  read_only
        .address_space:  global
        .offset:         48
        .size:           8
        .value_kind:     global_buffer
      - .actual_access:  read_only
        .address_space:  global
        .offset:         56
        .size:           8
        .value_kind:     global_buffer
      - .offset:         64
        .size:           16
        .value_kind:     by_value
      - .address_space:  global
        .offset:         80
        .size:           8
        .value_kind:     global_buffer
      - .offset:         88
        .size:           4
        .value_kind:     by_value
      - .offset:         92
        .size:           1
        .value_kind:     by_value
      - .offset:         96
        .size:           4
        .value_kind:     hidden_block_count_x
      - .offset:         100
        .size:           4
        .value_kind:     hidden_block_count_y
      - .offset:         104
        .size:           4
        .value_kind:     hidden_block_count_z
      - .offset:         108
        .size:           2
        .value_kind:     hidden_group_size_x
      - .offset:         110
        .size:           2
        .value_kind:     hidden_group_size_y
      - .offset:         112
        .size:           2
        .value_kind:     hidden_group_size_z
      - .offset:         114
        .size:           2
        .value_kind:     hidden_remainder_x
      - .offset:         116
        .size:           2
        .value_kind:     hidden_remainder_y
      - .offset:         118
        .size:           2
        .value_kind:     hidden_remainder_z
      - .offset:         136
        .size:           8
        .value_kind:     hidden_global_offset_x
      - .offset:         144
        .size:           8
        .value_kind:     hidden_global_offset_y
      - .offset:         152
        .size:           8
        .value_kind:     hidden_global_offset_z
      - .offset:         160
        .size:           2
        .value_kind:     hidden_grid_dims
    .group_segment_fixed_size: 4096
    .kernarg_segment_align: 8
    .kernarg_segment_size: 352
    .language:       OpenCL C
    .language_version:
      - 2
      - 0
    .max_flat_workgroup_size: 256
    .name:           _ZN9rocsparseL21csrmvn_general_kernelILj256ELj8Eli21rocsparse_complex_numIfES1_IdES3_S3_EEvbT2_NS_24const_host_device_scalarIT6_EEPKT1_SA_PKS4_PKT3_PKT4_S7_PT5_21rocsparse_index_base_b
    .private_segment_fixed_size: 0
    .sgpr_count:     30
    .sgpr_spill_count: 0
    .symbol:         _ZN9rocsparseL21csrmvn_general_kernelILj256ELj8Eli21rocsparse_complex_numIfES1_IdES3_S3_EEvbT2_NS_24const_host_device_scalarIT6_EEPKT1_SA_PKS4_PKT3_PKT4_S7_PT5_21rocsparse_index_base_b.kd
    .uniform_work_group_size: 1
    .uses_dynamic_stack: false
    .vgpr_count:     38
    .vgpr_spill_count: 0
    .wavefront_size: 64
  - .agpr_count:     0
    .args:
      - .offset:         0
        .size:           1
        .value_kind:     by_value
      - .offset:         4
        .size:           4
        .value_kind:     by_value
      - .offset:         8
        .size:           16
        .value_kind:     by_value
      - .address_space:  global
        .offset:         24
        .size:           8
        .value_kind:     global_buffer
      - .address_space:  global
        .offset:         32
        .size:           8
        .value_kind:     global_buffer
      - .actual_access:  read_only
        .address_space:  global
        .offset:         40
        .size:           8
        .value_kind:     global_buffer
      - .actual_access:  read_only
        .address_space:  global
        .offset:         48
        .size:           8
        .value_kind:     global_buffer
      - .actual_access:  read_only
        .address_space:  global
        .offset:         56
        .size:           8
        .value_kind:     global_buffer
      - .offset:         64
        .size:           16
        .value_kind:     by_value
      - .address_space:  global
        .offset:         80
        .size:           8
        .value_kind:     global_buffer
      - .offset:         88
        .size:           4
        .value_kind:     by_value
      - .offset:         92
        .size:           1
        .value_kind:     by_value
      - .offset:         96
        .size:           4
        .value_kind:     hidden_block_count_x
      - .offset:         100
        .size:           4
        .value_kind:     hidden_block_count_y
      - .offset:         104
        .size:           4
        .value_kind:     hidden_block_count_z
      - .offset:         108
        .size:           2
        .value_kind:     hidden_group_size_x
      - .offset:         110
        .size:           2
        .value_kind:     hidden_group_size_y
      - .offset:         112
        .size:           2
        .value_kind:     hidden_group_size_z
      - .offset:         114
        .size:           2
        .value_kind:     hidden_remainder_x
      - .offset:         116
        .size:           2
        .value_kind:     hidden_remainder_y
      - .offset:         118
        .size:           2
        .value_kind:     hidden_remainder_z
      - .offset:         136
        .size:           8
        .value_kind:     hidden_global_offset_x
      - .offset:         144
        .size:           8
        .value_kind:     hidden_global_offset_y
      - .offset:         152
        .size:           8
        .value_kind:     hidden_global_offset_z
      - .offset:         160
        .size:           2
        .value_kind:     hidden_grid_dims
    .group_segment_fixed_size: 4096
    .kernarg_segment_align: 8
    .kernarg_segment_size: 352
    .language:       OpenCL C
    .language_version:
      - 2
      - 0
    .max_flat_workgroup_size: 256
    .name:           _ZN9rocsparseL21csrmvn_general_kernelILj256ELj16Eli21rocsparse_complex_numIfES1_IdES3_S3_EEvbT2_NS_24const_host_device_scalarIT6_EEPKT1_SA_PKS4_PKT3_PKT4_S7_PT5_21rocsparse_index_base_b
    .private_segment_fixed_size: 0
    .sgpr_count:     32
    .sgpr_spill_count: 0
    .symbol:         _ZN9rocsparseL21csrmvn_general_kernelILj256ELj16Eli21rocsparse_complex_numIfES1_IdES3_S3_EEvbT2_NS_24const_host_device_scalarIT6_EEPKT1_SA_PKS4_PKT3_PKT4_S7_PT5_21rocsparse_index_base_b.kd
    .uniform_work_group_size: 1
    .uses_dynamic_stack: false
    .vgpr_count:     38
    .vgpr_spill_count: 0
    .wavefront_size: 64
  - .agpr_count:     0
    .args:
      - .offset:         0
        .size:           1
        .value_kind:     by_value
      - .offset:         4
        .size:           4
        .value_kind:     by_value
      - .offset:         8
        .size:           16
        .value_kind:     by_value
      - .address_space:  global
        .offset:         24
        .size:           8
        .value_kind:     global_buffer
      - .address_space:  global
        .offset:         32
        .size:           8
        .value_kind:     global_buffer
      - .actual_access:  read_only
        .address_space:  global
        .offset:         40
        .size:           8
        .value_kind:     global_buffer
      - .actual_access:  read_only
        .address_space:  global
        .offset:         48
        .size:           8
        .value_kind:     global_buffer
      - .actual_access:  read_only
        .address_space:  global
        .offset:         56
        .size:           8
        .value_kind:     global_buffer
      - .offset:         64
        .size:           16
        .value_kind:     by_value
      - .address_space:  global
        .offset:         80
        .size:           8
        .value_kind:     global_buffer
      - .offset:         88
        .size:           4
        .value_kind:     by_value
      - .offset:         92
        .size:           1
        .value_kind:     by_value
      - .offset:         96
        .size:           4
        .value_kind:     hidden_block_count_x
      - .offset:         100
        .size:           4
        .value_kind:     hidden_block_count_y
      - .offset:         104
        .size:           4
        .value_kind:     hidden_block_count_z
      - .offset:         108
        .size:           2
        .value_kind:     hidden_group_size_x
      - .offset:         110
        .size:           2
        .value_kind:     hidden_group_size_y
      - .offset:         112
        .size:           2
        .value_kind:     hidden_group_size_z
      - .offset:         114
        .size:           2
        .value_kind:     hidden_remainder_x
      - .offset:         116
        .size:           2
        .value_kind:     hidden_remainder_y
      - .offset:         118
        .size:           2
        .value_kind:     hidden_remainder_z
      - .offset:         136
        .size:           8
        .value_kind:     hidden_global_offset_x
      - .offset:         144
        .size:           8
        .value_kind:     hidden_global_offset_y
      - .offset:         152
        .size:           8
        .value_kind:     hidden_global_offset_z
      - .offset:         160
        .size:           2
        .value_kind:     hidden_grid_dims
    .group_segment_fixed_size: 4096
    .kernarg_segment_align: 8
    .kernarg_segment_size: 352
    .language:       OpenCL C
    .language_version:
      - 2
      - 0
    .max_flat_workgroup_size: 256
    .name:           _ZN9rocsparseL21csrmvn_general_kernelILj256ELj32Eli21rocsparse_complex_numIfES1_IdES3_S3_EEvbT2_NS_24const_host_device_scalarIT6_EEPKT1_SA_PKS4_PKT3_PKT4_S7_PT5_21rocsparse_index_base_b
    .private_segment_fixed_size: 0
    .sgpr_count:     32
    .sgpr_spill_count: 0
    .symbol:         _ZN9rocsparseL21csrmvn_general_kernelILj256ELj32Eli21rocsparse_complex_numIfES1_IdES3_S3_EEvbT2_NS_24const_host_device_scalarIT6_EEPKT1_SA_PKS4_PKT3_PKT4_S7_PT5_21rocsparse_index_base_b.kd
    .uniform_work_group_size: 1
    .uses_dynamic_stack: false
    .vgpr_count:     38
    .vgpr_spill_count: 0
    .wavefront_size: 64
  - .agpr_count:     0
    .args:
      - .offset:         0
        .size:           1
        .value_kind:     by_value
      - .offset:         4
        .size:           4
        .value_kind:     by_value
      - .offset:         8
        .size:           16
        .value_kind:     by_value
      - .address_space:  global
        .offset:         24
        .size:           8
        .value_kind:     global_buffer
      - .address_space:  global
        .offset:         32
        .size:           8
        .value_kind:     global_buffer
      - .actual_access:  read_only
        .address_space:  global
        .offset:         40
        .size:           8
        .value_kind:     global_buffer
      - .actual_access:  read_only
        .address_space:  global
        .offset:         48
        .size:           8
        .value_kind:     global_buffer
      - .actual_access:  read_only
        .address_space:  global
        .offset:         56
        .size:           8
        .value_kind:     global_buffer
      - .offset:         64
        .size:           16
        .value_kind:     by_value
      - .address_space:  global
        .offset:         80
        .size:           8
        .value_kind:     global_buffer
      - .offset:         88
        .size:           4
        .value_kind:     by_value
      - .offset:         92
        .size:           1
        .value_kind:     by_value
      - .offset:         96
        .size:           4
        .value_kind:     hidden_block_count_x
      - .offset:         100
        .size:           4
        .value_kind:     hidden_block_count_y
      - .offset:         104
        .size:           4
        .value_kind:     hidden_block_count_z
      - .offset:         108
        .size:           2
        .value_kind:     hidden_group_size_x
      - .offset:         110
        .size:           2
        .value_kind:     hidden_group_size_y
      - .offset:         112
        .size:           2
        .value_kind:     hidden_group_size_z
      - .offset:         114
        .size:           2
        .value_kind:     hidden_remainder_x
      - .offset:         116
        .size:           2
        .value_kind:     hidden_remainder_y
      - .offset:         118
        .size:           2
        .value_kind:     hidden_remainder_z
      - .offset:         136
        .size:           8
        .value_kind:     hidden_global_offset_x
      - .offset:         144
        .size:           8
        .value_kind:     hidden_global_offset_y
      - .offset:         152
        .size:           8
        .value_kind:     hidden_global_offset_z
      - .offset:         160
        .size:           2
        .value_kind:     hidden_grid_dims
    .group_segment_fixed_size: 4096
    .kernarg_segment_align: 8
    .kernarg_segment_size: 352
    .language:       OpenCL C
    .language_version:
      - 2
      - 0
    .max_flat_workgroup_size: 256
    .name:           _ZN9rocsparseL21csrmvn_general_kernelILj256ELj64Eli21rocsparse_complex_numIfES1_IdES3_S3_EEvbT2_NS_24const_host_device_scalarIT6_EEPKT1_SA_PKS4_PKT3_PKT4_S7_PT5_21rocsparse_index_base_b
    .private_segment_fixed_size: 0
    .sgpr_count:     32
    .sgpr_spill_count: 0
    .symbol:         _ZN9rocsparseL21csrmvn_general_kernelILj256ELj64Eli21rocsparse_complex_numIfES1_IdES3_S3_EEvbT2_NS_24const_host_device_scalarIT6_EEPKT1_SA_PKS4_PKT3_PKT4_S7_PT5_21rocsparse_index_base_b.kd
    .uniform_work_group_size: 1
    .uses_dynamic_stack: false
    .vgpr_count:     38
    .vgpr_spill_count: 0
    .wavefront_size: 64
  - .agpr_count:     0
    .args:
      - .offset:         0
        .size:           1
        .value_kind:     by_value
      - .offset:         1
        .size:           1
        .value_kind:     by_value
      - .offset:         4
        .size:           4
        .value_kind:     by_value
      - .offset:         8
        .size:           16
        .value_kind:     by_value
      - .address_space:  global
        .offset:         24
        .size:           8
        .value_kind:     global_buffer
      - .address_space:  global
        .offset:         32
        .size:           8
        .value_kind:     global_buffer
      - .actual_access:  read_only
        .address_space:  global
        .offset:         40
        .size:           8
        .value_kind:     global_buffer
      - .actual_access:  read_only
        .address_space:  global
        .offset:         48
        .size:           8
        .value_kind:     global_buffer
      - .actual_access:  read_only
        .address_space:  global
        .offset:         56
        .size:           8
        .value_kind:     global_buffer
      - .address_space:  global
        .offset:         64
        .size:           8
        .value_kind:     global_buffer
      - .offset:         72
        .size:           4
        .value_kind:     by_value
      - .offset:         76
        .size:           1
        .value_kind:     by_value
      - .offset:         80
        .size:           4
        .value_kind:     hidden_block_count_x
      - .offset:         84
        .size:           4
        .value_kind:     hidden_block_count_y
      - .offset:         88
        .size:           4
        .value_kind:     hidden_block_count_z
      - .offset:         92
        .size:           2
        .value_kind:     hidden_group_size_x
      - .offset:         94
        .size:           2
        .value_kind:     hidden_group_size_y
      - .offset:         96
        .size:           2
        .value_kind:     hidden_group_size_z
      - .offset:         98
        .size:           2
        .value_kind:     hidden_remainder_x
      - .offset:         100
        .size:           2
        .value_kind:     hidden_remainder_y
      - .offset:         102
        .size:           2
        .value_kind:     hidden_remainder_z
      - .offset:         120
        .size:           8
        .value_kind:     hidden_global_offset_x
      - .offset:         128
        .size:           8
        .value_kind:     hidden_global_offset_y
      - .offset:         136
        .size:           8
        .value_kind:     hidden_global_offset_z
      - .offset:         144
        .size:           2
        .value_kind:     hidden_grid_dims
    .group_segment_fixed_size: 2048
    .kernarg_segment_align: 8
    .kernarg_segment_size: 336
    .language:       OpenCL C
    .language_version:
      - 2
      - 0
    .max_flat_workgroup_size: 256
    .name:           _ZN9rocsparseL21csrmvt_general_kernelILj256ELj4Eli21rocsparse_complex_numIfES1_IdES3_S3_EEvbbT2_NS_24const_host_device_scalarIT6_EEPKT1_SA_PKS4_PKT3_PKT4_PT5_21rocsparse_index_base_b
    .private_segment_fixed_size: 0
    .sgpr_count:     34
    .sgpr_spill_count: 0
    .symbol:         _ZN9rocsparseL21csrmvt_general_kernelILj256ELj4Eli21rocsparse_complex_numIfES1_IdES3_S3_EEvbbT2_NS_24const_host_device_scalarIT6_EEPKT1_SA_PKS4_PKT3_PKT4_PT5_21rocsparse_index_base_b.kd
    .uniform_work_group_size: 1
    .uses_dynamic_stack: false
    .vgpr_count:     33
    .vgpr_spill_count: 0
    .wavefront_size: 64
  - .agpr_count:     0
    .args:
      - .offset:         0
        .size:           1
        .value_kind:     by_value
      - .offset:         1
        .size:           1
        .value_kind:     by_value
      - .offset:         4
        .size:           4
        .value_kind:     by_value
      - .offset:         8
        .size:           16
        .value_kind:     by_value
      - .address_space:  global
        .offset:         24
        .size:           8
        .value_kind:     global_buffer
      - .address_space:  global
        .offset:         32
        .size:           8
        .value_kind:     global_buffer
      - .actual_access:  read_only
        .address_space:  global
        .offset:         40
        .size:           8
        .value_kind:     global_buffer
      - .actual_access:  read_only
        .address_space:  global
        .offset:         48
        .size:           8
        .value_kind:     global_buffer
      - .actual_access:  read_only
        .address_space:  global
        .offset:         56
        .size:           8
        .value_kind:     global_buffer
      - .address_space:  global
        .offset:         64
        .size:           8
        .value_kind:     global_buffer
      - .offset:         72
        .size:           4
        .value_kind:     by_value
      - .offset:         76
        .size:           1
        .value_kind:     by_value
      - .offset:         80
        .size:           4
        .value_kind:     hidden_block_count_x
      - .offset:         84
        .size:           4
        .value_kind:     hidden_block_count_y
      - .offset:         88
        .size:           4
        .value_kind:     hidden_block_count_z
      - .offset:         92
        .size:           2
        .value_kind:     hidden_group_size_x
      - .offset:         94
        .size:           2
        .value_kind:     hidden_group_size_y
      - .offset:         96
        .size:           2
        .value_kind:     hidden_group_size_z
      - .offset:         98
        .size:           2
        .value_kind:     hidden_remainder_x
      - .offset:         100
        .size:           2
        .value_kind:     hidden_remainder_y
      - .offset:         102
        .size:           2
        .value_kind:     hidden_remainder_z
      - .offset:         120
        .size:           8
        .value_kind:     hidden_global_offset_x
      - .offset:         128
        .size:           8
        .value_kind:     hidden_global_offset_y
      - .offset:         136
        .size:           8
        .value_kind:     hidden_global_offset_z
      - .offset:         144
        .size:           2
        .value_kind:     hidden_grid_dims
    .group_segment_fixed_size: 2048
    .kernarg_segment_align: 8
    .kernarg_segment_size: 336
    .language:       OpenCL C
    .language_version:
      - 2
      - 0
    .max_flat_workgroup_size: 256
    .name:           _ZN9rocsparseL21csrmvt_general_kernelILj256ELj8Eli21rocsparse_complex_numIfES1_IdES3_S3_EEvbbT2_NS_24const_host_device_scalarIT6_EEPKT1_SA_PKS4_PKT3_PKT4_PT5_21rocsparse_index_base_b
    .private_segment_fixed_size: 0
    .sgpr_count:     34
    .sgpr_spill_count: 0
    .symbol:         _ZN9rocsparseL21csrmvt_general_kernelILj256ELj8Eli21rocsparse_complex_numIfES1_IdES3_S3_EEvbbT2_NS_24const_host_device_scalarIT6_EEPKT1_SA_PKS4_PKT3_PKT4_PT5_21rocsparse_index_base_b.kd
    .uniform_work_group_size: 1
    .uses_dynamic_stack: false
    .vgpr_count:     33
    .vgpr_spill_count: 0
    .wavefront_size: 64
  - .agpr_count:     0
    .args:
      - .offset:         0
        .size:           1
        .value_kind:     by_value
      - .offset:         1
        .size:           1
        .value_kind:     by_value
      - .offset:         4
        .size:           4
        .value_kind:     by_value
      - .offset:         8
        .size:           16
        .value_kind:     by_value
      - .address_space:  global
        .offset:         24
        .size:           8
        .value_kind:     global_buffer
      - .address_space:  global
        .offset:         32
        .size:           8
        .value_kind:     global_buffer
      - .actual_access:  read_only
        .address_space:  global
        .offset:         40
        .size:           8
        .value_kind:     global_buffer
      - .actual_access:  read_only
        .address_space:  global
        .offset:         48
        .size:           8
        .value_kind:     global_buffer
      - .actual_access:  read_only
        .address_space:  global
        .offset:         56
        .size:           8
        .value_kind:     global_buffer
      - .address_space:  global
        .offset:         64
        .size:           8
        .value_kind:     global_buffer
      - .offset:         72
        .size:           4
        .value_kind:     by_value
      - .offset:         76
        .size:           1
        .value_kind:     by_value
      - .offset:         80
        .size:           4
        .value_kind:     hidden_block_count_x
      - .offset:         84
        .size:           4
        .value_kind:     hidden_block_count_y
      - .offset:         88
        .size:           4
        .value_kind:     hidden_block_count_z
      - .offset:         92
        .size:           2
        .value_kind:     hidden_group_size_x
      - .offset:         94
        .size:           2
        .value_kind:     hidden_group_size_y
      - .offset:         96
        .size:           2
        .value_kind:     hidden_group_size_z
      - .offset:         98
        .size:           2
        .value_kind:     hidden_remainder_x
      - .offset:         100
        .size:           2
        .value_kind:     hidden_remainder_y
      - .offset:         102
        .size:           2
        .value_kind:     hidden_remainder_z
      - .offset:         120
        .size:           8
        .value_kind:     hidden_global_offset_x
      - .offset:         128
        .size:           8
        .value_kind:     hidden_global_offset_y
      - .offset:         136
        .size:           8
        .value_kind:     hidden_global_offset_z
      - .offset:         144
        .size:           2
        .value_kind:     hidden_grid_dims
    .group_segment_fixed_size: 2048
    .kernarg_segment_align: 8
    .kernarg_segment_size: 336
    .language:       OpenCL C
    .language_version:
      - 2
      - 0
    .max_flat_workgroup_size: 256
    .name:           _ZN9rocsparseL21csrmvt_general_kernelILj256ELj16Eli21rocsparse_complex_numIfES1_IdES3_S3_EEvbbT2_NS_24const_host_device_scalarIT6_EEPKT1_SA_PKS4_PKT3_PKT4_PT5_21rocsparse_index_base_b
    .private_segment_fixed_size: 0
    .sgpr_count:     34
    .sgpr_spill_count: 0
    .symbol:         _ZN9rocsparseL21csrmvt_general_kernelILj256ELj16Eli21rocsparse_complex_numIfES1_IdES3_S3_EEvbbT2_NS_24const_host_device_scalarIT6_EEPKT1_SA_PKS4_PKT3_PKT4_PT5_21rocsparse_index_base_b.kd
    .uniform_work_group_size: 1
    .uses_dynamic_stack: false
    .vgpr_count:     33
    .vgpr_spill_count: 0
    .wavefront_size: 64
  - .agpr_count:     0
    .args:
      - .offset:         0
        .size:           1
        .value_kind:     by_value
      - .offset:         1
        .size:           1
        .value_kind:     by_value
      - .offset:         4
        .size:           4
        .value_kind:     by_value
      - .offset:         8
        .size:           16
        .value_kind:     by_value
      - .address_space:  global
        .offset:         24
        .size:           8
        .value_kind:     global_buffer
      - .address_space:  global
        .offset:         32
        .size:           8
        .value_kind:     global_buffer
      - .actual_access:  read_only
        .address_space:  global
        .offset:         40
        .size:           8
        .value_kind:     global_buffer
      - .actual_access:  read_only
        .address_space:  global
        .offset:         48
        .size:           8
        .value_kind:     global_buffer
      - .actual_access:  read_only
        .address_space:  global
        .offset:         56
        .size:           8
        .value_kind:     global_buffer
      - .address_space:  global
        .offset:         64
        .size:           8
        .value_kind:     global_buffer
      - .offset:         72
        .size:           4
        .value_kind:     by_value
      - .offset:         76
        .size:           1
        .value_kind:     by_value
      - .offset:         80
        .size:           4
        .value_kind:     hidden_block_count_x
      - .offset:         84
        .size:           4
        .value_kind:     hidden_block_count_y
      - .offset:         88
        .size:           4
        .value_kind:     hidden_block_count_z
      - .offset:         92
        .size:           2
        .value_kind:     hidden_group_size_x
      - .offset:         94
        .size:           2
        .value_kind:     hidden_group_size_y
      - .offset:         96
        .size:           2
        .value_kind:     hidden_group_size_z
      - .offset:         98
        .size:           2
        .value_kind:     hidden_remainder_x
      - .offset:         100
        .size:           2
        .value_kind:     hidden_remainder_y
      - .offset:         102
        .size:           2
        .value_kind:     hidden_remainder_z
      - .offset:         120
        .size:           8
        .value_kind:     hidden_global_offset_x
      - .offset:         128
        .size:           8
        .value_kind:     hidden_global_offset_y
      - .offset:         136
        .size:           8
        .value_kind:     hidden_global_offset_z
      - .offset:         144
        .size:           2
        .value_kind:     hidden_grid_dims
    .group_segment_fixed_size: 2048
    .kernarg_segment_align: 8
    .kernarg_segment_size: 336
    .language:       OpenCL C
    .language_version:
      - 2
      - 0
    .max_flat_workgroup_size: 256
    .name:           _ZN9rocsparseL21csrmvt_general_kernelILj256ELj32Eli21rocsparse_complex_numIfES1_IdES3_S3_EEvbbT2_NS_24const_host_device_scalarIT6_EEPKT1_SA_PKS4_PKT3_PKT4_PT5_21rocsparse_index_base_b
    .private_segment_fixed_size: 0
    .sgpr_count:     34
    .sgpr_spill_count: 0
    .symbol:         _ZN9rocsparseL21csrmvt_general_kernelILj256ELj32Eli21rocsparse_complex_numIfES1_IdES3_S3_EEvbbT2_NS_24const_host_device_scalarIT6_EEPKT1_SA_PKS4_PKT3_PKT4_PT5_21rocsparse_index_base_b.kd
    .uniform_work_group_size: 1
    .uses_dynamic_stack: false
    .vgpr_count:     33
    .vgpr_spill_count: 0
    .wavefront_size: 64
  - .agpr_count:     0
    .args:
      - .offset:         0
        .size:           1
        .value_kind:     by_value
      - .offset:         1
        .size:           1
        .value_kind:     by_value
      - .offset:         4
        .size:           4
        .value_kind:     by_value
      - .offset:         8
        .size:           16
        .value_kind:     by_value
      - .address_space:  global
        .offset:         24
        .size:           8
        .value_kind:     global_buffer
      - .address_space:  global
        .offset:         32
        .size:           8
        .value_kind:     global_buffer
      - .actual_access:  read_only
        .address_space:  global
        .offset:         40
        .size:           8
        .value_kind:     global_buffer
      - .actual_access:  read_only
        .address_space:  global
        .offset:         48
        .size:           8
        .value_kind:     global_buffer
      - .actual_access:  read_only
        .address_space:  global
        .offset:         56
        .size:           8
        .value_kind:     global_buffer
      - .address_space:  global
        .offset:         64
        .size:           8
        .value_kind:     global_buffer
      - .offset:         72
        .size:           4
        .value_kind:     by_value
      - .offset:         76
        .size:           1
        .value_kind:     by_value
      - .offset:         80
        .size:           4
        .value_kind:     hidden_block_count_x
      - .offset:         84
        .size:           4
        .value_kind:     hidden_block_count_y
      - .offset:         88
        .size:           4
        .value_kind:     hidden_block_count_z
      - .offset:         92
        .size:           2
        .value_kind:     hidden_group_size_x
      - .offset:         94
        .size:           2
        .value_kind:     hidden_group_size_y
      - .offset:         96
        .size:           2
        .value_kind:     hidden_group_size_z
      - .offset:         98
        .size:           2
        .value_kind:     hidden_remainder_x
      - .offset:         100
        .size:           2
        .value_kind:     hidden_remainder_y
      - .offset:         102
        .size:           2
        .value_kind:     hidden_remainder_z
      - .offset:         120
        .size:           8
        .value_kind:     hidden_global_offset_x
      - .offset:         128
        .size:           8
        .value_kind:     hidden_global_offset_y
      - .offset:         136
        .size:           8
        .value_kind:     hidden_global_offset_z
      - .offset:         144
        .size:           2
        .value_kind:     hidden_grid_dims
    .group_segment_fixed_size: 2048
    .kernarg_segment_align: 8
    .kernarg_segment_size: 336
    .language:       OpenCL C
    .language_version:
      - 2
      - 0
    .max_flat_workgroup_size: 256
    .name:           _ZN9rocsparseL21csrmvt_general_kernelILj256ELj64Eli21rocsparse_complex_numIfES1_IdES3_S3_EEvbbT2_NS_24const_host_device_scalarIT6_EEPKT1_SA_PKS4_PKT3_PKT4_PT5_21rocsparse_index_base_b
    .private_segment_fixed_size: 0
    .sgpr_count:     34
    .sgpr_spill_count: 0
    .symbol:         _ZN9rocsparseL21csrmvt_general_kernelILj256ELj64Eli21rocsparse_complex_numIfES1_IdES3_S3_EEvbbT2_NS_24const_host_device_scalarIT6_EEPKT1_SA_PKS4_PKT3_PKT4_PT5_21rocsparse_index_base_b.kd
    .uniform_work_group_size: 1
    .uses_dynamic_stack: false
    .vgpr_count:     33
    .vgpr_spill_count: 0
    .wavefront_size: 64
  - .agpr_count:     0
    .args:
      - .offset:         0
        .size:           1
        .value_kind:     by_value
      - .offset:         8
        .size:           8
        .value_kind:     by_value
      - .offset:         16
        .size:           16
        .value_kind:     by_value
      - .address_space:  global
        .offset:         32
        .size:           8
        .value_kind:     global_buffer
      - .address_space:  global
        .offset:         40
        .size:           8
        .value_kind:     global_buffer
      - .actual_access:  read_only
        .address_space:  global
        .offset:         48
        .size:           8
        .value_kind:     global_buffer
      - .actual_access:  read_only
        .address_space:  global
        .offset:         56
        .size:           8
        .value_kind:     global_buffer
      - .actual_access:  read_only
        .address_space:  global
        .offset:         64
        .size:           8
        .value_kind:     global_buffer
      - .offset:         72
        .size:           16
        .value_kind:     by_value
      - .address_space:  global
        .offset:         88
        .size:           8
        .value_kind:     global_buffer
      - .offset:         96
        .size:           4
        .value_kind:     by_value
      - .offset:         100
        .size:           1
        .value_kind:     by_value
      - .offset:         104
        .size:           4
        .value_kind:     hidden_block_count_x
      - .offset:         108
        .size:           4
        .value_kind:     hidden_block_count_y
      - .offset:         112
        .size:           4
        .value_kind:     hidden_block_count_z
      - .offset:         116
        .size:           2
        .value_kind:     hidden_group_size_x
      - .offset:         118
        .size:           2
        .value_kind:     hidden_group_size_y
      - .offset:         120
        .size:           2
        .value_kind:     hidden_group_size_z
      - .offset:         122
        .size:           2
        .value_kind:     hidden_remainder_x
      - .offset:         124
        .size:           2
        .value_kind:     hidden_remainder_y
      - .offset:         126
        .size:           2
        .value_kind:     hidden_remainder_z
      - .offset:         144
        .size:           8
        .value_kind:     hidden_global_offset_x
      - .offset:         152
        .size:           8
        .value_kind:     hidden_global_offset_y
      - .offset:         160
        .size:           8
        .value_kind:     hidden_global_offset_z
      - .offset:         168
        .size:           2
        .value_kind:     hidden_grid_dims
    .group_segment_fixed_size: 4096
    .kernarg_segment_align: 8
    .kernarg_segment_size: 360
    .language:       OpenCL C
    .language_version:
      - 2
      - 0
    .max_flat_workgroup_size: 256
    .name:           _ZN9rocsparseL21csrmvn_general_kernelILj256ELj2Ell21rocsparse_complex_numIfES1_IdES3_S3_EEvbT2_NS_24const_host_device_scalarIT6_EEPKT1_SA_PKS4_PKT3_PKT4_S7_PT5_21rocsparse_index_base_b
    .private_segment_fixed_size: 0
    .sgpr_count:     32
    .sgpr_spill_count: 0
    .symbol:         _ZN9rocsparseL21csrmvn_general_kernelILj256ELj2Ell21rocsparse_complex_numIfES1_IdES3_S3_EEvbT2_NS_24const_host_device_scalarIT6_EEPKT1_SA_PKS4_PKT3_PKT4_S7_PT5_21rocsparse_index_base_b.kd
    .uniform_work_group_size: 1
    .uses_dynamic_stack: false
    .vgpr_count:     38
    .vgpr_spill_count: 0
    .wavefront_size: 64
  - .agpr_count:     0
    .args:
      - .offset:         0
        .size:           1
        .value_kind:     by_value
      - .offset:         8
        .size:           8
        .value_kind:     by_value
      - .offset:         16
        .size:           16
        .value_kind:     by_value
      - .address_space:  global
        .offset:         32
        .size:           8
        .value_kind:     global_buffer
      - .address_space:  global
        .offset:         40
        .size:           8
        .value_kind:     global_buffer
      - .actual_access:  read_only
        .address_space:  global
        .offset:         48
        .size:           8
        .value_kind:     global_buffer
      - .actual_access:  read_only
        .address_space:  global
        .offset:         56
        .size:           8
        .value_kind:     global_buffer
      - .actual_access:  read_only
        .address_space:  global
        .offset:         64
        .size:           8
        .value_kind:     global_buffer
      - .offset:         72
        .size:           16
        .value_kind:     by_value
      - .address_space:  global
        .offset:         88
        .size:           8
        .value_kind:     global_buffer
      - .offset:         96
        .size:           4
        .value_kind:     by_value
      - .offset:         100
        .size:           1
        .value_kind:     by_value
      - .offset:         104
        .size:           4
        .value_kind:     hidden_block_count_x
      - .offset:         108
        .size:           4
        .value_kind:     hidden_block_count_y
      - .offset:         112
        .size:           4
        .value_kind:     hidden_block_count_z
      - .offset:         116
        .size:           2
        .value_kind:     hidden_group_size_x
      - .offset:         118
        .size:           2
        .value_kind:     hidden_group_size_y
      - .offset:         120
        .size:           2
        .value_kind:     hidden_group_size_z
      - .offset:         122
        .size:           2
        .value_kind:     hidden_remainder_x
      - .offset:         124
        .size:           2
        .value_kind:     hidden_remainder_y
      - .offset:         126
        .size:           2
        .value_kind:     hidden_remainder_z
      - .offset:         144
        .size:           8
        .value_kind:     hidden_global_offset_x
      - .offset:         152
        .size:           8
        .value_kind:     hidden_global_offset_y
      - .offset:         160
        .size:           8
        .value_kind:     hidden_global_offset_z
      - .offset:         168
        .size:           2
        .value_kind:     hidden_grid_dims
    .group_segment_fixed_size: 4096
    .kernarg_segment_align: 8
    .kernarg_segment_size: 360
    .language:       OpenCL C
    .language_version:
      - 2
      - 0
    .max_flat_workgroup_size: 256
    .name:           _ZN9rocsparseL21csrmvn_general_kernelILj256ELj4Ell21rocsparse_complex_numIfES1_IdES3_S3_EEvbT2_NS_24const_host_device_scalarIT6_EEPKT1_SA_PKS4_PKT3_PKT4_S7_PT5_21rocsparse_index_base_b
    .private_segment_fixed_size: 0
    .sgpr_count:     32
    .sgpr_spill_count: 0
    .symbol:         _ZN9rocsparseL21csrmvn_general_kernelILj256ELj4Ell21rocsparse_complex_numIfES1_IdES3_S3_EEvbT2_NS_24const_host_device_scalarIT6_EEPKT1_SA_PKS4_PKT3_PKT4_S7_PT5_21rocsparse_index_base_b.kd
    .uniform_work_group_size: 1
    .uses_dynamic_stack: false
    .vgpr_count:     38
    .vgpr_spill_count: 0
    .wavefront_size: 64
  - .agpr_count:     0
    .args:
      - .offset:         0
        .size:           1
        .value_kind:     by_value
      - .offset:         8
        .size:           8
        .value_kind:     by_value
      - .offset:         16
        .size:           16
        .value_kind:     by_value
      - .address_space:  global
        .offset:         32
        .size:           8
        .value_kind:     global_buffer
      - .address_space:  global
        .offset:         40
        .size:           8
        .value_kind:     global_buffer
      - .actual_access:  read_only
        .address_space:  global
        .offset:         48
        .size:           8
        .value_kind:     global_buffer
      - .actual_access:  read_only
        .address_space:  global
        .offset:         56
        .size:           8
        .value_kind:     global_buffer
      - .actual_access:  read_only
        .address_space:  global
        .offset:         64
        .size:           8
        .value_kind:     global_buffer
      - .offset:         72
        .size:           16
        .value_kind:     by_value
      - .address_space:  global
        .offset:         88
        .size:           8
        .value_kind:     global_buffer
      - .offset:         96
        .size:           4
        .value_kind:     by_value
      - .offset:         100
        .size:           1
        .value_kind:     by_value
      - .offset:         104
        .size:           4
        .value_kind:     hidden_block_count_x
      - .offset:         108
        .size:           4
        .value_kind:     hidden_block_count_y
      - .offset:         112
        .size:           4
        .value_kind:     hidden_block_count_z
      - .offset:         116
        .size:           2
        .value_kind:     hidden_group_size_x
      - .offset:         118
        .size:           2
        .value_kind:     hidden_group_size_y
      - .offset:         120
        .size:           2
        .value_kind:     hidden_group_size_z
      - .offset:         122
        .size:           2
        .value_kind:     hidden_remainder_x
      - .offset:         124
        .size:           2
        .value_kind:     hidden_remainder_y
      - .offset:         126
        .size:           2
        .value_kind:     hidden_remainder_z
      - .offset:         144
        .size:           8
        .value_kind:     hidden_global_offset_x
      - .offset:         152
        .size:           8
        .value_kind:     hidden_global_offset_y
      - .offset:         160
        .size:           8
        .value_kind:     hidden_global_offset_z
      - .offset:         168
        .size:           2
        .value_kind:     hidden_grid_dims
    .group_segment_fixed_size: 4096
    .kernarg_segment_align: 8
    .kernarg_segment_size: 360
    .language:       OpenCL C
    .language_version:
      - 2
      - 0
    .max_flat_workgroup_size: 256
    .name:           _ZN9rocsparseL21csrmvn_general_kernelILj256ELj8Ell21rocsparse_complex_numIfES1_IdES3_S3_EEvbT2_NS_24const_host_device_scalarIT6_EEPKT1_SA_PKS4_PKT3_PKT4_S7_PT5_21rocsparse_index_base_b
    .private_segment_fixed_size: 0
    .sgpr_count:     32
    .sgpr_spill_count: 0
    .symbol:         _ZN9rocsparseL21csrmvn_general_kernelILj256ELj8Ell21rocsparse_complex_numIfES1_IdES3_S3_EEvbT2_NS_24const_host_device_scalarIT6_EEPKT1_SA_PKS4_PKT3_PKT4_S7_PT5_21rocsparse_index_base_b.kd
    .uniform_work_group_size: 1
    .uses_dynamic_stack: false
    .vgpr_count:     38
    .vgpr_spill_count: 0
    .wavefront_size: 64
  - .agpr_count:     0
    .args:
      - .offset:         0
        .size:           1
        .value_kind:     by_value
      - .offset:         8
        .size:           8
        .value_kind:     by_value
      - .offset:         16
        .size:           16
        .value_kind:     by_value
      - .address_space:  global
        .offset:         32
        .size:           8
        .value_kind:     global_buffer
      - .address_space:  global
        .offset:         40
        .size:           8
        .value_kind:     global_buffer
      - .actual_access:  read_only
        .address_space:  global
        .offset:         48
        .size:           8
        .value_kind:     global_buffer
      - .actual_access:  read_only
        .address_space:  global
        .offset:         56
        .size:           8
        .value_kind:     global_buffer
      - .actual_access:  read_only
        .address_space:  global
        .offset:         64
        .size:           8
        .value_kind:     global_buffer
      - .offset:         72
        .size:           16
        .value_kind:     by_value
      - .address_space:  global
        .offset:         88
        .size:           8
        .value_kind:     global_buffer
      - .offset:         96
        .size:           4
        .value_kind:     by_value
      - .offset:         100
        .size:           1
        .value_kind:     by_value
      - .offset:         104
        .size:           4
        .value_kind:     hidden_block_count_x
      - .offset:         108
        .size:           4
        .value_kind:     hidden_block_count_y
      - .offset:         112
        .size:           4
        .value_kind:     hidden_block_count_z
      - .offset:         116
        .size:           2
        .value_kind:     hidden_group_size_x
      - .offset:         118
        .size:           2
        .value_kind:     hidden_group_size_y
      - .offset:         120
        .size:           2
        .value_kind:     hidden_group_size_z
      - .offset:         122
        .size:           2
        .value_kind:     hidden_remainder_x
      - .offset:         124
        .size:           2
        .value_kind:     hidden_remainder_y
      - .offset:         126
        .size:           2
        .value_kind:     hidden_remainder_z
      - .offset:         144
        .size:           8
        .value_kind:     hidden_global_offset_x
      - .offset:         152
        .size:           8
        .value_kind:     hidden_global_offset_y
      - .offset:         160
        .size:           8
        .value_kind:     hidden_global_offset_z
      - .offset:         168
        .size:           2
        .value_kind:     hidden_grid_dims
    .group_segment_fixed_size: 4096
    .kernarg_segment_align: 8
    .kernarg_segment_size: 360
    .language:       OpenCL C
    .language_version:
      - 2
      - 0
    .max_flat_workgroup_size: 256
    .name:           _ZN9rocsparseL21csrmvn_general_kernelILj256ELj16Ell21rocsparse_complex_numIfES1_IdES3_S3_EEvbT2_NS_24const_host_device_scalarIT6_EEPKT1_SA_PKS4_PKT3_PKT4_S7_PT5_21rocsparse_index_base_b
    .private_segment_fixed_size: 0
    .sgpr_count:     34
    .sgpr_spill_count: 0
    .symbol:         _ZN9rocsparseL21csrmvn_general_kernelILj256ELj16Ell21rocsparse_complex_numIfES1_IdES3_S3_EEvbT2_NS_24const_host_device_scalarIT6_EEPKT1_SA_PKS4_PKT3_PKT4_S7_PT5_21rocsparse_index_base_b.kd
    .uniform_work_group_size: 1
    .uses_dynamic_stack: false
    .vgpr_count:     38
    .vgpr_spill_count: 0
    .wavefront_size: 64
  - .agpr_count:     0
    .args:
      - .offset:         0
        .size:           1
        .value_kind:     by_value
      - .offset:         8
        .size:           8
        .value_kind:     by_value
      - .offset:         16
        .size:           16
        .value_kind:     by_value
      - .address_space:  global
        .offset:         32
        .size:           8
        .value_kind:     global_buffer
      - .address_space:  global
        .offset:         40
        .size:           8
        .value_kind:     global_buffer
      - .actual_access:  read_only
        .address_space:  global
        .offset:         48
        .size:           8
        .value_kind:     global_buffer
      - .actual_access:  read_only
        .address_space:  global
        .offset:         56
        .size:           8
        .value_kind:     global_buffer
      - .actual_access:  read_only
        .address_space:  global
        .offset:         64
        .size:           8
        .value_kind:     global_buffer
      - .offset:         72
        .size:           16
        .value_kind:     by_value
      - .address_space:  global
        .offset:         88
        .size:           8
        .value_kind:     global_buffer
      - .offset:         96
        .size:           4
        .value_kind:     by_value
      - .offset:         100
        .size:           1
        .value_kind:     by_value
      - .offset:         104
        .size:           4
        .value_kind:     hidden_block_count_x
      - .offset:         108
        .size:           4
        .value_kind:     hidden_block_count_y
      - .offset:         112
        .size:           4
        .value_kind:     hidden_block_count_z
      - .offset:         116
        .size:           2
        .value_kind:     hidden_group_size_x
      - .offset:         118
        .size:           2
        .value_kind:     hidden_group_size_y
      - .offset:         120
        .size:           2
        .value_kind:     hidden_group_size_z
      - .offset:         122
        .size:           2
        .value_kind:     hidden_remainder_x
      - .offset:         124
        .size:           2
        .value_kind:     hidden_remainder_y
      - .offset:         126
        .size:           2
        .value_kind:     hidden_remainder_z
      - .offset:         144
        .size:           8
        .value_kind:     hidden_global_offset_x
      - .offset:         152
        .size:           8
        .value_kind:     hidden_global_offset_y
      - .offset:         160
        .size:           8
        .value_kind:     hidden_global_offset_z
      - .offset:         168
        .size:           2
        .value_kind:     hidden_grid_dims
    .group_segment_fixed_size: 4096
    .kernarg_segment_align: 8
    .kernarg_segment_size: 360
    .language:       OpenCL C
    .language_version:
      - 2
      - 0
    .max_flat_workgroup_size: 256
    .name:           _ZN9rocsparseL21csrmvn_general_kernelILj256ELj32Ell21rocsparse_complex_numIfES1_IdES3_S3_EEvbT2_NS_24const_host_device_scalarIT6_EEPKT1_SA_PKS4_PKT3_PKT4_S7_PT5_21rocsparse_index_base_b
    .private_segment_fixed_size: 0
    .sgpr_count:     34
    .sgpr_spill_count: 0
    .symbol:         _ZN9rocsparseL21csrmvn_general_kernelILj256ELj32Ell21rocsparse_complex_numIfES1_IdES3_S3_EEvbT2_NS_24const_host_device_scalarIT6_EEPKT1_SA_PKS4_PKT3_PKT4_S7_PT5_21rocsparse_index_base_b.kd
    .uniform_work_group_size: 1
    .uses_dynamic_stack: false
    .vgpr_count:     38
    .vgpr_spill_count: 0
    .wavefront_size: 64
  - .agpr_count:     0
    .args:
      - .offset:         0
        .size:           1
        .value_kind:     by_value
      - .offset:         8
        .size:           8
        .value_kind:     by_value
      - .offset:         16
        .size:           16
        .value_kind:     by_value
      - .address_space:  global
        .offset:         32
        .size:           8
        .value_kind:     global_buffer
      - .address_space:  global
        .offset:         40
        .size:           8
        .value_kind:     global_buffer
      - .actual_access:  read_only
        .address_space:  global
        .offset:         48
        .size:           8
        .value_kind:     global_buffer
      - .actual_access:  read_only
        .address_space:  global
        .offset:         56
        .size:           8
        .value_kind:     global_buffer
      - .actual_access:  read_only
        .address_space:  global
        .offset:         64
        .size:           8
        .value_kind:     global_buffer
      - .offset:         72
        .size:           16
        .value_kind:     by_value
      - .address_space:  global
        .offset:         88
        .size:           8
        .value_kind:     global_buffer
      - .offset:         96
        .size:           4
        .value_kind:     by_value
      - .offset:         100
        .size:           1
        .value_kind:     by_value
      - .offset:         104
        .size:           4
        .value_kind:     hidden_block_count_x
      - .offset:         108
        .size:           4
        .value_kind:     hidden_block_count_y
      - .offset:         112
        .size:           4
        .value_kind:     hidden_block_count_z
      - .offset:         116
        .size:           2
        .value_kind:     hidden_group_size_x
      - .offset:         118
        .size:           2
        .value_kind:     hidden_group_size_y
      - .offset:         120
        .size:           2
        .value_kind:     hidden_group_size_z
      - .offset:         122
        .size:           2
        .value_kind:     hidden_remainder_x
      - .offset:         124
        .size:           2
        .value_kind:     hidden_remainder_y
      - .offset:         126
        .size:           2
        .value_kind:     hidden_remainder_z
      - .offset:         144
        .size:           8
        .value_kind:     hidden_global_offset_x
      - .offset:         152
        .size:           8
        .value_kind:     hidden_global_offset_y
      - .offset:         160
        .size:           8
        .value_kind:     hidden_global_offset_z
      - .offset:         168
        .size:           2
        .value_kind:     hidden_grid_dims
    .group_segment_fixed_size: 4096
    .kernarg_segment_align: 8
    .kernarg_segment_size: 360
    .language:       OpenCL C
    .language_version:
      - 2
      - 0
    .max_flat_workgroup_size: 256
    .name:           _ZN9rocsparseL21csrmvn_general_kernelILj256ELj64Ell21rocsparse_complex_numIfES1_IdES3_S3_EEvbT2_NS_24const_host_device_scalarIT6_EEPKT1_SA_PKS4_PKT3_PKT4_S7_PT5_21rocsparse_index_base_b
    .private_segment_fixed_size: 0
    .sgpr_count:     34
    .sgpr_spill_count: 0
    .symbol:         _ZN9rocsparseL21csrmvn_general_kernelILj256ELj64Ell21rocsparse_complex_numIfES1_IdES3_S3_EEvbT2_NS_24const_host_device_scalarIT6_EEPKT1_SA_PKS4_PKT3_PKT4_S7_PT5_21rocsparse_index_base_b.kd
    .uniform_work_group_size: 1
    .uses_dynamic_stack: false
    .vgpr_count:     38
    .vgpr_spill_count: 0
    .wavefront_size: 64
  - .agpr_count:     0
    .args:
      - .offset:         0
        .size:           1
        .value_kind:     by_value
      - .offset:         1
        .size:           1
        .value_kind:     by_value
      - .offset:         8
        .size:           8
        .value_kind:     by_value
      - .offset:         16
        .size:           16
        .value_kind:     by_value
      - .address_space:  global
        .offset:         32
        .size:           8
        .value_kind:     global_buffer
      - .address_space:  global
        .offset:         40
        .size:           8
        .value_kind:     global_buffer
      - .actual_access:  read_only
        .address_space:  global
        .offset:         48
        .size:           8
        .value_kind:     global_buffer
      - .actual_access:  read_only
        .address_space:  global
        .offset:         56
        .size:           8
        .value_kind:     global_buffer
      - .actual_access:  read_only
        .address_space:  global
        .offset:         64
        .size:           8
        .value_kind:     global_buffer
      - .address_space:  global
        .offset:         72
        .size:           8
        .value_kind:     global_buffer
      - .offset:         80
        .size:           4
        .value_kind:     by_value
      - .offset:         84
        .size:           1
        .value_kind:     by_value
      - .offset:         88
        .size:           4
        .value_kind:     hidden_block_count_x
      - .offset:         92
        .size:           4
        .value_kind:     hidden_block_count_y
      - .offset:         96
        .size:           4
        .value_kind:     hidden_block_count_z
      - .offset:         100
        .size:           2
        .value_kind:     hidden_group_size_x
      - .offset:         102
        .size:           2
        .value_kind:     hidden_group_size_y
      - .offset:         104
        .size:           2
        .value_kind:     hidden_group_size_z
      - .offset:         106
        .size:           2
        .value_kind:     hidden_remainder_x
      - .offset:         108
        .size:           2
        .value_kind:     hidden_remainder_y
      - .offset:         110
        .size:           2
        .value_kind:     hidden_remainder_z
      - .offset:         128
        .size:           8
        .value_kind:     hidden_global_offset_x
      - .offset:         136
        .size:           8
        .value_kind:     hidden_global_offset_y
      - .offset:         144
        .size:           8
        .value_kind:     hidden_global_offset_z
      - .offset:         152
        .size:           2
        .value_kind:     hidden_grid_dims
    .group_segment_fixed_size: 2048
    .kernarg_segment_align: 8
    .kernarg_segment_size: 344
    .language:       OpenCL C
    .language_version:
      - 2
      - 0
    .max_flat_workgroup_size: 256
    .name:           _ZN9rocsparseL21csrmvt_general_kernelILj256ELj4Ell21rocsparse_complex_numIfES1_IdES3_S3_EEvbbT2_NS_24const_host_device_scalarIT6_EEPKT1_SA_PKS4_PKT3_PKT4_PT5_21rocsparse_index_base_b
    .private_segment_fixed_size: 0
    .sgpr_count:     34
    .sgpr_spill_count: 0
    .symbol:         _ZN9rocsparseL21csrmvt_general_kernelILj256ELj4Ell21rocsparse_complex_numIfES1_IdES3_S3_EEvbbT2_NS_24const_host_device_scalarIT6_EEPKT1_SA_PKS4_PKT3_PKT4_PT5_21rocsparse_index_base_b.kd
    .uniform_work_group_size: 1
    .uses_dynamic_stack: false
    .vgpr_count:     34
    .vgpr_spill_count: 0
    .wavefront_size: 64
  - .agpr_count:     0
    .args:
      - .offset:         0
        .size:           1
        .value_kind:     by_value
      - .offset:         1
        .size:           1
        .value_kind:     by_value
      - .offset:         8
        .size:           8
        .value_kind:     by_value
      - .offset:         16
        .size:           16
        .value_kind:     by_value
      - .address_space:  global
        .offset:         32
        .size:           8
        .value_kind:     global_buffer
      - .address_space:  global
        .offset:         40
        .size:           8
        .value_kind:     global_buffer
      - .actual_access:  read_only
        .address_space:  global
        .offset:         48
        .size:           8
        .value_kind:     global_buffer
      - .actual_access:  read_only
        .address_space:  global
        .offset:         56
        .size:           8
        .value_kind:     global_buffer
      - .actual_access:  read_only
        .address_space:  global
        .offset:         64
        .size:           8
        .value_kind:     global_buffer
      - .address_space:  global
        .offset:         72
        .size:           8
        .value_kind:     global_buffer
      - .offset:         80
        .size:           4
        .value_kind:     by_value
      - .offset:         84
        .size:           1
        .value_kind:     by_value
      - .offset:         88
        .size:           4
        .value_kind:     hidden_block_count_x
      - .offset:         92
        .size:           4
        .value_kind:     hidden_block_count_y
      - .offset:         96
        .size:           4
        .value_kind:     hidden_block_count_z
      - .offset:         100
        .size:           2
        .value_kind:     hidden_group_size_x
      - .offset:         102
        .size:           2
        .value_kind:     hidden_group_size_y
      - .offset:         104
        .size:           2
        .value_kind:     hidden_group_size_z
      - .offset:         106
        .size:           2
        .value_kind:     hidden_remainder_x
      - .offset:         108
        .size:           2
        .value_kind:     hidden_remainder_y
      - .offset:         110
        .size:           2
        .value_kind:     hidden_remainder_z
      - .offset:         128
        .size:           8
        .value_kind:     hidden_global_offset_x
      - .offset:         136
        .size:           8
        .value_kind:     hidden_global_offset_y
      - .offset:         144
        .size:           8
        .value_kind:     hidden_global_offset_z
      - .offset:         152
        .size:           2
        .value_kind:     hidden_grid_dims
    .group_segment_fixed_size: 2048
    .kernarg_segment_align: 8
    .kernarg_segment_size: 344
    .language:       OpenCL C
    .language_version:
      - 2
      - 0
    .max_flat_workgroup_size: 256
    .name:           _ZN9rocsparseL21csrmvt_general_kernelILj256ELj8Ell21rocsparse_complex_numIfES1_IdES3_S3_EEvbbT2_NS_24const_host_device_scalarIT6_EEPKT1_SA_PKS4_PKT3_PKT4_PT5_21rocsparse_index_base_b
    .private_segment_fixed_size: 0
    .sgpr_count:     34
    .sgpr_spill_count: 0
    .symbol:         _ZN9rocsparseL21csrmvt_general_kernelILj256ELj8Ell21rocsparse_complex_numIfES1_IdES3_S3_EEvbbT2_NS_24const_host_device_scalarIT6_EEPKT1_SA_PKS4_PKT3_PKT4_PT5_21rocsparse_index_base_b.kd
    .uniform_work_group_size: 1
    .uses_dynamic_stack: false
    .vgpr_count:     34
    .vgpr_spill_count: 0
    .wavefront_size: 64
  - .agpr_count:     0
    .args:
      - .offset:         0
        .size:           1
        .value_kind:     by_value
      - .offset:         1
        .size:           1
        .value_kind:     by_value
      - .offset:         8
        .size:           8
        .value_kind:     by_value
      - .offset:         16
        .size:           16
        .value_kind:     by_value
      - .address_space:  global
        .offset:         32
        .size:           8
        .value_kind:     global_buffer
      - .address_space:  global
        .offset:         40
        .size:           8
        .value_kind:     global_buffer
      - .actual_access:  read_only
        .address_space:  global
        .offset:         48
        .size:           8
        .value_kind:     global_buffer
      - .actual_access:  read_only
        .address_space:  global
        .offset:         56
        .size:           8
        .value_kind:     global_buffer
      - .actual_access:  read_only
        .address_space:  global
        .offset:         64
        .size:           8
        .value_kind:     global_buffer
      - .address_space:  global
        .offset:         72
        .size:           8
        .value_kind:     global_buffer
      - .offset:         80
        .size:           4
        .value_kind:     by_value
      - .offset:         84
        .size:           1
        .value_kind:     by_value
      - .offset:         88
        .size:           4
        .value_kind:     hidden_block_count_x
      - .offset:         92
        .size:           4
        .value_kind:     hidden_block_count_y
      - .offset:         96
        .size:           4
        .value_kind:     hidden_block_count_z
      - .offset:         100
        .size:           2
        .value_kind:     hidden_group_size_x
      - .offset:         102
        .size:           2
        .value_kind:     hidden_group_size_y
      - .offset:         104
        .size:           2
        .value_kind:     hidden_group_size_z
      - .offset:         106
        .size:           2
        .value_kind:     hidden_remainder_x
      - .offset:         108
        .size:           2
        .value_kind:     hidden_remainder_y
      - .offset:         110
        .size:           2
        .value_kind:     hidden_remainder_z
      - .offset:         128
        .size:           8
        .value_kind:     hidden_global_offset_x
      - .offset:         136
        .size:           8
        .value_kind:     hidden_global_offset_y
      - .offset:         144
        .size:           8
        .value_kind:     hidden_global_offset_z
      - .offset:         152
        .size:           2
        .value_kind:     hidden_grid_dims
    .group_segment_fixed_size: 2048
    .kernarg_segment_align: 8
    .kernarg_segment_size: 344
    .language:       OpenCL C
    .language_version:
      - 2
      - 0
    .max_flat_workgroup_size: 256
    .name:           _ZN9rocsparseL21csrmvt_general_kernelILj256ELj16Ell21rocsparse_complex_numIfES1_IdES3_S3_EEvbbT2_NS_24const_host_device_scalarIT6_EEPKT1_SA_PKS4_PKT3_PKT4_PT5_21rocsparse_index_base_b
    .private_segment_fixed_size: 0
    .sgpr_count:     34
    .sgpr_spill_count: 0
    .symbol:         _ZN9rocsparseL21csrmvt_general_kernelILj256ELj16Ell21rocsparse_complex_numIfES1_IdES3_S3_EEvbbT2_NS_24const_host_device_scalarIT6_EEPKT1_SA_PKS4_PKT3_PKT4_PT5_21rocsparse_index_base_b.kd
    .uniform_work_group_size: 1
    .uses_dynamic_stack: false
    .vgpr_count:     34
    .vgpr_spill_count: 0
    .wavefront_size: 64
  - .agpr_count:     0
    .args:
      - .offset:         0
        .size:           1
        .value_kind:     by_value
      - .offset:         1
        .size:           1
        .value_kind:     by_value
      - .offset:         8
        .size:           8
        .value_kind:     by_value
      - .offset:         16
        .size:           16
        .value_kind:     by_value
      - .address_space:  global
        .offset:         32
        .size:           8
        .value_kind:     global_buffer
      - .address_space:  global
        .offset:         40
        .size:           8
        .value_kind:     global_buffer
      - .actual_access:  read_only
        .address_space:  global
        .offset:         48
        .size:           8
        .value_kind:     global_buffer
      - .actual_access:  read_only
        .address_space:  global
        .offset:         56
        .size:           8
        .value_kind:     global_buffer
      - .actual_access:  read_only
        .address_space:  global
        .offset:         64
        .size:           8
        .value_kind:     global_buffer
      - .address_space:  global
        .offset:         72
        .size:           8
        .value_kind:     global_buffer
      - .offset:         80
        .size:           4
        .value_kind:     by_value
      - .offset:         84
        .size:           1
        .value_kind:     by_value
      - .offset:         88
        .size:           4
        .value_kind:     hidden_block_count_x
      - .offset:         92
        .size:           4
        .value_kind:     hidden_block_count_y
      - .offset:         96
        .size:           4
        .value_kind:     hidden_block_count_z
      - .offset:         100
        .size:           2
        .value_kind:     hidden_group_size_x
      - .offset:         102
        .size:           2
        .value_kind:     hidden_group_size_y
      - .offset:         104
        .size:           2
        .value_kind:     hidden_group_size_z
      - .offset:         106
        .size:           2
        .value_kind:     hidden_remainder_x
      - .offset:         108
        .size:           2
        .value_kind:     hidden_remainder_y
      - .offset:         110
        .size:           2
        .value_kind:     hidden_remainder_z
      - .offset:         128
        .size:           8
        .value_kind:     hidden_global_offset_x
      - .offset:         136
        .size:           8
        .value_kind:     hidden_global_offset_y
      - .offset:         144
        .size:           8
        .value_kind:     hidden_global_offset_z
      - .offset:         152
        .size:           2
        .value_kind:     hidden_grid_dims
    .group_segment_fixed_size: 2048
    .kernarg_segment_align: 8
    .kernarg_segment_size: 344
    .language:       OpenCL C
    .language_version:
      - 2
      - 0
    .max_flat_workgroup_size: 256
    .name:           _ZN9rocsparseL21csrmvt_general_kernelILj256ELj32Ell21rocsparse_complex_numIfES1_IdES3_S3_EEvbbT2_NS_24const_host_device_scalarIT6_EEPKT1_SA_PKS4_PKT3_PKT4_PT5_21rocsparse_index_base_b
    .private_segment_fixed_size: 0
    .sgpr_count:     34
    .sgpr_spill_count: 0
    .symbol:         _ZN9rocsparseL21csrmvt_general_kernelILj256ELj32Ell21rocsparse_complex_numIfES1_IdES3_S3_EEvbbT2_NS_24const_host_device_scalarIT6_EEPKT1_SA_PKS4_PKT3_PKT4_PT5_21rocsparse_index_base_b.kd
    .uniform_work_group_size: 1
    .uses_dynamic_stack: false
    .vgpr_count:     34
    .vgpr_spill_count: 0
    .wavefront_size: 64
  - .agpr_count:     0
    .args:
      - .offset:         0
        .size:           1
        .value_kind:     by_value
      - .offset:         1
        .size:           1
        .value_kind:     by_value
      - .offset:         8
        .size:           8
        .value_kind:     by_value
      - .offset:         16
        .size:           16
        .value_kind:     by_value
      - .address_space:  global
        .offset:         32
        .size:           8
        .value_kind:     global_buffer
      - .address_space:  global
        .offset:         40
        .size:           8
        .value_kind:     global_buffer
      - .actual_access:  read_only
        .address_space:  global
        .offset:         48
        .size:           8
        .value_kind:     global_buffer
      - .actual_access:  read_only
        .address_space:  global
        .offset:         56
        .size:           8
        .value_kind:     global_buffer
      - .actual_access:  read_only
        .address_space:  global
        .offset:         64
        .size:           8
        .value_kind:     global_buffer
      - .address_space:  global
        .offset:         72
        .size:           8
        .value_kind:     global_buffer
      - .offset:         80
        .size:           4
        .value_kind:     by_value
      - .offset:         84
        .size:           1
        .value_kind:     by_value
      - .offset:         88
        .size:           4
        .value_kind:     hidden_block_count_x
      - .offset:         92
        .size:           4
        .value_kind:     hidden_block_count_y
      - .offset:         96
        .size:           4
        .value_kind:     hidden_block_count_z
      - .offset:         100
        .size:           2
        .value_kind:     hidden_group_size_x
      - .offset:         102
        .size:           2
        .value_kind:     hidden_group_size_y
      - .offset:         104
        .size:           2
        .value_kind:     hidden_group_size_z
      - .offset:         106
        .size:           2
        .value_kind:     hidden_remainder_x
      - .offset:         108
        .size:           2
        .value_kind:     hidden_remainder_y
      - .offset:         110
        .size:           2
        .value_kind:     hidden_remainder_z
      - .offset:         128
        .size:           8
        .value_kind:     hidden_global_offset_x
      - .offset:         136
        .size:           8
        .value_kind:     hidden_global_offset_y
      - .offset:         144
        .size:           8
        .value_kind:     hidden_global_offset_z
      - .offset:         152
        .size:           2
        .value_kind:     hidden_grid_dims
    .group_segment_fixed_size: 2048
    .kernarg_segment_align: 8
    .kernarg_segment_size: 344
    .language:       OpenCL C
    .language_version:
      - 2
      - 0
    .max_flat_workgroup_size: 256
    .name:           _ZN9rocsparseL21csrmvt_general_kernelILj256ELj64Ell21rocsparse_complex_numIfES1_IdES3_S3_EEvbbT2_NS_24const_host_device_scalarIT6_EEPKT1_SA_PKS4_PKT3_PKT4_PT5_21rocsparse_index_base_b
    .private_segment_fixed_size: 0
    .sgpr_count:     34
    .sgpr_spill_count: 0
    .symbol:         _ZN9rocsparseL21csrmvt_general_kernelILj256ELj64Ell21rocsparse_complex_numIfES1_IdES3_S3_EEvbbT2_NS_24const_host_device_scalarIT6_EEPKT1_SA_PKS4_PKT3_PKT4_PT5_21rocsparse_index_base_b.kd
    .uniform_work_group_size: 1
    .uses_dynamic_stack: false
    .vgpr_count:     34
    .vgpr_spill_count: 0
    .wavefront_size: 64
amdhsa.target:   amdgcn-amd-amdhsa--gfx90a
amdhsa.version:
  - 1
  - 2
...

	.end_amdgpu_metadata
